;; amdgpu-corpus repo=ROCm/rccl kind=compiled arch=gfx1250 opt=O3
	.amdgcn_target "amdgcn-amd-amdhsa--gfx1250"
	.amdhsa_code_object_version 6
	.text
	.p2align	2                               ; -- Begin function __ockl_fprintf_append_string_n
	.type	__ockl_fprintf_append_string_n,@function
__ockl_fprintf_append_string_n:         ; @__ockl_fprintf_append_string_n
; %bb.0:
	s_wait_loadcnt_dscnt 0x0
	s_wait_kmcnt 0x0
	v_or_b32_e32 v2, 2, v0
	v_cmp_eq_u32_e32 vcc_lo, 0, v6
	v_mbcnt_lo_u32_b32 v30, -1, 0
	s_get_pc_i64 s[0:1]
	s_add_nc_u64 s[0:1], s[0:1], .str.3@rel64+4
	s_mov_b32 s6, 0
	s_cmp_lg_u64 s[0:1], 0
	v_cndmask_b32_e32 v3, v2, v0, vcc_lo
	s_cbranch_scc0 .LBB0_113
; %bb.1:
	s_load_b64 s[2:3], s[8:9], 0x50
	s_delay_alu instid0(VALU_DEP_1) | instskip(SKIP_3) | instid1(VALU_DEP_4)
	v_dual_mov_b32 v7, 0 :: v_dual_bitop2_b32 v0, -3, v3 bitop3:0x40
	v_mov_b64_e32 v[8:9], 0x100000002
	v_mov_b64_e32 v[32:33], s[0:1]
	v_and_b32_e32 v2, 2, v3
	v_mov_b64_e32 v[10:11], v[0:1]
	s_mov_b32 s7, 0
	s_branch .LBB0_3
.LBB0_2:                                ;   in Loop: Header=BB0_3 Depth=1
	s_or_b32 exec_lo, exec_lo, s10
	v_sub_nc_u64_e32 v[4:5], v[4:5], v[34:35]
	v_add_nc_u64_e32 v[32:33], v[32:33], v[34:35]
	s_delay_alu instid0(VALU_DEP_2) | instskip(SKIP_1) | instid1(SALU_CYCLE_1)
	v_cmp_eq_u64_e32 vcc_lo, 0, v[4:5]
	s_or_b32 s7, vcc_lo, s7
	s_and_not1_b32 exec_lo, exec_lo, s7
	s_cbranch_execz .LBB0_85
.LBB0_3:                                ; =>This Loop Header: Depth=1
                                        ;     Child Loop BB0_6 Depth 2
                                        ;     Child Loop BB0_14 Depth 2
	;; [unrolled: 1-line block ×11, first 2 shown]
	v_min_u64 v[34:35], v[4:5], 56
	s_delay_alu instid0(VALU_DEP_3)
	v_add_nc_u64_e32 v[16:17], 8, v[32:33]
	s_mov_b32 s0, exec_lo
	v_cmpx_gt_u64_e32 8, v[4:5]
	s_xor_b32 s4, exec_lo, s0
	s_cbranch_execz .LBB0_9
; %bb.4:                                ;   in Loop: Header=BB0_3 Depth=1
	s_wait_loadcnt 0x0
	v_mov_b64_e32 v[12:13], 0
	s_mov_b32 s5, exec_lo
	v_cmpx_ne_u64_e32 0, v[4:5]
	s_cbranch_execz .LBB0_8
; %bb.5:                                ;   in Loop: Header=BB0_3 Depth=1
	v_mov_b64_e32 v[12:13], 0
	v_mov_b64_e32 v[14:15], v[32:33]
	v_lshlrev_b32_e32 v0, 3, v34
	s_mov_b64 s[0:1], 0
	s_mov_b32 s10, 0
.LBB0_6:                                ;   Parent Loop BB0_3 Depth=1
                                        ; =>  This Inner Loop Header: Depth=2
	global_load_u8 v6, v[14:15], off
	v_mov_b32_e32 v17, s6
	s_wait_xcnt 0x0
	v_add_nc_u64_e32 v[14:15], 1, v[14:15]
	s_wait_loadcnt 0x0
	v_and_b32_e32 v16, 0xffff, v6
	s_delay_alu instid0(VALU_DEP_1) | instskip(SKIP_1) | instid1(SALU_CYCLE_1)
	v_lshlrev_b64_e32 v[16:17], s0, v[16:17]
	s_add_nc_u64 s[0:1], s[0:1], 8
	v_cmp_eq_u32_e32 vcc_lo, s0, v0
	s_delay_alu instid0(VALU_DEP_2) | instskip(NEXT) | instid1(VALU_DEP_3)
	v_or_b32_e32 v13, v17, v13
	v_or_b32_e32 v12, v16, v12
	s_or_b32 s10, vcc_lo, s10
	s_delay_alu instid0(SALU_CYCLE_1)
	s_and_not1_b32 exec_lo, exec_lo, s10
	s_cbranch_execnz .LBB0_6
; %bb.7:                                ;   in Loop: Header=BB0_3 Depth=1
	s_or_b32 exec_lo, exec_lo, s10
.LBB0_8:                                ;   in Loop: Header=BB0_3 Depth=1
	s_delay_alu instid0(SALU_CYCLE_1)
	s_or_b32 exec_lo, exec_lo, s5
	v_mov_b64_e32 v[16:17], v[32:33]
.LBB0_9:                                ;   in Loop: Header=BB0_3 Depth=1
	s_or_saveexec_b32 s0, s4
	v_mov_b32_e32 v0, 0
	s_xor_b32 exec_lo, exec_lo, s0
	s_cbranch_execz .LBB0_11
; %bb.10:                               ;   in Loop: Header=BB0_3 Depth=1
	s_wait_loadcnt 0x0
	global_load_b64 v[12:13], v[32:33], off
	v_add_nc_u32_e32 v0, -8, v34
.LBB0_11:                               ;   in Loop: Header=BB0_3 Depth=1
	s_wait_xcnt 0x0
	s_or_b32 exec_lo, exec_lo, s0
	v_add_nc_u64_e32 v[18:19], 8, v[16:17]
                                        ; implicit-def: $vgpr14_vgpr15
	s_mov_b32 s0, exec_lo
	v_cmpx_gt_u32_e32 8, v0
	s_xor_b32 s10, exec_lo, s0
	s_cbranch_execz .LBB0_17
; %bb.12:                               ;   in Loop: Header=BB0_3 Depth=1
	v_mov_b64_e32 v[14:15], 0
	s_mov_b32 s11, exec_lo
	v_cmpx_ne_u32_e32 0, v0
	s_cbranch_execz .LBB0_16
; %bb.13:                               ;   in Loop: Header=BB0_3 Depth=1
	v_mov_b64_e32 v[14:15], 0
	s_mov_b64 s[0:1], 0
	s_mov_b32 s12, 0
	s_mov_b64 s[4:5], 0
.LBB0_14:                               ;   Parent Loop BB0_3 Depth=1
                                        ; =>  This Inner Loop Header: Depth=2
	s_delay_alu instid0(SALU_CYCLE_1) | instskip(SKIP_1) | instid1(SALU_CYCLE_1)
	v_add_nc_u64_e32 v[18:19], s[4:5], v[16:17]
	s_add_nc_u64 s[4:5], s[4:5], 1
	v_cmp_eq_u32_e32 vcc_lo, s4, v0
	global_load_u8 v6, v[18:19], off
	s_wait_xcnt 0x0
	v_mov_b32_e32 v19, s6
	s_or_b32 s12, vcc_lo, s12
	s_wait_loadcnt 0x0
	v_and_b32_e32 v18, 0xffff, v6
	s_delay_alu instid0(VALU_DEP_1) | instskip(SKIP_1) | instid1(VALU_DEP_1)
	v_lshlrev_b64_e32 v[18:19], s0, v[18:19]
	s_add_nc_u64 s[0:1], s[0:1], 8
	v_or_b32_e32 v15, v19, v15
	s_delay_alu instid0(VALU_DEP_2)
	v_or_b32_e32 v14, v18, v14
	s_and_not1_b32 exec_lo, exec_lo, s12
	s_cbranch_execnz .LBB0_14
; %bb.15:                               ;   in Loop: Header=BB0_3 Depth=1
	s_or_b32 exec_lo, exec_lo, s12
.LBB0_16:                               ;   in Loop: Header=BB0_3 Depth=1
	s_delay_alu instid0(SALU_CYCLE_1)
	s_or_b32 exec_lo, exec_lo, s11
	v_mov_b64_e32 v[18:19], v[16:17]
                                        ; implicit-def: $vgpr0
.LBB0_17:                               ;   in Loop: Header=BB0_3 Depth=1
	s_or_saveexec_b32 s0, s10
	v_mov_b32_e32 v6, 0
	s_xor_b32 exec_lo, exec_lo, s0
	s_cbranch_execz .LBB0_19
; %bb.18:                               ;   in Loop: Header=BB0_3 Depth=1
	global_load_b64 v[14:15], v[16:17], off
	v_add_nc_u32_e32 v6, -8, v0
.LBB0_19:                               ;   in Loop: Header=BB0_3 Depth=1
	s_wait_xcnt 0x0
	s_or_b32 exec_lo, exec_lo, s0
	v_add_nc_u64_e32 v[20:21], 8, v[18:19]
	s_mov_b32 s0, exec_lo
	v_cmpx_gt_u32_e32 8, v6
	s_xor_b32 s10, exec_lo, s0
	s_cbranch_execz .LBB0_25
; %bb.20:                               ;   in Loop: Header=BB0_3 Depth=1
	v_mov_b64_e32 v[16:17], 0
	s_mov_b32 s11, exec_lo
	v_cmpx_ne_u32_e32 0, v6
	s_cbranch_execz .LBB0_24
; %bb.21:                               ;   in Loop: Header=BB0_3 Depth=1
	v_mov_b64_e32 v[16:17], 0
	s_mov_b64 s[0:1], 0
	s_mov_b32 s12, 0
	s_mov_b64 s[4:5], 0
.LBB0_22:                               ;   Parent Loop BB0_3 Depth=1
                                        ; =>  This Inner Loop Header: Depth=2
	s_delay_alu instid0(SALU_CYCLE_1) | instskip(SKIP_1) | instid1(SALU_CYCLE_1)
	v_add_nc_u64_e32 v[20:21], s[4:5], v[18:19]
	s_add_nc_u64 s[4:5], s[4:5], 1
	v_cmp_eq_u32_e32 vcc_lo, s4, v6
	global_load_u8 v0, v[20:21], off
	s_wait_xcnt 0x0
	v_mov_b32_e32 v21, s6
	s_or_b32 s12, vcc_lo, s12
	s_wait_loadcnt 0x0
	v_and_b32_e32 v20, 0xffff, v0
	s_delay_alu instid0(VALU_DEP_1) | instskip(SKIP_1) | instid1(VALU_DEP_1)
	v_lshlrev_b64_e32 v[20:21], s0, v[20:21]
	s_add_nc_u64 s[0:1], s[0:1], 8
	v_or_b32_e32 v17, v21, v17
	s_delay_alu instid0(VALU_DEP_2)
	v_or_b32_e32 v16, v20, v16
	s_and_not1_b32 exec_lo, exec_lo, s12
	s_cbranch_execnz .LBB0_22
; %bb.23:                               ;   in Loop: Header=BB0_3 Depth=1
	s_or_b32 exec_lo, exec_lo, s12
.LBB0_24:                               ;   in Loop: Header=BB0_3 Depth=1
	s_delay_alu instid0(SALU_CYCLE_1)
	s_or_b32 exec_lo, exec_lo, s11
	v_mov_b64_e32 v[20:21], v[18:19]
                                        ; implicit-def: $vgpr6
.LBB0_25:                               ;   in Loop: Header=BB0_3 Depth=1
	s_or_saveexec_b32 s0, s10
	v_mov_b32_e32 v0, 0
	s_xor_b32 exec_lo, exec_lo, s0
	s_cbranch_execz .LBB0_27
; %bb.26:                               ;   in Loop: Header=BB0_3 Depth=1
	global_load_b64 v[16:17], v[18:19], off
	v_add_nc_u32_e32 v0, -8, v6
.LBB0_27:                               ;   in Loop: Header=BB0_3 Depth=1
	s_wait_xcnt 0x0
	s_or_b32 exec_lo, exec_lo, s0
	v_add_nc_u64_e32 v[22:23], 8, v[20:21]
                                        ; implicit-def: $vgpr18_vgpr19
	s_mov_b32 s0, exec_lo
	v_cmpx_gt_u32_e32 8, v0
	s_xor_b32 s10, exec_lo, s0
	s_cbranch_execz .LBB0_33
; %bb.28:                               ;   in Loop: Header=BB0_3 Depth=1
	v_mov_b64_e32 v[18:19], 0
	s_mov_b32 s11, exec_lo
	v_cmpx_ne_u32_e32 0, v0
	s_cbranch_execz .LBB0_32
; %bb.29:                               ;   in Loop: Header=BB0_3 Depth=1
	v_mov_b64_e32 v[18:19], 0
	s_mov_b64 s[0:1], 0
	s_mov_b32 s12, 0
	s_mov_b64 s[4:5], 0
.LBB0_30:                               ;   Parent Loop BB0_3 Depth=1
                                        ; =>  This Inner Loop Header: Depth=2
	s_delay_alu instid0(SALU_CYCLE_1) | instskip(SKIP_1) | instid1(SALU_CYCLE_1)
	v_add_nc_u64_e32 v[22:23], s[4:5], v[20:21]
	s_add_nc_u64 s[4:5], s[4:5], 1
	v_cmp_eq_u32_e32 vcc_lo, s4, v0
	global_load_u8 v6, v[22:23], off
	s_wait_xcnt 0x0
	v_mov_b32_e32 v23, s6
	s_or_b32 s12, vcc_lo, s12
	s_wait_loadcnt 0x0
	v_and_b32_e32 v22, 0xffff, v6
	s_delay_alu instid0(VALU_DEP_1) | instskip(SKIP_1) | instid1(VALU_DEP_1)
	v_lshlrev_b64_e32 v[22:23], s0, v[22:23]
	s_add_nc_u64 s[0:1], s[0:1], 8
	v_or_b32_e32 v19, v23, v19
	s_delay_alu instid0(VALU_DEP_2)
	v_or_b32_e32 v18, v22, v18
	s_and_not1_b32 exec_lo, exec_lo, s12
	s_cbranch_execnz .LBB0_30
; %bb.31:                               ;   in Loop: Header=BB0_3 Depth=1
	s_or_b32 exec_lo, exec_lo, s12
.LBB0_32:                               ;   in Loop: Header=BB0_3 Depth=1
	s_delay_alu instid0(SALU_CYCLE_1)
	s_or_b32 exec_lo, exec_lo, s11
	v_mov_b64_e32 v[22:23], v[20:21]
                                        ; implicit-def: $vgpr0
.LBB0_33:                               ;   in Loop: Header=BB0_3 Depth=1
	s_or_saveexec_b32 s0, s10
	v_mov_b32_e32 v6, 0
	s_xor_b32 exec_lo, exec_lo, s0
	s_cbranch_execz .LBB0_35
; %bb.34:                               ;   in Loop: Header=BB0_3 Depth=1
	global_load_b64 v[18:19], v[20:21], off
	v_add_nc_u32_e32 v6, -8, v0
.LBB0_35:                               ;   in Loop: Header=BB0_3 Depth=1
	s_wait_xcnt 0x0
	s_or_b32 exec_lo, exec_lo, s0
	v_add_nc_u64_e32 v[24:25], 8, v[22:23]
	s_mov_b32 s0, exec_lo
	v_cmpx_gt_u32_e32 8, v6
	s_xor_b32 s10, exec_lo, s0
	s_cbranch_execz .LBB0_41
; %bb.36:                               ;   in Loop: Header=BB0_3 Depth=1
	v_mov_b64_e32 v[20:21], 0
	s_mov_b32 s11, exec_lo
	v_cmpx_ne_u32_e32 0, v6
	s_cbranch_execz .LBB0_40
; %bb.37:                               ;   in Loop: Header=BB0_3 Depth=1
	v_mov_b64_e32 v[20:21], 0
	s_mov_b64 s[0:1], 0
	s_mov_b32 s12, 0
	s_mov_b64 s[4:5], 0
.LBB0_38:                               ;   Parent Loop BB0_3 Depth=1
                                        ; =>  This Inner Loop Header: Depth=2
	s_delay_alu instid0(SALU_CYCLE_1) | instskip(SKIP_1) | instid1(SALU_CYCLE_1)
	v_add_nc_u64_e32 v[24:25], s[4:5], v[22:23]
	s_add_nc_u64 s[4:5], s[4:5], 1
	v_cmp_eq_u32_e32 vcc_lo, s4, v6
	global_load_u8 v0, v[24:25], off
	s_wait_xcnt 0x0
	v_mov_b32_e32 v25, s6
	s_or_b32 s12, vcc_lo, s12
	s_wait_loadcnt 0x0
	v_and_b32_e32 v24, 0xffff, v0
	s_delay_alu instid0(VALU_DEP_1) | instskip(SKIP_1) | instid1(VALU_DEP_1)
	v_lshlrev_b64_e32 v[24:25], s0, v[24:25]
	s_add_nc_u64 s[0:1], s[0:1], 8
	v_or_b32_e32 v21, v25, v21
	s_delay_alu instid0(VALU_DEP_2)
	v_or_b32_e32 v20, v24, v20
	s_and_not1_b32 exec_lo, exec_lo, s12
	s_cbranch_execnz .LBB0_38
; %bb.39:                               ;   in Loop: Header=BB0_3 Depth=1
	s_or_b32 exec_lo, exec_lo, s12
.LBB0_40:                               ;   in Loop: Header=BB0_3 Depth=1
	s_delay_alu instid0(SALU_CYCLE_1)
	s_or_b32 exec_lo, exec_lo, s11
	v_mov_b64_e32 v[24:25], v[22:23]
                                        ; implicit-def: $vgpr6
.LBB0_41:                               ;   in Loop: Header=BB0_3 Depth=1
	s_or_saveexec_b32 s0, s10
	v_mov_b32_e32 v0, 0
	s_xor_b32 exec_lo, exec_lo, s0
	s_cbranch_execz .LBB0_43
; %bb.42:                               ;   in Loop: Header=BB0_3 Depth=1
	global_load_b64 v[20:21], v[22:23], off
	v_add_nc_u32_e32 v0, -8, v6
.LBB0_43:                               ;   in Loop: Header=BB0_3 Depth=1
	s_wait_xcnt 0x0
	s_or_b32 exec_lo, exec_lo, s0
	v_add_nc_u64_e32 v[26:27], 8, v[24:25]
                                        ; implicit-def: $vgpr22_vgpr23
	s_mov_b32 s0, exec_lo
	v_cmpx_gt_u32_e32 8, v0
	s_xor_b32 s10, exec_lo, s0
	s_cbranch_execz .LBB0_49
; %bb.44:                               ;   in Loop: Header=BB0_3 Depth=1
	v_mov_b64_e32 v[22:23], 0
	s_mov_b32 s11, exec_lo
	v_cmpx_ne_u32_e32 0, v0
	s_cbranch_execz .LBB0_48
; %bb.45:                               ;   in Loop: Header=BB0_3 Depth=1
	v_mov_b64_e32 v[22:23], 0
	s_mov_b64 s[0:1], 0
	s_mov_b32 s12, 0
	s_mov_b64 s[4:5], 0
.LBB0_46:                               ;   Parent Loop BB0_3 Depth=1
                                        ; =>  This Inner Loop Header: Depth=2
	s_delay_alu instid0(SALU_CYCLE_1) | instskip(SKIP_1) | instid1(SALU_CYCLE_1)
	v_add_nc_u64_e32 v[26:27], s[4:5], v[24:25]
	s_add_nc_u64 s[4:5], s[4:5], 1
	v_cmp_eq_u32_e32 vcc_lo, s4, v0
	global_load_u8 v6, v[26:27], off
	s_wait_xcnt 0x0
	v_mov_b32_e32 v27, s6
	s_or_b32 s12, vcc_lo, s12
	s_wait_loadcnt 0x0
	v_and_b32_e32 v26, 0xffff, v6
	s_delay_alu instid0(VALU_DEP_1) | instskip(SKIP_1) | instid1(VALU_DEP_1)
	v_lshlrev_b64_e32 v[26:27], s0, v[26:27]
	s_add_nc_u64 s[0:1], s[0:1], 8
	v_or_b32_e32 v23, v27, v23
	s_delay_alu instid0(VALU_DEP_2)
	v_or_b32_e32 v22, v26, v22
	s_and_not1_b32 exec_lo, exec_lo, s12
	s_cbranch_execnz .LBB0_46
; %bb.47:                               ;   in Loop: Header=BB0_3 Depth=1
	s_or_b32 exec_lo, exec_lo, s12
.LBB0_48:                               ;   in Loop: Header=BB0_3 Depth=1
	s_delay_alu instid0(SALU_CYCLE_1)
	s_or_b32 exec_lo, exec_lo, s11
	v_mov_b64_e32 v[26:27], v[24:25]
                                        ; implicit-def: $vgpr0
.LBB0_49:                               ;   in Loop: Header=BB0_3 Depth=1
	s_or_saveexec_b32 s0, s10
	v_mov_b32_e32 v6, 0
	s_xor_b32 exec_lo, exec_lo, s0
	s_cbranch_execz .LBB0_51
; %bb.50:                               ;   in Loop: Header=BB0_3 Depth=1
	global_load_b64 v[22:23], v[24:25], off
	v_add_nc_u32_e32 v6, -8, v0
.LBB0_51:                               ;   in Loop: Header=BB0_3 Depth=1
	s_wait_xcnt 0x0
	s_or_b32 exec_lo, exec_lo, s0
	s_delay_alu instid0(SALU_CYCLE_1) | instskip(NEXT) | instid1(VALU_DEP_1)
	s_mov_b32 s0, exec_lo
	v_cmpx_gt_u32_e32 8, v6
	s_xor_b32 s4, exec_lo, s0
	s_cbranch_execz .LBB0_57
; %bb.52:                               ;   in Loop: Header=BB0_3 Depth=1
	v_mov_b64_e32 v[24:25], 0
	s_mov_b32 s5, exec_lo
	v_cmpx_ne_u32_e32 0, v6
	s_cbranch_execz .LBB0_56
; %bb.53:                               ;   in Loop: Header=BB0_3 Depth=1
	v_mov_b64_e32 v[24:25], 0
	s_mov_b64 s[0:1], 0
	s_mov_b32 s10, 0
.LBB0_54:                               ;   Parent Loop BB0_3 Depth=1
                                        ; =>  This Inner Loop Header: Depth=2
	global_load_u8 v0, v[26:27], off
	v_dual_mov_b32 v29, s6 :: v_dual_add_nc_u32 v6, -1, v6
	s_wait_xcnt 0x0
	v_add_nc_u64_e32 v[26:27], 1, v[26:27]
	s_delay_alu instid0(VALU_DEP_2) | instskip(SKIP_3) | instid1(VALU_DEP_1)
	v_cmp_eq_u32_e32 vcc_lo, 0, v6
	s_or_b32 s10, vcc_lo, s10
	s_wait_loadcnt 0x0
	v_and_b32_e32 v28, 0xffff, v0
	v_lshlrev_b64_e32 v[28:29], s0, v[28:29]
	s_add_nc_u64 s[0:1], s[0:1], 8
	s_delay_alu instid0(VALU_DEP_1) | instskip(NEXT) | instid1(VALU_DEP_2)
	v_or_b32_e32 v25, v29, v25
	v_or_b32_e32 v24, v28, v24
	s_and_not1_b32 exec_lo, exec_lo, s10
	s_cbranch_execnz .LBB0_54
; %bb.55:                               ;   in Loop: Header=BB0_3 Depth=1
	s_or_b32 exec_lo, exec_lo, s10
.LBB0_56:                               ;   in Loop: Header=BB0_3 Depth=1
	s_delay_alu instid0(SALU_CYCLE_1)
	s_or_b32 exec_lo, exec_lo, s5
                                        ; implicit-def: $vgpr26_vgpr27
.LBB0_57:                               ;   in Loop: Header=BB0_3 Depth=1
	s_and_not1_saveexec_b32 s0, s4
	s_cbranch_execz .LBB0_59
; %bb.58:                               ;   in Loop: Header=BB0_3 Depth=1
	global_load_b64 v[24:25], v[26:27], off
.LBB0_59:                               ;   in Loop: Header=BB0_3 Depth=1
	s_wait_xcnt 0x0
	s_or_b32 exec_lo, exec_lo, s0
	v_readfirstlane_b32 s0, v30
	v_mov_b64_e32 v[36:37], 0
	s_delay_alu instid0(VALU_DEP_2)
	v_cmp_eq_u32_e64 s0, s0, v30
	s_and_saveexec_b32 s1, s0
	s_cbranch_execz .LBB0_65
; %bb.60:                               ;   in Loop: Header=BB0_3 Depth=1
	s_wait_kmcnt 0x0
	global_load_b64 v[28:29], v7, s[2:3] offset:24 scope:SCOPE_SYS
	s_wait_loadcnt 0x0
	global_inv scope:SCOPE_SYS
	s_clause 0x1
	global_load_b64 v[26:27], v7, s[2:3] offset:40
	global_load_b64 v[36:37], v7, s[2:3]
	s_mov_b32 s4, exec_lo
	s_wait_loadcnt 0x1
	v_and_b32_e32 v26, v26, v28
	v_and_b32_e32 v27, v27, v29
	s_delay_alu instid0(VALU_DEP_1) | instskip(SKIP_1) | instid1(VALU_DEP_1)
	v_mul_u64_e32 v[26:27], 24, v[26:27]
	s_wait_loadcnt 0x0
	v_add_nc_u64_e32 v[26:27], v[36:37], v[26:27]
	global_load_b64 v[26:27], v[26:27], off scope:SCOPE_SYS
	s_wait_xcnt 0x0
	s_wait_loadcnt 0x0
	global_atomic_cmpswap_b64 v[36:37], v7, v[26:29], s[2:3] offset:24 th:TH_ATOMIC_RETURN scope:SCOPE_SYS
	s_wait_loadcnt 0x0
	global_inv scope:SCOPE_SYS
	s_wait_xcnt 0x0
	v_cmpx_ne_u64_e64 v[36:37], v[28:29]
	s_cbranch_execz .LBB0_64
; %bb.61:                               ;   in Loop: Header=BB0_3 Depth=1
	s_mov_b32 s5, 0
.LBB0_62:                               ;   Parent Loop BB0_3 Depth=1
                                        ; =>  This Inner Loop Header: Depth=2
	s_sleep 1
	s_clause 0x1
	global_load_b64 v[26:27], v7, s[2:3] offset:40
	global_load_b64 v[38:39], v7, s[2:3]
	v_mov_b64_e32 v[28:29], v[36:37]
	s_wait_loadcnt 0x1
	s_delay_alu instid0(VALU_DEP_1) | instskip(SKIP_1) | instid1(VALU_DEP_1)
	v_and_b32_e32 v0, v26, v28
	s_wait_loadcnt 0x0
	v_mad_nc_u64_u32 v[36:37], v0, 24, v[38:39]
	s_delay_alu instid0(VALU_DEP_3) | instskip(NEXT) | instid1(VALU_DEP_1)
	v_and_b32_e32 v0, v27, v29
	v_mad_u32 v37, v0, 24, v37
	global_load_b64 v[26:27], v[36:37], off scope:SCOPE_SYS
	s_wait_xcnt 0x0
	s_wait_loadcnt 0x0
	global_atomic_cmpswap_b64 v[36:37], v7, v[26:29], s[2:3] offset:24 th:TH_ATOMIC_RETURN scope:SCOPE_SYS
	s_wait_loadcnt 0x0
	global_inv scope:SCOPE_SYS
	v_cmp_eq_u64_e32 vcc_lo, v[36:37], v[28:29]
	s_or_b32 s5, vcc_lo, s5
	s_wait_xcnt 0x0
	s_and_not1_b32 exec_lo, exec_lo, s5
	s_cbranch_execnz .LBB0_62
; %bb.63:                               ;   in Loop: Header=BB0_3 Depth=1
	s_or_b32 exec_lo, exec_lo, s5
.LBB0_64:                               ;   in Loop: Header=BB0_3 Depth=1
	s_delay_alu instid0(SALU_CYCLE_1)
	s_or_b32 exec_lo, exec_lo, s4
.LBB0_65:                               ;   in Loop: Header=BB0_3 Depth=1
	s_delay_alu instid0(SALU_CYCLE_1)
	s_or_b32 exec_lo, exec_lo, s1
	s_wait_kmcnt 0x0
	s_clause 0x1
	global_load_b64 v[38:39], v7, s[2:3] offset:40
	global_load_b128 v[26:29], v7, s[2:3]
	v_readfirstlane_b32 s4, v36
	v_readfirstlane_b32 s5, v37
	s_mov_b32 s1, exec_lo
	s_wait_loadcnt 0x1
	v_and_b32_e32 v38, s4, v38
	v_and_b32_e32 v39, s5, v39
	s_delay_alu instid0(VALU_DEP_1) | instskip(SKIP_1) | instid1(VALU_DEP_1)
	v_mul_u64_e32 v[36:37], 24, v[38:39]
	s_wait_loadcnt 0x0
	v_add_nc_u64_e32 v[36:37], v[26:27], v[36:37]
	s_wait_xcnt 0x0
	s_and_saveexec_b32 s10, s0
	s_cbranch_execz .LBB0_67
; %bb.66:                               ;   in Loop: Header=BB0_3 Depth=1
	v_mov_b32_e32 v6, s1
	global_store_b128 v[36:37], v[6:9], off offset:8
.LBB0_67:                               ;   in Loop: Header=BB0_3 Depth=1
	s_wait_xcnt 0x0
	s_or_b32 exec_lo, exec_lo, s10
	v_cmp_gt_u64_e32 vcc_lo, 57, v[4:5]
	v_lshlrev_b64_e32 v[38:39], 12, v[38:39]
	v_and_b32_e32 v6, 0xffffff1f, v10
	v_lshl_add_u32 v10, v34, 2, 28
	v_cndmask_b32_e32 v0, 0, v2, vcc_lo
	s_delay_alu instid0(VALU_DEP_4) | instskip(NEXT) | instid1(VALU_DEP_2)
	v_add_nc_u64_e32 v[28:29], v[28:29], v[38:39]
	v_dual_lshlrev_b32 v6, 6, v30 :: v_dual_bitop2_b32 v0, v6, v0 bitop3:0x54
	s_delay_alu instid0(VALU_DEP_2) | instskip(NEXT) | instid1(VALU_DEP_3)
	v_readfirstlane_b32 s10, v28
	v_readfirstlane_b32 s11, v29
	s_delay_alu instid0(VALU_DEP_3)
	v_and_or_b32 v10, 0x1e0, v10, v0
	s_clause 0x3
	global_store_b128 v6, v[10:13], s[10:11]
	global_store_b128 v6, v[14:17], s[10:11] offset:16
	global_store_b128 v6, v[18:21], s[10:11] offset:32
	;; [unrolled: 1-line block ×3, first 2 shown]
	s_wait_xcnt 0x0
	s_and_saveexec_b32 s1, s0
	s_cbranch_execz .LBB0_75
; %bb.68:                               ;   in Loop: Header=BB0_3 Depth=1
	s_clause 0x1
	global_load_b64 v[18:19], v7, s[2:3] offset:32 scope:SCOPE_SYS
	global_load_b64 v[10:11], v7, s[2:3] offset:40
	s_mov_b32 s10, exec_lo
	v_dual_mov_b32 v16, s4 :: v_dual_mov_b32 v17, s5
	s_wait_loadcnt 0x0
	v_and_b32_e32 v11, s5, v11
	v_and_b32_e32 v10, s4, v10
	s_delay_alu instid0(VALU_DEP_1) | instskip(NEXT) | instid1(VALU_DEP_1)
	v_mul_u64_e32 v[10:11], 24, v[10:11]
	v_add_nc_u64_e32 v[14:15], v[26:27], v[10:11]
	global_store_b64 v[14:15], v[18:19], off
	global_wb scope:SCOPE_SYS
	s_wait_storecnt 0x0
	s_wait_xcnt 0x0
	global_atomic_cmpswap_b64 v[12:13], v7, v[16:19], s[2:3] offset:32 th:TH_ATOMIC_RETURN scope:SCOPE_SYS
	s_wait_loadcnt 0x0
	v_cmpx_ne_u64_e64 v[12:13], v[18:19]
	s_cbranch_execz .LBB0_71
; %bb.69:                               ;   in Loop: Header=BB0_3 Depth=1
	s_mov_b32 s11, 0
.LBB0_70:                               ;   Parent Loop BB0_3 Depth=1
                                        ; =>  This Inner Loop Header: Depth=2
	v_dual_mov_b32 v10, s4 :: v_dual_mov_b32 v11, s5
	s_sleep 1
	global_store_b64 v[14:15], v[12:13], off
	global_wb scope:SCOPE_SYS
	s_wait_storecnt 0x0
	s_wait_xcnt 0x0
	global_atomic_cmpswap_b64 v[10:11], v7, v[10:13], s[2:3] offset:32 th:TH_ATOMIC_RETURN scope:SCOPE_SYS
	s_wait_loadcnt 0x0
	v_cmp_eq_u64_e32 vcc_lo, v[10:11], v[12:13]
	v_mov_b64_e32 v[12:13], v[10:11]
	s_or_b32 s11, vcc_lo, s11
	s_delay_alu instid0(SALU_CYCLE_1)
	s_and_not1_b32 exec_lo, exec_lo, s11
	s_cbranch_execnz .LBB0_70
.LBB0_71:                               ;   in Loop: Header=BB0_3 Depth=1
	s_or_b32 exec_lo, exec_lo, s10
	global_load_b64 v[10:11], v7, s[2:3] offset:16
	s_mov_b32 s11, exec_lo
	s_mov_b32 s10, exec_lo
	v_mbcnt_lo_u32_b32 v0, s11, 0
	s_wait_xcnt 0x0
	s_delay_alu instid0(VALU_DEP_1)
	v_cmpx_eq_u32_e32 0, v0
	s_cbranch_execz .LBB0_73
; %bb.72:                               ;   in Loop: Header=BB0_3 Depth=1
	s_bcnt1_i32_b32 s11, s11
	s_delay_alu instid0(SALU_CYCLE_1)
	v_dual_mov_b32 v13, v7 :: v_dual_mov_b32 v12, s11
	global_wb scope:SCOPE_SYS
	s_wait_loadcnt 0x0
	s_wait_storecnt 0x0
	global_atomic_add_u64 v[10:11], v[12:13], off offset:8 scope:SCOPE_SYS
.LBB0_73:                               ;   in Loop: Header=BB0_3 Depth=1
	s_wait_xcnt 0x0
	s_or_b32 exec_lo, exec_lo, s10
	s_wait_loadcnt 0x0
	global_load_b64 v[12:13], v[10:11], off offset:16
	s_wait_loadcnt 0x0
	v_cmp_eq_u64_e32 vcc_lo, 0, v[12:13]
	s_cbranch_vccnz .LBB0_75
; %bb.74:                               ;   in Loop: Header=BB0_3 Depth=1
	global_load_b32 v10, v[10:11], off offset:24
	s_wait_xcnt 0x0
	v_mov_b32_e32 v11, v7
	s_wait_loadcnt 0x0
	v_readfirstlane_b32 s10, v10
	global_wb scope:SCOPE_SYS
	s_wait_storecnt 0x0
	global_store_b64 v[12:13], v[10:11], off scope:SCOPE_SYS
	s_and_b32 m0, s10, 0xffffff
	s_sendmsg sendmsg(MSG_INTERRUPT)
.LBB0_75:                               ;   in Loop: Header=BB0_3 Depth=1
	s_wait_xcnt 0x0
	s_or_b32 exec_lo, exec_lo, s1
	v_add_nc_u64_e32 v[10:11], v[28:29], v[6:7]
	s_branch .LBB0_79
.LBB0_76:                               ;   in Loop: Header=BB0_79 Depth=2
	s_wait_xcnt 0x0
	s_or_b32 exec_lo, exec_lo, s1
	s_delay_alu instid0(VALU_DEP_1)
	v_readfirstlane_b32 s1, v0
	s_cmp_eq_u32 s1, 0
	s_cbranch_scc1 .LBB0_78
; %bb.77:                               ;   in Loop: Header=BB0_79 Depth=2
	s_sleep 1
	s_cbranch_execnz .LBB0_79
	s_branch .LBB0_81
.LBB0_78:                               ;   in Loop: Header=BB0_3 Depth=1
	s_branch .LBB0_81
.LBB0_79:                               ;   Parent Loop BB0_3 Depth=1
                                        ; =>  This Inner Loop Header: Depth=2
	v_mov_b32_e32 v0, 1
	s_and_saveexec_b32 s1, s0
	s_cbranch_execz .LBB0_76
; %bb.80:                               ;   in Loop: Header=BB0_79 Depth=2
	global_load_b32 v0, v[36:37], off offset:20 scope:SCOPE_SYS
	s_wait_loadcnt 0x0
	global_inv scope:SCOPE_SYS
	v_and_b32_e32 v0, 1, v0
	s_branch .LBB0_76
.LBB0_81:                               ;   in Loop: Header=BB0_3 Depth=1
	global_load_b128 v[10:13], v[10:11], off
	s_wait_xcnt 0x0
	s_and_saveexec_b32 s10, s0
	s_cbranch_execz .LBB0_2
; %bb.82:                               ;   in Loop: Header=BB0_3 Depth=1
	s_wait_loadcnt 0x0
	s_clause 0x2
	global_load_b64 v[12:13], v7, s[2:3] offset:40
	global_load_b64 v[20:21], v7, s[2:3] offset:24 scope:SCOPE_SYS
	global_load_b64 v[14:15], v7, s[2:3]
	s_wait_loadcnt 0x2
	v_readfirstlane_b32 s12, v12
	v_readfirstlane_b32 s13, v13
	s_add_nc_u64 s[0:1], s[12:13], 1
	s_delay_alu instid0(SALU_CYCLE_1) | instskip(NEXT) | instid1(SALU_CYCLE_1)
	s_add_nc_u64 s[4:5], s[0:1], s[4:5]
	s_cmp_eq_u64 s[4:5], 0
	s_cselect_b32 s1, s1, s5
	s_cselect_b32 s0, s0, s4
	s_delay_alu instid0(SALU_CYCLE_1) | instskip(SKIP_1) | instid1(SALU_CYCLE_1)
	v_dual_mov_b32 v19, s1 :: v_dual_mov_b32 v18, s0
	s_and_b64 s[4:5], s[0:1], s[12:13]
	s_mul_u64 s[4:5], s[4:5], 24
	s_wait_loadcnt 0x0
	v_add_nc_u64_e32 v[16:17], s[4:5], v[14:15]
	global_store_b64 v[16:17], v[20:21], off
	global_wb scope:SCOPE_SYS
	s_wait_storecnt 0x0
	s_wait_xcnt 0x0
	global_atomic_cmpswap_b64 v[14:15], v7, v[18:21], s[2:3] offset:24 th:TH_ATOMIC_RETURN scope:SCOPE_SYS
	s_wait_loadcnt 0x0
	v_cmp_ne_u64_e32 vcc_lo, v[14:15], v[20:21]
	s_and_b32 exec_lo, exec_lo, vcc_lo
	s_cbranch_execz .LBB0_2
; %bb.83:                               ;   in Loop: Header=BB0_3 Depth=1
	s_mov_b32 s4, 0
.LBB0_84:                               ;   Parent Loop BB0_3 Depth=1
                                        ; =>  This Inner Loop Header: Depth=2
	v_dual_mov_b32 v12, s0 :: v_dual_mov_b32 v13, s1
	s_sleep 1
	global_store_b64 v[16:17], v[14:15], off
	global_wb scope:SCOPE_SYS
	s_wait_storecnt 0x0
	s_wait_xcnt 0x0
	global_atomic_cmpswap_b64 v[12:13], v7, v[12:15], s[2:3] offset:24 th:TH_ATOMIC_RETURN scope:SCOPE_SYS
	s_wait_loadcnt 0x0
	v_cmp_eq_u64_e32 vcc_lo, v[12:13], v[14:15]
	v_mov_b64_e32 v[14:15], v[12:13]
	s_or_b32 s4, vcc_lo, s4
	s_delay_alu instid0(SALU_CYCLE_1)
	s_and_not1_b32 exec_lo, exec_lo, s4
	s_cbranch_execnz .LBB0_84
	s_branch .LBB0_2
.LBB0_85:
	s_or_b32 exec_lo, exec_lo, s7
	s_branch .LBB0_114
.LBB0_86:
	s_load_b64 s[2:3], s[8:9], 0x50
	v_readfirstlane_b32 s0, v30
	v_mov_b64_e32 v[8:9], 0
	s_delay_alu instid0(VALU_DEP_2)
	v_cmp_eq_u32_e64 s0, s0, v30
	s_and_saveexec_b32 s1, s0
	s_cbranch_execz .LBB0_92
; %bb.87:
	v_mov_b32_e32 v0, 0
	s_mov_b32 s4, exec_lo
	s_wait_kmcnt 0x0
	global_load_b64 v[6:7], v0, s[2:3] offset:24 scope:SCOPE_SYS
	s_wait_loadcnt 0x0
	global_inv scope:SCOPE_SYS
	s_clause 0x1
	global_load_b64 v[4:5], v0, s[2:3] offset:40
	global_load_b64 v[8:9], v0, s[2:3]
	s_wait_loadcnt 0x1
	v_and_b32_e32 v4, v4, v6
	v_and_b32_e32 v5, v5, v7
	s_delay_alu instid0(VALU_DEP_1) | instskip(SKIP_1) | instid1(VALU_DEP_1)
	v_mul_u64_e32 v[4:5], 24, v[4:5]
	s_wait_loadcnt 0x0
	v_add_nc_u64_e32 v[4:5], v[8:9], v[4:5]
	global_load_b64 v[4:5], v[4:5], off scope:SCOPE_SYS
	s_wait_xcnt 0x0
	s_wait_loadcnt 0x0
	global_atomic_cmpswap_b64 v[8:9], v0, v[4:7], s[2:3] offset:24 th:TH_ATOMIC_RETURN scope:SCOPE_SYS
	s_wait_loadcnt 0x0
	global_inv scope:SCOPE_SYS
	s_wait_xcnt 0x0
	v_cmpx_ne_u64_e64 v[8:9], v[6:7]
	s_cbranch_execz .LBB0_91
; %bb.88:
	s_mov_b32 s5, 0
.LBB0_89:                               ; =>This Inner Loop Header: Depth=1
	s_sleep 1
	s_clause 0x1
	global_load_b64 v[4:5], v0, s[2:3] offset:40
	global_load_b64 v[10:11], v0, s[2:3]
	v_mov_b64_e32 v[6:7], v[8:9]
	s_wait_loadcnt 0x1
	s_delay_alu instid0(VALU_DEP_1) | instskip(SKIP_1) | instid1(VALU_DEP_1)
	v_and_b32_e32 v2, v4, v6
	s_wait_loadcnt 0x0
	v_mad_nc_u64_u32 v[8:9], v2, 24, v[10:11]
	s_delay_alu instid0(VALU_DEP_3) | instskip(NEXT) | instid1(VALU_DEP_1)
	v_and_b32_e32 v2, v5, v7
	v_mad_u32 v9, v2, 24, v9
	global_load_b64 v[4:5], v[8:9], off scope:SCOPE_SYS
	s_wait_xcnt 0x0
	s_wait_loadcnt 0x0
	global_atomic_cmpswap_b64 v[8:9], v0, v[4:7], s[2:3] offset:24 th:TH_ATOMIC_RETURN scope:SCOPE_SYS
	s_wait_loadcnt 0x0
	global_inv scope:SCOPE_SYS
	v_cmp_eq_u64_e32 vcc_lo, v[8:9], v[6:7]
	s_or_b32 s5, vcc_lo, s5
	s_wait_xcnt 0x0
	s_and_not1_b32 exec_lo, exec_lo, s5
	s_cbranch_execnz .LBB0_89
; %bb.90:
	s_or_b32 exec_lo, exec_lo, s5
.LBB0_91:
	s_delay_alu instid0(SALU_CYCLE_1)
	s_or_b32 exec_lo, exec_lo, s4
.LBB0_92:
	s_delay_alu instid0(SALU_CYCLE_1)
	s_or_b32 exec_lo, exec_lo, s1
	v_readfirstlane_b32 s4, v8
	v_mov_b32_e32 v2, 0
	v_readfirstlane_b32 s5, v9
	s_mov_b32 s1, exec_lo
	s_wait_loadcnt 0x0
	s_wait_kmcnt 0x0
	s_clause 0x1
	global_load_b64 v[10:11], v2, s[2:3] offset:40
	global_load_b128 v[4:7], v2, s[2:3]
	s_wait_loadcnt 0x1
	v_and_b32_e32 v10, s4, v10
	v_and_b32_e32 v11, s5, v11
	s_delay_alu instid0(VALU_DEP_1) | instskip(SKIP_1) | instid1(VALU_DEP_1)
	v_mul_u64_e32 v[8:9], 24, v[10:11]
	s_wait_loadcnt 0x0
	v_add_nc_u64_e32 v[8:9], v[4:5], v[8:9]
	s_wait_xcnt 0x0
	s_and_saveexec_b32 s6, s0
	s_cbranch_execz .LBB0_94
; %bb.93:
	v_mov_b64_e32 v[14:15], 0x100000002
	v_dual_mov_b32 v12, s1 :: v_dual_mov_b32 v13, v2
	global_store_b128 v[8:9], v[12:15], off offset:8
.LBB0_94:
	s_wait_xcnt 0x0
	s_or_b32 exec_lo, exec_lo, s6
	v_lshlrev_b64_e32 v[10:11], 12, v[10:11]
	s_mov_b32 s8, 0
	v_and_or_b32 v0, 0xffffff1f, v3, 32
	s_mov_b32 s10, s8
	s_mov_b32 s11, s8
	;; [unrolled: 1-line block ×3, first 2 shown]
	v_dual_mov_b32 v3, v2 :: v_dual_lshlrev_b32 v14, 6, v30
	v_add_nc_u64_e32 v[6:7], v[6:7], v[10:11]
	v_mov_b64_e32 v[12:13], s[10:11]
	v_mov_b64_e32 v[10:11], s[8:9]
	s_delay_alu instid0(VALU_DEP_3) | instskip(NEXT) | instid1(VALU_DEP_4)
	v_readfirstlane_b32 s6, v6
	v_readfirstlane_b32 s7, v7
	s_clause 0x3
	global_store_b128 v14, v[0:3], s[6:7]
	global_store_b128 v14, v[10:13], s[6:7] offset:16
	global_store_b128 v14, v[10:13], s[6:7] offset:32
	;; [unrolled: 1-line block ×3, first 2 shown]
	s_wait_xcnt 0x0
	s_and_saveexec_b32 s1, s0
	s_cbranch_execz .LBB0_102
; %bb.95:
	v_dual_mov_b32 v6, 0 :: v_dual_mov_b32 v11, s5
	s_mov_b32 s6, exec_lo
	s_clause 0x1
	global_load_b64 v[12:13], v6, s[2:3] offset:32 scope:SCOPE_SYS
	global_load_b64 v[0:1], v6, s[2:3] offset:40
	s_wait_loadcnt 0x0
	v_dual_mov_b32 v10, s4 :: v_dual_bitop2_b32 v1, s5, v1 bitop3:0x40
	v_and_b32_e32 v0, s4, v0
	s_delay_alu instid0(VALU_DEP_1) | instskip(NEXT) | instid1(VALU_DEP_1)
	v_mul_u64_e32 v[0:1], 24, v[0:1]
	v_add_nc_u64_e32 v[4:5], v[4:5], v[0:1]
	global_store_b64 v[4:5], v[12:13], off
	global_wb scope:SCOPE_SYS
	s_wait_storecnt 0x0
	s_wait_xcnt 0x0
	global_atomic_cmpswap_b64 v[2:3], v6, v[10:13], s[2:3] offset:32 th:TH_ATOMIC_RETURN scope:SCOPE_SYS
	s_wait_loadcnt 0x0
	v_cmpx_ne_u64_e64 v[2:3], v[12:13]
	s_cbranch_execz .LBB0_98
; %bb.96:
	s_mov_b32 s7, 0
.LBB0_97:                               ; =>This Inner Loop Header: Depth=1
	v_dual_mov_b32 v0, s4 :: v_dual_mov_b32 v1, s5
	s_sleep 1
	global_store_b64 v[4:5], v[2:3], off
	global_wb scope:SCOPE_SYS
	s_wait_storecnt 0x0
	s_wait_xcnt 0x0
	global_atomic_cmpswap_b64 v[0:1], v6, v[0:3], s[2:3] offset:32 th:TH_ATOMIC_RETURN scope:SCOPE_SYS
	s_wait_loadcnt 0x0
	v_cmp_eq_u64_e32 vcc_lo, v[0:1], v[2:3]
	v_mov_b64_e32 v[2:3], v[0:1]
	s_or_b32 s7, vcc_lo, s7
	s_delay_alu instid0(SALU_CYCLE_1)
	s_and_not1_b32 exec_lo, exec_lo, s7
	s_cbranch_execnz .LBB0_97
.LBB0_98:
	s_or_b32 exec_lo, exec_lo, s6
	v_mov_b32_e32 v3, 0
	s_mov_b32 s7, exec_lo
	s_mov_b32 s6, exec_lo
	v_mbcnt_lo_u32_b32 v2, s7, 0
	global_load_b64 v[0:1], v3, s[2:3] offset:16
	s_wait_xcnt 0x0
	v_cmpx_eq_u32_e32 0, v2
	s_cbranch_execz .LBB0_100
; %bb.99:
	s_bcnt1_i32_b32 s7, s7
	s_delay_alu instid0(SALU_CYCLE_1)
	v_mov_b32_e32 v2, s7
	global_wb scope:SCOPE_SYS
	s_wait_loadcnt 0x0
	s_wait_storecnt 0x0
	global_atomic_add_u64 v[0:1], v[2:3], off offset:8 scope:SCOPE_SYS
.LBB0_100:
	s_wait_xcnt 0x0
	s_or_b32 exec_lo, exec_lo, s6
	s_wait_loadcnt 0x0
	global_load_b64 v[2:3], v[0:1], off offset:16
	s_wait_loadcnt 0x0
	v_cmp_eq_u64_e32 vcc_lo, 0, v[2:3]
	s_cbranch_vccnz .LBB0_102
; %bb.101:
	global_load_b32 v0, v[0:1], off offset:24
	s_wait_xcnt 0x0
	v_mov_b32_e32 v1, 0
	s_wait_loadcnt 0x0
	v_readfirstlane_b32 s6, v0
	global_wb scope:SCOPE_SYS
	s_wait_storecnt 0x0
	global_store_b64 v[2:3], v[0:1], off scope:SCOPE_SYS
	s_and_b32 m0, s6, 0xffffff
	s_sendmsg sendmsg(MSG_INTERRUPT)
.LBB0_102:
	s_wait_xcnt 0x0
	s_or_b32 exec_lo, exec_lo, s1
	s_branch .LBB0_106
.LBB0_103:                              ;   in Loop: Header=BB0_106 Depth=1
	s_wait_xcnt 0x0
	s_or_b32 exec_lo, exec_lo, s1
	s_delay_alu instid0(VALU_DEP_1)
	v_readfirstlane_b32 s1, v0
	s_cmp_eq_u32 s1, 0
	s_cbranch_scc1 .LBB0_105
; %bb.104:                              ;   in Loop: Header=BB0_106 Depth=1
	s_sleep 1
	s_cbranch_execnz .LBB0_106
	s_branch .LBB0_108
.LBB0_105:
	s_branch .LBB0_108
.LBB0_106:                              ; =>This Inner Loop Header: Depth=1
	v_mov_b32_e32 v0, 1
	s_and_saveexec_b32 s1, s0
	s_cbranch_execz .LBB0_103
; %bb.107:                              ;   in Loop: Header=BB0_106 Depth=1
	global_load_b32 v0, v[8:9], off offset:20 scope:SCOPE_SYS
	s_wait_loadcnt 0x0
	global_inv scope:SCOPE_SYS
	v_and_b32_e32 v0, 1, v0
	s_branch .LBB0_103
.LBB0_108:
	s_and_saveexec_b32 s6, s0
	s_cbranch_execz .LBB0_112
; %bb.109:
	v_mov_b32_e32 v6, 0
	s_clause 0x2
	global_load_b64 v[0:1], v6, s[2:3] offset:40
	global_load_b64 v[10:11], v6, s[2:3] offset:24 scope:SCOPE_SYS
	global_load_b64 v[2:3], v6, s[2:3]
	s_wait_loadcnt 0x2
	v_readfirstlane_b32 s8, v0
	v_readfirstlane_b32 s9, v1
	s_add_nc_u64 s[0:1], s[8:9], 1
	s_delay_alu instid0(SALU_CYCLE_1) | instskip(NEXT) | instid1(SALU_CYCLE_1)
	s_add_nc_u64 s[4:5], s[0:1], s[4:5]
	s_cmp_eq_u64 s[4:5], 0
	s_cselect_b32 s1, s1, s5
	s_cselect_b32 s0, s0, s4
	v_mov_b32_e32 v9, s1
	s_and_b64 s[4:5], s[0:1], s[8:9]
	v_mov_b32_e32 v8, s0
	s_mul_u64 s[4:5], s[4:5], 24
	s_wait_loadcnt 0x0
	v_add_nc_u64_e32 v[4:5], s[4:5], v[2:3]
	global_store_b64 v[4:5], v[10:11], off
	global_wb scope:SCOPE_SYS
	s_wait_storecnt 0x0
	s_wait_xcnt 0x0
	global_atomic_cmpswap_b64 v[2:3], v6, v[8:11], s[2:3] offset:24 th:TH_ATOMIC_RETURN scope:SCOPE_SYS
	s_wait_loadcnt 0x0
	v_cmp_ne_u64_e32 vcc_lo, v[2:3], v[10:11]
	s_and_b32 exec_lo, exec_lo, vcc_lo
	s_cbranch_execz .LBB0_112
; %bb.110:
	s_mov_b32 s4, 0
.LBB0_111:                              ; =>This Inner Loop Header: Depth=1
	v_dual_mov_b32 v0, s0 :: v_dual_mov_b32 v1, s1
	s_sleep 1
	global_store_b64 v[4:5], v[2:3], off
	global_wb scope:SCOPE_SYS
	s_wait_storecnt 0x0
	s_wait_xcnt 0x0
	global_atomic_cmpswap_b64 v[0:1], v6, v[0:3], s[2:3] offset:24 th:TH_ATOMIC_RETURN scope:SCOPE_SYS
	s_wait_loadcnt 0x0
	v_cmp_eq_u64_e32 vcc_lo, v[0:1], v[2:3]
	v_mov_b64_e32 v[2:3], v[0:1]
	s_or_b32 s4, vcc_lo, s4
	s_delay_alu instid0(SALU_CYCLE_1)
	s_and_not1_b32 exec_lo, exec_lo, s4
	s_cbranch_execnz .LBB0_111
.LBB0_112:
	s_or_b32 exec_lo, exec_lo, s6
	s_wait_loadcnt 0x0
	s_wait_kmcnt 0x0
	s_set_pc_i64 s[30:31]
.LBB0_113:
	s_cbranch_execnz .LBB0_86
.LBB0_114:
	s_wait_loadcnt 0x0
	s_wait_kmcnt 0x0
	s_set_pc_i64 s[30:31]
.Lfunc_end0:
	.size	__ockl_fprintf_append_string_n, .Lfunc_end0-__ockl_fprintf_append_string_n
                                        ; -- End function
	.set .L__ockl_fprintf_append_string_n.num_vgpr, 40
	.set .L__ockl_fprintf_append_string_n.num_agpr, 0
	.set .L__ockl_fprintf_append_string_n.numbered_sgpr, 32
	.set .L__ockl_fprintf_append_string_n.num_named_barrier, 0
	.set .L__ockl_fprintf_append_string_n.private_seg_size, 0
	.set .L__ockl_fprintf_append_string_n.uses_vcc, 1
	.set .L__ockl_fprintf_append_string_n.uses_flat_scratch, 0
	.set .L__ockl_fprintf_append_string_n.has_dyn_sized_stack, 0
	.set .L__ockl_fprintf_append_string_n.has_recursion, 0
	.set .L__ockl_fprintf_append_string_n.has_indirect_call, 0
	.section	.AMDGPU.csdata,"",@progbits
; Function info:
; codeLenInByte = 4324
; TotalNumSgprs: 34
; NumVgprs: 40
; ScratchSize: 0
; MemoryBound: 0
	.text
	.p2align	2                               ; -- Begin function __assert_fail
	.type	__assert_fail,@function
__assert_fail:                          ; @__assert_fail
; %bb.0:
	s_wait_loadcnt_dscnt 0x0
	s_wait_kmcnt 0x0
	s_mov_b32 s20, s33
	s_mov_b32 s33, s32
	s_or_saveexec_b32 s0, -1
	scratch_store_b32 off, v40, s33 offset:48 ; 4-byte Folded Spill
	s_wait_xcnt 0x0
	s_mov_b32 exec_lo, s0
	v_writelane_b32 v40, s30, 0
	s_add_co_i32 s32, s32, 64
	v_writelane_b32 v40, s31, 1
	v_mov_b32_e32 v8, 0
	s_get_pc_i64 s[0:1]
	s_add_nc_u64 s[0:1], s[0:1], __const.__assert_fail.fmt@rel64+35
	v_dual_mov_b32 v5, v1 :: v_dual_mov_b32 v4, v0
	s_get_pc_i64 s[10:11]
	s_add_nc_u64 s[10:11], s[10:11], __const.__assert_fail.fmt@rel64+20
	global_load_b128 v[0:3], v8, s[0:1]
	s_wait_xcnt 0x0
	s_get_pc_i64 s[0:1]
	s_add_nc_u64 s[0:1], s[0:1], __const.__assert_fail.fmt@rel64+4
	s_clause 0x1
	s_load_b128 s[4:7], s[0:1], 0x0
	s_load_b128 s[12:15], s[10:11], 0x0
	s_load_b64 s[2:3], s[8:9], 0x50
	v_mbcnt_lo_u32_b32 v48, -1, 0
	v_mov_b64_e32 v[6:7], 0
	s_wait_xcnt 0x0
	s_delay_alu instid0(VALU_DEP_2) | instskip(NEXT) | instid1(VALU_DEP_1)
	v_readfirstlane_b32 s0, v48
	v_cmp_eq_u32_e64 s0, s0, v48
	s_wait_kmcnt 0x0
	v_mov_b64_e32 v[12:13], s[6:7]
	v_mov_b64_e32 v[10:11], s[4:5]
	;; [unrolled: 1-line block ×4, first 2 shown]
	s_clause 0x1
	scratch_store_b128 off, v[10:13], s33
	scratch_store_b128 off, v[14:17], s33 offset:16
	s_wait_loadcnt 0x0
	scratch_store_b128 off, v[0:3], s33 offset:31
	s_wait_xcnt 0x0
	s_and_saveexec_b32 s1, s0
	s_cbranch_execz .LBB1_6
; %bb.1:
	global_load_b64 v[2:3], v8, s[2:3] offset:24 scope:SCOPE_SYS
	s_wait_loadcnt 0x0
	global_inv scope:SCOPE_SYS
	s_clause 0x1
	global_load_b64 v[0:1], v8, s[2:3] offset:40
	global_load_b64 v[6:7], v8, s[2:3]
	s_mov_b32 s4, exec_lo
	s_wait_loadcnt 0x1
	v_and_b32_e32 v0, v0, v2
	v_and_b32_e32 v1, v1, v3
	s_delay_alu instid0(VALU_DEP_1) | instskip(SKIP_1) | instid1(VALU_DEP_1)
	v_mul_u64_e32 v[0:1], 24, v[0:1]
	s_wait_loadcnt 0x0
	v_add_nc_u64_e32 v[0:1], v[6:7], v[0:1]
	global_load_b64 v[0:1], v[0:1], off scope:SCOPE_SYS
	s_wait_xcnt 0x0
	s_wait_loadcnt 0x0
	global_atomic_cmpswap_b64 v[6:7], v8, v[0:3], s[2:3] offset:24 th:TH_ATOMIC_RETURN scope:SCOPE_SYS
	s_wait_loadcnt 0x0
	global_inv scope:SCOPE_SYS
	s_wait_xcnt 0x0
	v_cmpx_ne_u64_e64 v[6:7], v[2:3]
	s_cbranch_execz .LBB1_5
; %bb.2:
	v_mov_b32_e32 v0, 0
	s_mov_b32 s5, 0
.LBB1_3:                                ; =>This Inner Loop Header: Depth=1
	s_sleep 1
	s_clause 0x1
	global_load_b64 v[2:3], v0, s[2:3] offset:40
	global_load_b64 v[10:11], v0, s[2:3]
	v_mov_b64_e32 v[12:13], v[6:7]
	s_wait_loadcnt 0x1
	s_delay_alu instid0(VALU_DEP_1) | instskip(SKIP_1) | instid1(VALU_DEP_1)
	v_and_b32_e32 v1, v2, v12
	s_wait_loadcnt 0x0
	v_mad_nc_u64_u32 v[6:7], v1, 24, v[10:11]
	s_delay_alu instid0(VALU_DEP_3) | instskip(NEXT) | instid1(VALU_DEP_1)
	v_and_b32_e32 v1, v3, v13
	v_mad_u32 v7, v1, 24, v7
	global_load_b64 v[10:11], v[6:7], off scope:SCOPE_SYS
	s_wait_xcnt 0x0
	s_wait_loadcnt 0x0
	global_atomic_cmpswap_b64 v[6:7], v0, v[10:13], s[2:3] offset:24 th:TH_ATOMIC_RETURN scope:SCOPE_SYS
	s_wait_loadcnt 0x0
	global_inv scope:SCOPE_SYS
	v_cmp_eq_u64_e32 vcc_lo, v[6:7], v[12:13]
	s_or_b32 s5, vcc_lo, s5
	s_wait_xcnt 0x0
	s_and_not1_b32 exec_lo, exec_lo, s5
	s_cbranch_execnz .LBB1_3
; %bb.4:
	s_or_b32 exec_lo, exec_lo, s5
.LBB1_5:
	s_delay_alu instid0(SALU_CYCLE_1)
	s_or_b32 exec_lo, exec_lo, s4
.LBB1_6:
	s_delay_alu instid0(SALU_CYCLE_1)
	s_or_b32 exec_lo, exec_lo, s1
	s_clause 0x1
	global_load_b64 v[10:11], v8, s[2:3] offset:40
	global_load_b128 v[0:3], v8, s[2:3]
	v_readfirstlane_b32 s4, v6
	v_readfirstlane_b32 s5, v7
	s_mov_b32 s1, exec_lo
	s_wait_loadcnt 0x1
	s_wait_xcnt 0x0
	v_and_b32_e32 v8, s4, v10
	v_and_b32_e32 v9, s5, v11
	s_delay_alu instid0(VALU_DEP_1) | instskip(SKIP_1) | instid1(VALU_DEP_1)
	v_mul_u64_e32 v[6:7], 24, v[8:9]
	s_wait_loadcnt 0x0
	v_add_nc_u64_e32 v[6:7], v[0:1], v[6:7]
	s_and_saveexec_b32 s6, s0
	s_cbranch_execz .LBB1_8
; %bb.7:
	v_mov_b64_e32 v[12:13], 0x100000002
	v_dual_mov_b32 v10, s1 :: v_dual_mov_b32 v11, 0
	global_store_b128 v[6:7], v[10:13], off offset:8
.LBB1_8:
	s_wait_xcnt 0x0
	s_or_b32 exec_lo, exec_lo, s6
	v_lshlrev_b64_e32 v[8:9], 12, v[8:9]
	s_mov_b32 s12, 0
	v_dual_mov_b32 v31, 0 :: v_dual_lshlrev_b32 v30, 6, v48
	s_mov_b32 s14, s12
	s_mov_b32 s15, s12
	;; [unrolled: 1-line block ×3, first 2 shown]
	s_delay_alu instid0(VALU_DEP_2)
	v_add_nc_u64_e32 v[8:9], v[2:3], v[8:9]
	v_mov_b64_e32 v[16:17], s[14:15]
	v_mov_b64_e32 v[14:15], s[12:13]
	v_dual_mov_b32 v10, 33 :: v_dual_mov_b32 v12, 1
	v_dual_mov_b32 v11, v31 :: v_dual_mov_b32 v13, v31
	v_readfirstlane_b32 s6, v8
	v_readfirstlane_b32 s7, v9
	s_clause 0x3
	global_store_b128 v30, v[10:13], s[6:7]
	global_store_b128 v30, v[14:17], s[6:7] offset:16
	global_store_b128 v30, v[14:17], s[6:7] offset:32
	;; [unrolled: 1-line block ×3, first 2 shown]
	s_wait_xcnt 0x0
	s_and_saveexec_b32 s1, s0
	s_cbranch_execz .LBB1_16
; %bb.9:
	s_clause 0x1
	global_load_b64 v[14:15], v31, s[2:3] offset:32 scope:SCOPE_SYS
	global_load_b64 v[2:3], v31, s[2:3] offset:40
	s_mov_b32 s6, exec_lo
	v_dual_mov_b32 v12, s4 :: v_dual_mov_b32 v13, s5
	s_wait_loadcnt 0x0
	v_and_b32_e32 v3, s5, v3
	v_and_b32_e32 v2, s4, v2
	s_delay_alu instid0(VALU_DEP_1) | instskip(NEXT) | instid1(VALU_DEP_1)
	v_mul_u64_e32 v[2:3], 24, v[2:3]
	v_add_nc_u64_e32 v[10:11], v[0:1], v[2:3]
	global_store_b64 v[10:11], v[14:15], off
	global_wb scope:SCOPE_SYS
	s_wait_storecnt 0x0
	s_wait_xcnt 0x0
	global_atomic_cmpswap_b64 v[2:3], v31, v[12:15], s[2:3] offset:32 th:TH_ATOMIC_RETURN scope:SCOPE_SYS
	s_wait_loadcnt 0x0
	v_cmpx_ne_u64_e64 v[2:3], v[14:15]
	s_cbranch_execz .LBB1_12
; %bb.10:
	v_mov_b32_e32 v12, 0
	s_mov_b32 s7, 0
.LBB1_11:                               ; =>This Inner Loop Header: Depth=1
	v_dual_mov_b32 v0, s4 :: v_dual_mov_b32 v1, s5
	s_sleep 1
	global_store_b64 v[10:11], v[2:3], off
	global_wb scope:SCOPE_SYS
	s_wait_storecnt 0x0
	s_wait_xcnt 0x0
	global_atomic_cmpswap_b64 v[0:1], v12, v[0:3], s[2:3] offset:32 th:TH_ATOMIC_RETURN scope:SCOPE_SYS
	s_wait_loadcnt 0x0
	v_cmp_eq_u64_e32 vcc_lo, v[0:1], v[2:3]
	v_mov_b64_e32 v[2:3], v[0:1]
	s_or_b32 s7, vcc_lo, s7
	s_delay_alu instid0(SALU_CYCLE_1)
	s_and_not1_b32 exec_lo, exec_lo, s7
	s_cbranch_execnz .LBB1_11
.LBB1_12:
	s_or_b32 exec_lo, exec_lo, s6
	v_mov_b32_e32 v3, 0
	s_mov_b32 s7, exec_lo
	s_mov_b32 s6, exec_lo
	v_mbcnt_lo_u32_b32 v2, s7, 0
	global_load_b64 v[0:1], v3, s[2:3] offset:16
	s_wait_xcnt 0x0
	v_cmpx_eq_u32_e32 0, v2
	s_cbranch_execz .LBB1_14
; %bb.13:
	s_bcnt1_i32_b32 s7, s7
	s_delay_alu instid0(SALU_CYCLE_1)
	v_mov_b32_e32 v2, s7
	global_wb scope:SCOPE_SYS
	s_wait_loadcnt 0x0
	s_wait_storecnt 0x0
	global_atomic_add_u64 v[0:1], v[2:3], off offset:8 scope:SCOPE_SYS
.LBB1_14:
	s_wait_xcnt 0x0
	s_or_b32 exec_lo, exec_lo, s6
	s_wait_loadcnt 0x0
	global_load_b64 v[2:3], v[0:1], off offset:16
	s_wait_loadcnt 0x0
	v_cmp_eq_u64_e32 vcc_lo, 0, v[2:3]
	s_cbranch_vccnz .LBB1_16
; %bb.15:
	global_load_b32 v0, v[0:1], off offset:24
	s_wait_xcnt 0x0
	v_mov_b32_e32 v1, 0
	s_wait_loadcnt 0x0
	v_readfirstlane_b32 s6, v0
	global_wb scope:SCOPE_SYS
	s_wait_storecnt 0x0
	global_store_b64 v[2:3], v[0:1], off scope:SCOPE_SYS
	s_and_b32 m0, s6, 0xffffff
	s_sendmsg sendmsg(MSG_INTERRUPT)
.LBB1_16:
	s_wait_xcnt 0x0
	s_or_b32 exec_lo, exec_lo, s1
	v_add_nc_u64_e32 v[0:1], v[8:9], v[30:31]
	s_branch .LBB1_20
.LBB1_17:                               ;   in Loop: Header=BB1_20 Depth=1
	s_wait_xcnt 0x0
	s_or_b32 exec_lo, exec_lo, s1
	s_delay_alu instid0(VALU_DEP_1)
	v_readfirstlane_b32 s1, v2
	s_cmp_eq_u32 s1, 0
	s_cbranch_scc1 .LBB1_19
; %bb.18:                               ;   in Loop: Header=BB1_20 Depth=1
	s_sleep 1
	s_cbranch_execnz .LBB1_20
	s_branch .LBB1_22
.LBB1_19:
	s_branch .LBB1_22
.LBB1_20:                               ; =>This Inner Loop Header: Depth=1
	v_mov_b32_e32 v2, 1
	s_and_saveexec_b32 s1, s0
	s_cbranch_execz .LBB1_17
; %bb.21:                               ;   in Loop: Header=BB1_20 Depth=1
	global_load_b32 v2, v[6:7], off offset:20 scope:SCOPE_SYS
	s_wait_loadcnt 0x0
	global_inv scope:SCOPE_SYS
	v_and_b32_e32 v2, 1, v2
	s_branch .LBB1_17
.LBB1_22:
	global_load_b64 v[6:7], v[0:1], off
	s_wait_xcnt 0x0
	s_and_saveexec_b32 s6, s0
	s_cbranch_execz .LBB1_26
; %bb.23:
	v_mov_b32_e32 v10, 0
	s_clause 0x2
	global_load_b64 v[0:1], v10, s[2:3] offset:40
	global_load_b64 v[14:15], v10, s[2:3] offset:24 scope:SCOPE_SYS
	global_load_b64 v[2:3], v10, s[2:3]
	s_wait_loadcnt 0x2
	v_readfirstlane_b32 s10, v0
	v_readfirstlane_b32 s11, v1
	s_add_nc_u64 s[0:1], s[10:11], 1
	s_delay_alu instid0(SALU_CYCLE_1) | instskip(NEXT) | instid1(SALU_CYCLE_1)
	s_add_nc_u64 s[4:5], s[0:1], s[4:5]
	s_cmp_eq_u64 s[4:5], 0
	s_cselect_b32 s1, s1, s5
	s_cselect_b32 s0, s0, s4
	v_mov_b32_e32 v13, s1
	s_and_b64 s[4:5], s[0:1], s[10:11]
	v_mov_b32_e32 v12, s0
	s_mul_u64 s[4:5], s[4:5], 24
	s_wait_loadcnt 0x0
	v_add_nc_u64_e32 v[8:9], s[4:5], v[2:3]
	global_store_b64 v[8:9], v[14:15], off
	global_wb scope:SCOPE_SYS
	s_wait_storecnt 0x0
	s_wait_xcnt 0x0
	global_atomic_cmpswap_b64 v[2:3], v10, v[12:15], s[2:3] offset:24 th:TH_ATOMIC_RETURN scope:SCOPE_SYS
	s_wait_loadcnt 0x0
	v_cmp_ne_u64_e32 vcc_lo, v[2:3], v[14:15]
	s_and_b32 exec_lo, exec_lo, vcc_lo
	s_cbranch_execz .LBB1_26
; %bb.24:
	s_mov_b32 s4, 0
.LBB1_25:                               ; =>This Inner Loop Header: Depth=1
	v_dual_mov_b32 v0, s0 :: v_dual_mov_b32 v1, s1
	s_sleep 1
	global_store_b64 v[8:9], v[2:3], off
	global_wb scope:SCOPE_SYS
	s_wait_storecnt 0x0
	s_wait_xcnt 0x0
	global_atomic_cmpswap_b64 v[0:1], v10, v[0:3], s[2:3] offset:24 th:TH_ATOMIC_RETURN scope:SCOPE_SYS
	s_wait_loadcnt 0x0
	v_cmp_eq_u64_e32 vcc_lo, v[0:1], v[2:3]
	v_mov_b64_e32 v[2:3], v[0:1]
	s_or_b32 s4, vcc_lo, s4
	s_delay_alu instid0(SALU_CYCLE_1)
	s_and_not1_b32 exec_lo, exec_lo, s4
	s_cbranch_execnz .LBB1_25
.LBB1_26:
	s_or_b32 exec_lo, exec_lo, s6
	s_mov_b32 s1, s33
	s_mov_b32 s0, 0
.LBB1_27:                               ; =>This Inner Loop Header: Depth=1
	scratch_load_u8 v0, off, s1
	s_wait_xcnt 0x0
	s_add_co_i32 s1, s1, 1
	s_wait_loadcnt 0x0
	v_cmp_eq_u16_e32 vcc_lo, 0, v0
	v_mov_b32_e32 v0, s1
	s_or_b32 s0, vcc_lo, s0
	s_delay_alu instid0(SALU_CYCLE_1)
	s_and_not1_b32 exec_lo, exec_lo, s0
	s_cbranch_execnz .LBB1_27
; %bb.28:
	s_or_b32 exec_lo, exec_lo, s0
	s_cmp_lg_u32 s33, -1
	s_cbranch_scc0 .LBB1_113
; %bb.29:
	s_mov_b64 s[0:1], src_flat_scratch_base_lo
	v_mov_b64_e32 v[10:11], 0x100000002
	v_dual_add_nc_u32 v0, s0, v0 :: v_dual_bitop2_b32 v28, 2, v6 bitop3:0x40
	s_add_co_i32 s0, s33, s0
	v_dual_mov_b32 v31, 0 :: v_dual_mov_b32 v29, s33
	s_delay_alu instid0(VALU_DEP_2) | instskip(SKIP_3) | instid1(VALU_DEP_2)
	v_subrev_nc_u32_e32 v32, s0, v0
	v_dual_mov_b32 v1, v7 :: v_dual_bitop2_b32 v0, -3, v6 bitop3:0x40
	s_mov_b32 s7, 0
	s_mov_b32 s6, 0
	v_ashrrev_i32_e32 v33, 31, v32
	s_branch .LBB1_31
.LBB1_30:                               ;   in Loop: Header=BB1_31 Depth=1
	s_or_b32 exec_lo, exec_lo, s10
	v_sub_nc_u64_e32 v[32:33], v[32:33], v[34:35]
	v_add_nc_u32_e32 v29, v29, v34
	s_delay_alu instid0(VALU_DEP_2) | instskip(SKIP_1) | instid1(SALU_CYCLE_1)
	v_cmp_eq_u64_e32 vcc_lo, 0, v[32:33]
	s_or_b32 s6, vcc_lo, s6
	s_and_not1_b32 exec_lo, exec_lo, s6
	s_cbranch_execz .LBB1_192
.LBB1_31:                               ; =>This Loop Header: Depth=1
                                        ;     Child Loop BB1_34 Depth 2
                                        ;     Child Loop BB1_42 Depth 2
	;; [unrolled: 1-line block ×11, first 2 shown]
	s_delay_alu instid0(VALU_DEP_1)
	v_min_u64 v[34:35], v[32:33], 56
	v_add_nc_u32_e32 v9, 8, v29
	s_mov_b32 s0, exec_lo
	v_cmpx_gt_u64_e32 8, v[32:33]
	s_xor_b32 s4, exec_lo, s0
	s_cbranch_execz .LBB1_37
; %bb.32:                               ;   in Loop: Header=BB1_31 Depth=1
	v_mov_b64_e32 v[2:3], 0
	s_mov_b32 s5, exec_lo
	v_cmpx_ne_u64_e32 0, v[32:33]
	s_cbranch_execz .LBB1_36
; %bb.33:                               ;   in Loop: Header=BB1_31 Depth=1
	v_mov_b64_e32 v[2:3], 0
	v_dual_mov_b32 v9, v29 :: v_dual_lshlrev_b32 v8, 3, v34
	s_mov_b64 s[0:1], 0
	s_mov_b32 s10, 0
.LBB1_34:                               ;   Parent Loop BB1_31 Depth=1
                                        ; =>  This Inner Loop Header: Depth=2
	scratch_load_u8 v12, v9, off
	s_wait_xcnt 0x0
	v_dual_mov_b32 v13, s7 :: v_dual_add_nc_u32 v9, 1, v9
	s_wait_loadcnt 0x0
	v_and_b32_e32 v12, 0xffff, v12
	s_delay_alu instid0(VALU_DEP_1) | instskip(SKIP_1) | instid1(SALU_CYCLE_1)
	v_lshlrev_b64_e32 v[12:13], s0, v[12:13]
	s_add_nc_u64 s[0:1], s[0:1], 8
	v_cmp_eq_u32_e32 vcc_lo, s0, v8
	s_delay_alu instid0(VALU_DEP_2) | instskip(NEXT) | instid1(VALU_DEP_3)
	v_or_b32_e32 v3, v13, v3
	v_or_b32_e32 v2, v12, v2
	s_or_b32 s10, vcc_lo, s10
	s_delay_alu instid0(SALU_CYCLE_1)
	s_and_not1_b32 exec_lo, exec_lo, s10
	s_cbranch_execnz .LBB1_34
; %bb.35:                               ;   in Loop: Header=BB1_31 Depth=1
	s_or_b32 exec_lo, exec_lo, s10
.LBB1_36:                               ;   in Loop: Header=BB1_31 Depth=1
	s_delay_alu instid0(SALU_CYCLE_1)
	s_or_b32 exec_lo, exec_lo, s5
	v_mov_b32_e32 v9, v29
.LBB1_37:                               ;   in Loop: Header=BB1_31 Depth=1
	s_or_saveexec_b32 s0, s4
	v_mov_b32_e32 v14, 0
	s_xor_b32 exec_lo, exec_lo, s0
	s_cbranch_execz .LBB1_39
; %bb.38:                               ;   in Loop: Header=BB1_31 Depth=1
	scratch_load_b64 v[2:3], v29, off
	v_add_nc_u32_e32 v14, -8, v34
.LBB1_39:                               ;   in Loop: Header=BB1_31 Depth=1
	s_wait_xcnt 0x0
	s_or_b32 exec_lo, exec_lo, s0
	v_add_nc_u32_e32 v8, 8, v9
                                        ; implicit-def: $vgpr12_vgpr13
	s_mov_b32 s0, exec_lo
	v_cmpx_gt_u32_e32 8, v14
	s_xor_b32 s4, exec_lo, s0
	s_cbranch_execz .LBB1_45
; %bb.40:                               ;   in Loop: Header=BB1_31 Depth=1
	v_mov_b64_e32 v[12:13], 0
	s_mov_b32 s5, exec_lo
	v_cmpx_ne_u32_e32 0, v14
	s_cbranch_execz .LBB1_44
; %bb.41:                               ;   in Loop: Header=BB1_31 Depth=1
	v_mov_b64_e32 v[12:13], 0
	s_mov_b64 s[0:1], 0
	s_mov_b32 s10, 0
	s_mov_b32 s11, 0
.LBB1_42:                               ;   Parent Loop BB1_31 Depth=1
                                        ; =>  This Inner Loop Header: Depth=2
	scratch_load_u8 v8, v9, s11
	v_mov_b32_e32 v17, s7
	s_wait_xcnt 0x0
	s_add_co_i32 s11, s11, 1
	s_delay_alu instid0(SALU_CYCLE_1) | instskip(SKIP_3) | instid1(VALU_DEP_1)
	v_cmp_eq_u32_e32 vcc_lo, s11, v14
	s_or_b32 s10, vcc_lo, s10
	s_wait_loadcnt 0x0
	v_and_b32_e32 v16, 0xffff, v8
	v_lshlrev_b64_e32 v[16:17], s0, v[16:17]
	s_add_nc_u64 s[0:1], s[0:1], 8
	s_delay_alu instid0(VALU_DEP_1) | instskip(NEXT) | instid1(VALU_DEP_2)
	v_or_b32_e32 v13, v17, v13
	v_or_b32_e32 v12, v16, v12
	s_and_not1_b32 exec_lo, exec_lo, s10
	s_cbranch_execnz .LBB1_42
; %bb.43:                               ;   in Loop: Header=BB1_31 Depth=1
	s_or_b32 exec_lo, exec_lo, s10
.LBB1_44:                               ;   in Loop: Header=BB1_31 Depth=1
	s_delay_alu instid0(SALU_CYCLE_1)
	s_or_b32 exec_lo, exec_lo, s5
	v_mov_b32_e32 v8, v9
                                        ; implicit-def: $vgpr14
.LBB1_45:                               ;   in Loop: Header=BB1_31 Depth=1
	s_or_saveexec_b32 s0, s4
	v_mov_b32_e32 v16, 0
	s_xor_b32 exec_lo, exec_lo, s0
	s_cbranch_execz .LBB1_47
; %bb.46:                               ;   in Loop: Header=BB1_31 Depth=1
	scratch_load_b64 v[12:13], v9, off
	v_add_nc_u32_e32 v16, -8, v14
.LBB1_47:                               ;   in Loop: Header=BB1_31 Depth=1
	s_wait_xcnt 0x0
	s_or_b32 exec_lo, exec_lo, s0
	v_add_nc_u32_e32 v9, 8, v8
	s_mov_b32 s0, exec_lo
	v_cmpx_gt_u32_e32 8, v16
	s_xor_b32 s4, exec_lo, s0
	s_cbranch_execz .LBB1_53
; %bb.48:                               ;   in Loop: Header=BB1_31 Depth=1
	v_mov_b64_e32 v[14:15], 0
	s_mov_b32 s5, exec_lo
	v_cmpx_ne_u32_e32 0, v16
	s_cbranch_execz .LBB1_52
; %bb.49:                               ;   in Loop: Header=BB1_31 Depth=1
	v_mov_b64_e32 v[14:15], 0
	s_mov_b64 s[0:1], 0
	s_mov_b32 s10, 0
	s_mov_b32 s11, 0
.LBB1_50:                               ;   Parent Loop BB1_31 Depth=1
                                        ; =>  This Inner Loop Header: Depth=2
	scratch_load_u8 v9, v8, s11
	v_mov_b32_e32 v19, s7
	s_wait_xcnt 0x0
	s_add_co_i32 s11, s11, 1
	s_delay_alu instid0(SALU_CYCLE_1) | instskip(SKIP_3) | instid1(VALU_DEP_1)
	v_cmp_eq_u32_e32 vcc_lo, s11, v16
	s_or_b32 s10, vcc_lo, s10
	s_wait_loadcnt 0x0
	v_and_b32_e32 v18, 0xffff, v9
	v_lshlrev_b64_e32 v[18:19], s0, v[18:19]
	s_add_nc_u64 s[0:1], s[0:1], 8
	s_delay_alu instid0(VALU_DEP_1) | instskip(NEXT) | instid1(VALU_DEP_2)
	v_or_b32_e32 v15, v19, v15
	v_or_b32_e32 v14, v18, v14
	s_and_not1_b32 exec_lo, exec_lo, s10
	s_cbranch_execnz .LBB1_50
; %bb.51:                               ;   in Loop: Header=BB1_31 Depth=1
	s_or_b32 exec_lo, exec_lo, s10
.LBB1_52:                               ;   in Loop: Header=BB1_31 Depth=1
	s_delay_alu instid0(SALU_CYCLE_1)
	s_or_b32 exec_lo, exec_lo, s5
	v_mov_b32_e32 v9, v8
                                        ; implicit-def: $vgpr16
.LBB1_53:                               ;   in Loop: Header=BB1_31 Depth=1
	s_or_saveexec_b32 s0, s4
	v_mov_b32_e32 v18, 0
	s_xor_b32 exec_lo, exec_lo, s0
	s_cbranch_execz .LBB1_55
; %bb.54:                               ;   in Loop: Header=BB1_31 Depth=1
	scratch_load_b64 v[14:15], v8, off
	v_add_nc_u32_e32 v18, -8, v16
.LBB1_55:                               ;   in Loop: Header=BB1_31 Depth=1
	s_wait_xcnt 0x0
	s_or_b32 exec_lo, exec_lo, s0
	v_add_nc_u32_e32 v8, 8, v9
                                        ; implicit-def: $vgpr16_vgpr17
	s_mov_b32 s0, exec_lo
	v_cmpx_gt_u32_e32 8, v18
	s_xor_b32 s4, exec_lo, s0
	s_cbranch_execz .LBB1_61
; %bb.56:                               ;   in Loop: Header=BB1_31 Depth=1
	v_mov_b64_e32 v[16:17], 0
	s_mov_b32 s5, exec_lo
	v_cmpx_ne_u32_e32 0, v18
	s_cbranch_execz .LBB1_60
; %bb.57:                               ;   in Loop: Header=BB1_31 Depth=1
	v_mov_b64_e32 v[16:17], 0
	s_mov_b64 s[0:1], 0
	s_mov_b32 s10, 0
	s_mov_b32 s11, 0
.LBB1_58:                               ;   Parent Loop BB1_31 Depth=1
                                        ; =>  This Inner Loop Header: Depth=2
	scratch_load_u8 v8, v9, s11
	v_mov_b32_e32 v21, s7
	s_wait_xcnt 0x0
	s_add_co_i32 s11, s11, 1
	s_delay_alu instid0(SALU_CYCLE_1) | instskip(SKIP_3) | instid1(VALU_DEP_1)
	v_cmp_eq_u32_e32 vcc_lo, s11, v18
	s_or_b32 s10, vcc_lo, s10
	s_wait_loadcnt 0x0
	v_and_b32_e32 v20, 0xffff, v8
	v_lshlrev_b64_e32 v[20:21], s0, v[20:21]
	s_add_nc_u64 s[0:1], s[0:1], 8
	s_delay_alu instid0(VALU_DEP_1) | instskip(NEXT) | instid1(VALU_DEP_2)
	v_or_b32_e32 v17, v21, v17
	v_or_b32_e32 v16, v20, v16
	s_and_not1_b32 exec_lo, exec_lo, s10
	s_cbranch_execnz .LBB1_58
; %bb.59:                               ;   in Loop: Header=BB1_31 Depth=1
	s_or_b32 exec_lo, exec_lo, s10
.LBB1_60:                               ;   in Loop: Header=BB1_31 Depth=1
	s_delay_alu instid0(SALU_CYCLE_1)
	s_or_b32 exec_lo, exec_lo, s5
	v_mov_b32_e32 v8, v9
                                        ; implicit-def: $vgpr18
.LBB1_61:                               ;   in Loop: Header=BB1_31 Depth=1
	s_or_saveexec_b32 s0, s4
	v_mov_b32_e32 v20, 0
	s_xor_b32 exec_lo, exec_lo, s0
	s_cbranch_execz .LBB1_63
; %bb.62:                               ;   in Loop: Header=BB1_31 Depth=1
	scratch_load_b64 v[16:17], v9, off
	v_add_nc_u32_e32 v20, -8, v18
.LBB1_63:                               ;   in Loop: Header=BB1_31 Depth=1
	s_wait_xcnt 0x0
	s_or_b32 exec_lo, exec_lo, s0
	v_add_nc_u32_e32 v9, 8, v8
	s_mov_b32 s0, exec_lo
	v_cmpx_gt_u32_e32 8, v20
	s_xor_b32 s4, exec_lo, s0
	s_cbranch_execz .LBB1_69
; %bb.64:                               ;   in Loop: Header=BB1_31 Depth=1
	v_mov_b64_e32 v[18:19], 0
	s_mov_b32 s5, exec_lo
	v_cmpx_ne_u32_e32 0, v20
	s_cbranch_execz .LBB1_68
; %bb.65:                               ;   in Loop: Header=BB1_31 Depth=1
	v_mov_b64_e32 v[18:19], 0
	s_mov_b64 s[0:1], 0
	s_mov_b32 s10, 0
	s_mov_b32 s11, 0
.LBB1_66:                               ;   Parent Loop BB1_31 Depth=1
                                        ; =>  This Inner Loop Header: Depth=2
	scratch_load_u8 v9, v8, s11
	v_mov_b32_e32 v23, s7
	s_wait_xcnt 0x0
	s_add_co_i32 s11, s11, 1
	s_delay_alu instid0(SALU_CYCLE_1) | instskip(SKIP_3) | instid1(VALU_DEP_1)
	v_cmp_eq_u32_e32 vcc_lo, s11, v20
	s_or_b32 s10, vcc_lo, s10
	s_wait_loadcnt 0x0
	v_and_b32_e32 v22, 0xffff, v9
	v_lshlrev_b64_e32 v[22:23], s0, v[22:23]
	s_add_nc_u64 s[0:1], s[0:1], 8
	s_delay_alu instid0(VALU_DEP_1) | instskip(NEXT) | instid1(VALU_DEP_2)
	v_or_b32_e32 v19, v23, v19
	v_or_b32_e32 v18, v22, v18
	s_and_not1_b32 exec_lo, exec_lo, s10
	s_cbranch_execnz .LBB1_66
; %bb.67:                               ;   in Loop: Header=BB1_31 Depth=1
	s_or_b32 exec_lo, exec_lo, s10
.LBB1_68:                               ;   in Loop: Header=BB1_31 Depth=1
	s_delay_alu instid0(SALU_CYCLE_1)
	s_or_b32 exec_lo, exec_lo, s5
	v_mov_b32_e32 v9, v8
                                        ; implicit-def: $vgpr20
.LBB1_69:                               ;   in Loop: Header=BB1_31 Depth=1
	s_or_saveexec_b32 s0, s4
	v_mov_b32_e32 v22, 0
	s_xor_b32 exec_lo, exec_lo, s0
	s_cbranch_execz .LBB1_71
; %bb.70:                               ;   in Loop: Header=BB1_31 Depth=1
	scratch_load_b64 v[18:19], v8, off
	v_add_nc_u32_e32 v22, -8, v20
.LBB1_71:                               ;   in Loop: Header=BB1_31 Depth=1
	s_wait_xcnt 0x0
	s_or_b32 exec_lo, exec_lo, s0
	v_add_nc_u32_e32 v8, 8, v9
                                        ; implicit-def: $vgpr20_vgpr21
	s_mov_b32 s0, exec_lo
	v_cmpx_gt_u32_e32 8, v22
	s_xor_b32 s4, exec_lo, s0
	s_cbranch_execz .LBB1_77
; %bb.72:                               ;   in Loop: Header=BB1_31 Depth=1
	v_mov_b64_e32 v[20:21], 0
	s_mov_b32 s5, exec_lo
	v_cmpx_ne_u32_e32 0, v22
	s_cbranch_execz .LBB1_76
; %bb.73:                               ;   in Loop: Header=BB1_31 Depth=1
	v_mov_b64_e32 v[20:21], 0
	s_mov_b64 s[0:1], 0
	s_mov_b32 s10, 0
	s_mov_b32 s11, 0
.LBB1_74:                               ;   Parent Loop BB1_31 Depth=1
                                        ; =>  This Inner Loop Header: Depth=2
	scratch_load_u8 v8, v9, s11
	v_mov_b32_e32 v25, s7
	s_wait_xcnt 0x0
	s_add_co_i32 s11, s11, 1
	s_delay_alu instid0(SALU_CYCLE_1) | instskip(SKIP_3) | instid1(VALU_DEP_1)
	v_cmp_eq_u32_e32 vcc_lo, s11, v22
	s_or_b32 s10, vcc_lo, s10
	s_wait_loadcnt 0x0
	v_and_b32_e32 v24, 0xffff, v8
	v_lshlrev_b64_e32 v[24:25], s0, v[24:25]
	s_add_nc_u64 s[0:1], s[0:1], 8
	s_delay_alu instid0(VALU_DEP_1) | instskip(NEXT) | instid1(VALU_DEP_2)
	v_or_b32_e32 v21, v25, v21
	v_or_b32_e32 v20, v24, v20
	s_and_not1_b32 exec_lo, exec_lo, s10
	s_cbranch_execnz .LBB1_74
; %bb.75:                               ;   in Loop: Header=BB1_31 Depth=1
	s_or_b32 exec_lo, exec_lo, s10
.LBB1_76:                               ;   in Loop: Header=BB1_31 Depth=1
	s_delay_alu instid0(SALU_CYCLE_1)
	s_or_b32 exec_lo, exec_lo, s5
	v_mov_b32_e32 v8, v9
                                        ; implicit-def: $vgpr22
.LBB1_77:                               ;   in Loop: Header=BB1_31 Depth=1
	s_or_saveexec_b32 s0, s4
	v_mov_b32_e32 v24, 0
	s_xor_b32 exec_lo, exec_lo, s0
	s_cbranch_execz .LBB1_79
; %bb.78:                               ;   in Loop: Header=BB1_31 Depth=1
	scratch_load_b64 v[20:21], v9, off
	v_add_nc_u32_e32 v24, -8, v22
.LBB1_79:                               ;   in Loop: Header=BB1_31 Depth=1
	s_wait_xcnt 0x0
	s_or_b32 exec_lo, exec_lo, s0
	s_delay_alu instid0(SALU_CYCLE_1) | instskip(NEXT) | instid1(VALU_DEP_1)
	s_mov_b32 s0, exec_lo
	v_cmpx_gt_u32_e32 8, v24
	s_xor_b32 s4, exec_lo, s0
	s_cbranch_execz .LBB1_85
; %bb.80:                               ;   in Loop: Header=BB1_31 Depth=1
	v_mov_b64_e32 v[22:23], 0
	s_mov_b32 s5, exec_lo
	v_cmpx_ne_u32_e32 0, v24
	s_cbranch_execz .LBB1_84
; %bb.81:                               ;   in Loop: Header=BB1_31 Depth=1
	v_mov_b64_e32 v[22:23], 0
	s_mov_b64 s[0:1], 0
	s_mov_b32 s10, 0
.LBB1_82:                               ;   Parent Loop BB1_31 Depth=1
                                        ; =>  This Inner Loop Header: Depth=2
	scratch_load_u8 v9, v8, off
	v_dual_mov_b32 v27, s7 :: v_dual_add_nc_u32 v24, -1, v24
	s_delay_alu instid0(VALU_DEP_1) | instskip(SKIP_3) | instid1(VALU_DEP_1)
	v_cmp_eq_u32_e32 vcc_lo, 0, v24
	s_or_b32 s10, vcc_lo, s10
	s_wait_loadcnt 0x0
	v_and_b32_e32 v26, 0xffff, v9
	v_lshlrev_b64_e32 v[26:27], s0, v[26:27]
	s_wait_xcnt 0x0
	v_add_nc_u32_e32 v8, 1, v8
	s_add_nc_u64 s[0:1], s[0:1], 8
	s_delay_alu instid0(VALU_DEP_2) | instskip(NEXT) | instid1(VALU_DEP_3)
	v_or_b32_e32 v23, v27, v23
	v_or_b32_e32 v22, v26, v22
	s_and_not1_b32 exec_lo, exec_lo, s10
	s_cbranch_execnz .LBB1_82
; %bb.83:                               ;   in Loop: Header=BB1_31 Depth=1
	s_or_b32 exec_lo, exec_lo, s10
.LBB1_84:                               ;   in Loop: Header=BB1_31 Depth=1
	s_delay_alu instid0(SALU_CYCLE_1)
	s_or_b32 exec_lo, exec_lo, s5
                                        ; implicit-def: $vgpr8
.LBB1_85:                               ;   in Loop: Header=BB1_31 Depth=1
	s_and_not1_saveexec_b32 s0, s4
	s_cbranch_execz .LBB1_87
; %bb.86:                               ;   in Loop: Header=BB1_31 Depth=1
	scratch_load_b64 v[22:23], v8, off
.LBB1_87:                               ;   in Loop: Header=BB1_31 Depth=1
	s_wait_xcnt 0x0
	s_or_b32 exec_lo, exec_lo, s0
	v_readfirstlane_b32 s0, v48
	v_mov_b64_e32 v[8:9], 0
	s_delay_alu instid0(VALU_DEP_2)
	v_cmp_eq_u32_e64 s0, s0, v48
	s_and_saveexec_b32 s1, s0
	s_cbranch_execz .LBB1_93
; %bb.88:                               ;   in Loop: Header=BB1_31 Depth=1
	global_load_b64 v[26:27], v31, s[2:3] offset:24 scope:SCOPE_SYS
	s_wait_loadcnt 0x0
	global_inv scope:SCOPE_SYS
	s_clause 0x1
	global_load_b64 v[8:9], v31, s[2:3] offset:40
	global_load_b64 v[24:25], v31, s[2:3]
	s_mov_b32 s4, exec_lo
	s_wait_loadcnt 0x1
	v_and_b32_e32 v8, v8, v26
	v_and_b32_e32 v9, v9, v27
	s_delay_alu instid0(VALU_DEP_1) | instskip(SKIP_1) | instid1(VALU_DEP_1)
	v_mul_u64_e32 v[8:9], 24, v[8:9]
	s_wait_loadcnt 0x0
	v_add_nc_u64_e32 v[8:9], v[24:25], v[8:9]
	global_load_b64 v[24:25], v[8:9], off scope:SCOPE_SYS
	s_wait_xcnt 0x0
	s_wait_loadcnt 0x0
	global_atomic_cmpswap_b64 v[8:9], v31, v[24:27], s[2:3] offset:24 th:TH_ATOMIC_RETURN scope:SCOPE_SYS
	s_wait_loadcnt 0x0
	global_inv scope:SCOPE_SYS
	s_wait_xcnt 0x0
	v_cmpx_ne_u64_e64 v[8:9], v[26:27]
	s_cbranch_execz .LBB1_92
; %bb.89:                               ;   in Loop: Header=BB1_31 Depth=1
	s_mov_b32 s5, 0
.LBB1_90:                               ;   Parent Loop BB1_31 Depth=1
                                        ; =>  This Inner Loop Header: Depth=2
	s_sleep 1
	s_clause 0x1
	global_load_b64 v[24:25], v31, s[2:3] offset:40
	global_load_b64 v[36:37], v31, s[2:3]
	v_mov_b64_e32 v[26:27], v[8:9]
	s_wait_loadcnt 0x1
	s_delay_alu instid0(VALU_DEP_1) | instskip(NEXT) | instid1(VALU_DEP_2)
	v_and_b32_e32 v8, v24, v26
	v_and_b32_e32 v24, v25, v27
	s_wait_loadcnt 0x0
	s_delay_alu instid0(VALU_DEP_2) | instskip(NEXT) | instid1(VALU_DEP_1)
	v_mad_nc_u64_u32 v[8:9], v8, 24, v[36:37]
	v_mad_u32 v9, v24, 24, v9
	global_load_b64 v[24:25], v[8:9], off scope:SCOPE_SYS
	s_wait_xcnt 0x0
	s_wait_loadcnt 0x0
	global_atomic_cmpswap_b64 v[8:9], v31, v[24:27], s[2:3] offset:24 th:TH_ATOMIC_RETURN scope:SCOPE_SYS
	s_wait_loadcnt 0x0
	global_inv scope:SCOPE_SYS
	v_cmp_eq_u64_e32 vcc_lo, v[8:9], v[26:27]
	s_or_b32 s5, vcc_lo, s5
	s_wait_xcnt 0x0
	s_and_not1_b32 exec_lo, exec_lo, s5
	s_cbranch_execnz .LBB1_90
; %bb.91:                               ;   in Loop: Header=BB1_31 Depth=1
	s_or_b32 exec_lo, exec_lo, s5
.LBB1_92:                               ;   in Loop: Header=BB1_31 Depth=1
	s_delay_alu instid0(SALU_CYCLE_1)
	s_or_b32 exec_lo, exec_lo, s4
.LBB1_93:                               ;   in Loop: Header=BB1_31 Depth=1
	s_delay_alu instid0(SALU_CYCLE_1)
	s_or_b32 exec_lo, exec_lo, s1
	s_clause 0x1
	global_load_b64 v[36:37], v31, s[2:3] offset:40
	global_load_b128 v[24:27], v31, s[2:3]
	v_readfirstlane_b32 s4, v8
	v_readfirstlane_b32 s5, v9
	s_mov_b32 s1, exec_lo
	s_wait_loadcnt 0x1
	v_and_b32_e32 v38, s4, v36
	v_and_b32_e32 v39, s5, v37
	s_delay_alu instid0(VALU_DEP_1) | instskip(SKIP_1) | instid1(VALU_DEP_1)
	v_mul_u64_e32 v[8:9], 24, v[38:39]
	s_wait_loadcnt 0x0
	v_add_nc_u64_e32 v[36:37], v[24:25], v[8:9]
	s_wait_xcnt 0x0
	s_and_saveexec_b32 s10, s0
	s_cbranch_execz .LBB1_95
; %bb.94:                               ;   in Loop: Header=BB1_31 Depth=1
	v_dual_mov_b32 v8, s1 :: v_dual_mov_b32 v9, v31
	global_store_b128 v[36:37], v[8:11], off offset:8
.LBB1_95:                               ;   in Loop: Header=BB1_31 Depth=1
	s_wait_xcnt 0x0
	s_or_b32 exec_lo, exec_lo, s10
	v_cmp_gt_u64_e32 vcc_lo, 57, v[32:33]
	v_lshlrev_b64_e32 v[8:9], 12, v[38:39]
	v_and_b32_e32 v0, 0xffffff1f, v0
	v_lshl_add_u32 v39, v34, 2, 28
	v_cndmask_b32_e32 v38, 0, v28, vcc_lo
	s_delay_alu instid0(VALU_DEP_4) | instskip(NEXT) | instid1(VALU_DEP_2)
	v_add_nc_u64_e32 v[8:9], v[26:27], v[8:9]
	v_or_b32_e32 v0, v0, v38
	s_delay_alu instid0(VALU_DEP_2) | instskip(NEXT) | instid1(VALU_DEP_3)
	v_readfirstlane_b32 s10, v8
	v_readfirstlane_b32 s11, v9
	s_delay_alu instid0(VALU_DEP_3)
	v_and_or_b32 v0, 0x1e0, v39, v0
	s_clause 0x3
	global_store_b128 v30, v[0:3], s[10:11]
	global_store_b128 v30, v[12:15], s[10:11] offset:16
	global_store_b128 v30, v[16:19], s[10:11] offset:32
	;; [unrolled: 1-line block ×3, first 2 shown]
	s_wait_xcnt 0x0
	s_and_saveexec_b32 s1, s0
	s_cbranch_execz .LBB1_103
; %bb.96:                               ;   in Loop: Header=BB1_31 Depth=1
	s_clause 0x1
	global_load_b64 v[16:17], v31, s[2:3] offset:32 scope:SCOPE_SYS
	global_load_b64 v[0:1], v31, s[2:3] offset:40
	s_mov_b32 s10, exec_lo
	v_dual_mov_b32 v14, s4 :: v_dual_mov_b32 v15, s5
	s_wait_loadcnt 0x0
	v_and_b32_e32 v1, s5, v1
	v_and_b32_e32 v0, s4, v0
	s_delay_alu instid0(VALU_DEP_1) | instskip(NEXT) | instid1(VALU_DEP_1)
	v_mul_u64_e32 v[0:1], 24, v[0:1]
	v_add_nc_u64_e32 v[12:13], v[24:25], v[0:1]
	global_store_b64 v[12:13], v[16:17], off
	global_wb scope:SCOPE_SYS
	s_wait_storecnt 0x0
	s_wait_xcnt 0x0
	global_atomic_cmpswap_b64 v[2:3], v31, v[14:17], s[2:3] offset:32 th:TH_ATOMIC_RETURN scope:SCOPE_SYS
	s_wait_loadcnt 0x0
	v_cmpx_ne_u64_e64 v[2:3], v[16:17]
	s_cbranch_execz .LBB1_99
; %bb.97:                               ;   in Loop: Header=BB1_31 Depth=1
	s_mov_b32 s11, 0
.LBB1_98:                               ;   Parent Loop BB1_31 Depth=1
                                        ; =>  This Inner Loop Header: Depth=2
	v_dual_mov_b32 v0, s4 :: v_dual_mov_b32 v1, s5
	s_sleep 1
	global_store_b64 v[12:13], v[2:3], off
	global_wb scope:SCOPE_SYS
	s_wait_storecnt 0x0
	s_wait_xcnt 0x0
	global_atomic_cmpswap_b64 v[0:1], v31, v[0:3], s[2:3] offset:32 th:TH_ATOMIC_RETURN scope:SCOPE_SYS
	s_wait_loadcnt 0x0
	v_cmp_eq_u64_e32 vcc_lo, v[0:1], v[2:3]
	v_mov_b64_e32 v[2:3], v[0:1]
	s_or_b32 s11, vcc_lo, s11
	s_delay_alu instid0(SALU_CYCLE_1)
	s_and_not1_b32 exec_lo, exec_lo, s11
	s_cbranch_execnz .LBB1_98
.LBB1_99:                               ;   in Loop: Header=BB1_31 Depth=1
	s_or_b32 exec_lo, exec_lo, s10
	global_load_b64 v[0:1], v31, s[2:3] offset:16
	s_mov_b32 s11, exec_lo
	s_mov_b32 s10, exec_lo
	v_mbcnt_lo_u32_b32 v2, s11, 0
	s_wait_xcnt 0x0
	s_delay_alu instid0(VALU_DEP_1)
	v_cmpx_eq_u32_e32 0, v2
	s_cbranch_execz .LBB1_101
; %bb.100:                              ;   in Loop: Header=BB1_31 Depth=1
	s_bcnt1_i32_b32 s11, s11
	s_delay_alu instid0(SALU_CYCLE_1)
	v_dual_mov_b32 v3, v31 :: v_dual_mov_b32 v2, s11
	global_wb scope:SCOPE_SYS
	s_wait_loadcnt 0x0
	s_wait_storecnt 0x0
	global_atomic_add_u64 v[0:1], v[2:3], off offset:8 scope:SCOPE_SYS
.LBB1_101:                              ;   in Loop: Header=BB1_31 Depth=1
	s_wait_xcnt 0x0
	s_or_b32 exec_lo, exec_lo, s10
	s_wait_loadcnt 0x0
	global_load_b64 v[2:3], v[0:1], off offset:16
	s_wait_loadcnt 0x0
	v_cmp_eq_u64_e32 vcc_lo, 0, v[2:3]
	s_cbranch_vccnz .LBB1_103
; %bb.102:                              ;   in Loop: Header=BB1_31 Depth=1
	global_load_b32 v0, v[0:1], off offset:24
	s_wait_xcnt 0x0
	v_mov_b32_e32 v1, v31
	s_wait_loadcnt 0x0
	v_readfirstlane_b32 s10, v0
	global_wb scope:SCOPE_SYS
	s_wait_storecnt 0x0
	global_store_b64 v[2:3], v[0:1], off scope:SCOPE_SYS
	s_and_b32 m0, s10, 0xffffff
	s_sendmsg sendmsg(MSG_INTERRUPT)
.LBB1_103:                              ;   in Loop: Header=BB1_31 Depth=1
	s_wait_xcnt 0x0
	s_or_b32 exec_lo, exec_lo, s1
	v_add_nc_u64_e32 v[0:1], v[8:9], v[30:31]
	s_branch .LBB1_107
.LBB1_104:                              ;   in Loop: Header=BB1_107 Depth=2
	s_wait_xcnt 0x0
	s_or_b32 exec_lo, exec_lo, s1
	s_delay_alu instid0(VALU_DEP_1)
	v_readfirstlane_b32 s1, v2
	s_cmp_eq_u32 s1, 0
	s_cbranch_scc1 .LBB1_106
; %bb.105:                              ;   in Loop: Header=BB1_107 Depth=2
	s_sleep 1
	s_cbranch_execnz .LBB1_107
	s_branch .LBB1_109
.LBB1_106:                              ;   in Loop: Header=BB1_31 Depth=1
	s_branch .LBB1_109
.LBB1_107:                              ;   Parent Loop BB1_31 Depth=1
                                        ; =>  This Inner Loop Header: Depth=2
	v_mov_b32_e32 v2, 1
	s_and_saveexec_b32 s1, s0
	s_cbranch_execz .LBB1_104
; %bb.108:                              ;   in Loop: Header=BB1_107 Depth=2
	global_load_b32 v2, v[36:37], off offset:20 scope:SCOPE_SYS
	s_wait_loadcnt 0x0
	global_inv scope:SCOPE_SYS
	v_and_b32_e32 v2, 1, v2
	s_branch .LBB1_104
.LBB1_109:                              ;   in Loop: Header=BB1_31 Depth=1
	global_load_b64 v[0:1], v[0:1], off
	s_wait_xcnt 0x0
	s_and_saveexec_b32 s10, s0
	s_cbranch_execz .LBB1_30
; %bb.110:                              ;   in Loop: Header=BB1_31 Depth=1
	s_clause 0x2
	global_load_b64 v[2:3], v31, s[2:3] offset:40
	global_load_b64 v[16:17], v31, s[2:3] offset:24 scope:SCOPE_SYS
	global_load_b64 v[8:9], v31, s[2:3]
	s_wait_loadcnt 0x2
	v_readfirstlane_b32 s12, v2
	v_readfirstlane_b32 s13, v3
	s_add_nc_u64 s[0:1], s[12:13], 1
	s_delay_alu instid0(SALU_CYCLE_1) | instskip(NEXT) | instid1(SALU_CYCLE_1)
	s_add_nc_u64 s[4:5], s[0:1], s[4:5]
	s_cmp_eq_u64 s[4:5], 0
	s_cselect_b32 s1, s1, s5
	s_cselect_b32 s0, s0, s4
	s_delay_alu instid0(SALU_CYCLE_1) | instskip(SKIP_1) | instid1(SALU_CYCLE_1)
	v_dual_mov_b32 v15, s1 :: v_dual_mov_b32 v14, s0
	s_and_b64 s[4:5], s[0:1], s[12:13]
	s_mul_u64 s[4:5], s[4:5], 24
	s_wait_loadcnt 0x0
	v_add_nc_u64_e32 v[2:3], s[4:5], v[8:9]
	global_store_b64 v[2:3], v[16:17], off
	global_wb scope:SCOPE_SYS
	s_wait_storecnt 0x0
	s_wait_xcnt 0x0
	global_atomic_cmpswap_b64 v[14:15], v31, v[14:17], s[2:3] offset:24 th:TH_ATOMIC_RETURN scope:SCOPE_SYS
	s_wait_loadcnt 0x0
	v_cmp_ne_u64_e32 vcc_lo, v[14:15], v[16:17]
	s_and_b32 exec_lo, exec_lo, vcc_lo
	s_cbranch_execz .LBB1_30
; %bb.111:                              ;   in Loop: Header=BB1_31 Depth=1
	s_mov_b32 s4, 0
.LBB1_112:                              ;   Parent Loop BB1_31 Depth=1
                                        ; =>  This Inner Loop Header: Depth=2
	v_dual_mov_b32 v12, s0 :: v_dual_mov_b32 v13, s1
	s_sleep 1
	global_store_b64 v[2:3], v[14:15], off
	global_wb scope:SCOPE_SYS
	s_wait_storecnt 0x0
	s_wait_xcnt 0x0
	global_atomic_cmpswap_b64 v[8:9], v31, v[12:15], s[2:3] offset:24 th:TH_ATOMIC_RETURN scope:SCOPE_SYS
	s_wait_loadcnt 0x0
	v_cmp_eq_u64_e32 vcc_lo, v[8:9], v[14:15]
	v_mov_b64_e32 v[14:15], v[8:9]
	s_or_b32 s4, vcc_lo, s4
	s_delay_alu instid0(SALU_CYCLE_1)
	s_and_not1_b32 exec_lo, exec_lo, s4
	s_cbranch_execnz .LBB1_112
	s_branch .LBB1_30
.LBB1_113:
                                        ; implicit-def: $vgpr0_vgpr1
	s_cbranch_execnz .LBB1_193
.LBB1_114:
	s_get_pc_i64 s[4:5]
	s_add_nc_u64 s[4:5], s[4:5], .str.4@rel64+4
	s_delay_alu instid0(SALU_CYCLE_1)
	s_cmp_lg_u64 s[4:5], 0
	s_cbranch_scc0 .LBB1_221
.LBB1_115:
	v_mov_b64_e32 v[12:13], 0x100000002
	s_get_pc_i64 s[0:1]
	s_add_nc_u64 s[0:1], s[0:1], .str.4@rel64+80
	s_wait_loadcnt 0x0
	v_dual_mov_b32 v11, 0 :: v_dual_bitop2_b32 v2, 2, v0 bitop3:0x40
	v_dual_mov_b32 v7, v1 :: v_dual_bitop2_b32 v6, -3, v0 bitop3:0x40
	s_sub_co_i32 s6, s0, s4
	s_delay_alu instid0(SALU_CYCLE_1)
	s_ashr_i32 s7, s6, 31
	s_branch .LBB1_117
.LBB1_116:                              ;   in Loop: Header=BB1_117 Depth=1
	s_or_b32 exec_lo, exec_lo, s14
	s_sub_nc_u64 s[6:7], s[6:7], s[10:11]
	s_add_nc_u64 s[4:5], s[4:5], s[10:11]
	s_cmp_lg_u64 s[6:7], 0
	s_cbranch_scc0 .LBB1_215
.LBB1_117:                              ; =>This Loop Header: Depth=1
                                        ;     Child Loop BB1_120 Depth 2
                                        ;     Child Loop BB1_127 Depth 2
	;; [unrolled: 1-line block ×11, first 2 shown]
	v_min_u64 v[8:9], s[6:7], 56
	v_cmp_gt_u64_e64 s0, s[6:7], 7
	s_and_b32 vcc_lo, exec_lo, s0
	v_readfirstlane_b32 s10, v8
	v_readfirstlane_b32 s11, v9
	s_cbranch_vccnz .LBB1_122
; %bb.118:                              ;   in Loop: Header=BB1_117 Depth=1
	v_mov_b64_e32 v[8:9], 0
	s_cmp_eq_u64 s[6:7], 0
	s_cbranch_scc1 .LBB1_121
; %bb.119:                              ;   in Loop: Header=BB1_117 Depth=1
	s_mov_b64 s[0:1], 0
	s_mov_b64 s[12:13], 0
.LBB1_120:                              ;   Parent Loop BB1_117 Depth=1
                                        ; =>  This Inner Loop Header: Depth=2
	s_wait_xcnt 0x0
	s_add_nc_u64 s[14:15], s[4:5], s[12:13]
	s_add_nc_u64 s[12:13], s[12:13], 1
	global_load_u8 v3, v11, s[14:15]
	s_cmp_lg_u32 s10, s12
	s_wait_loadcnt 0x0
	v_and_b32_e32 v10, 0xffff, v3
	s_delay_alu instid0(VALU_DEP_1) | instskip(SKIP_1) | instid1(VALU_DEP_1)
	v_lshlrev_b64_e32 v[14:15], s0, v[10:11]
	s_add_nc_u64 s[0:1], s[0:1], 8
	v_or_b32_e32 v8, v14, v8
	s_delay_alu instid0(VALU_DEP_2)
	v_or_b32_e32 v9, v15, v9
	s_cbranch_scc1 .LBB1_120
.LBB1_121:                              ;   in Loop: Header=BB1_117 Depth=1
	s_mov_b64 s[12:13], s[4:5]
	s_mov_b32 s16, 0
	s_cbranch_execz .LBB1_123
	s_branch .LBB1_124
.LBB1_122:                              ;   in Loop: Header=BB1_117 Depth=1
	s_add_nc_u64 s[12:13], s[4:5], 8
	s_mov_b32 s16, 0
.LBB1_123:                              ;   in Loop: Header=BB1_117 Depth=1
	global_load_b64 v[8:9], v11, s[4:5]
	s_add_co_i32 s16, s10, -8
.LBB1_124:                              ;   in Loop: Header=BB1_117 Depth=1
	s_delay_alu instid0(SALU_CYCLE_1)
	s_cmp_gt_u32 s16, 7
	s_cbranch_scc1 .LBB1_129
; %bb.125:                              ;   in Loop: Header=BB1_117 Depth=1
	v_mov_b64_e32 v[14:15], 0
	s_cmp_eq_u32 s16, 0
	s_cbranch_scc1 .LBB1_128
; %bb.126:                              ;   in Loop: Header=BB1_117 Depth=1
	s_mov_b64 s[0:1], 0
	s_wait_xcnt 0x0
	s_mov_b64 s[14:15], 0
.LBB1_127:                              ;   Parent Loop BB1_117 Depth=1
                                        ; =>  This Inner Loop Header: Depth=2
	s_wait_xcnt 0x0
	s_add_nc_u64 s[18:19], s[12:13], s[14:15]
	s_add_nc_u64 s[14:15], s[14:15], 1
	global_load_u8 v3, v11, s[18:19]
	s_cmp_lg_u32 s16, s14
	s_wait_loadcnt 0x0
	v_and_b32_e32 v10, 0xffff, v3
	s_delay_alu instid0(VALU_DEP_1) | instskip(SKIP_1) | instid1(VALU_DEP_1)
	v_lshlrev_b64_e32 v[16:17], s0, v[10:11]
	s_add_nc_u64 s[0:1], s[0:1], 8
	v_or_b32_e32 v14, v16, v14
	s_delay_alu instid0(VALU_DEP_2)
	v_or_b32_e32 v15, v17, v15
	s_cbranch_scc1 .LBB1_127
.LBB1_128:                              ;   in Loop: Header=BB1_117 Depth=1
	s_wait_xcnt 0x0
	s_mov_b64 s[0:1], s[12:13]
	s_mov_b32 s17, 0
	s_cbranch_execz .LBB1_130
	s_branch .LBB1_131
.LBB1_129:                              ;   in Loop: Header=BB1_117 Depth=1
	s_add_nc_u64 s[0:1], s[12:13], 8
	s_wait_xcnt 0x0
                                        ; implicit-def: $vgpr14_vgpr15
	s_mov_b32 s17, 0
.LBB1_130:                              ;   in Loop: Header=BB1_117 Depth=1
	global_load_b64 v[14:15], v11, s[12:13]
	s_add_co_i32 s17, s16, -8
.LBB1_131:                              ;   in Loop: Header=BB1_117 Depth=1
	s_delay_alu instid0(SALU_CYCLE_1)
	s_cmp_gt_u32 s17, 7
	s_cbranch_scc1 .LBB1_136
; %bb.132:                              ;   in Loop: Header=BB1_117 Depth=1
	v_mov_b64_e32 v[16:17], 0
	s_cmp_eq_u32 s17, 0
	s_cbranch_scc1 .LBB1_135
; %bb.133:                              ;   in Loop: Header=BB1_117 Depth=1
	s_wait_xcnt 0x0
	s_mov_b64 s[12:13], 0
	s_mov_b64 s[14:15], 0
.LBB1_134:                              ;   Parent Loop BB1_117 Depth=1
                                        ; =>  This Inner Loop Header: Depth=2
	s_wait_xcnt 0x0
	s_add_nc_u64 s[18:19], s[0:1], s[14:15]
	s_add_nc_u64 s[14:15], s[14:15], 1
	global_load_u8 v3, v11, s[18:19]
	s_cmp_lg_u32 s17, s14
	s_wait_loadcnt 0x0
	v_and_b32_e32 v10, 0xffff, v3
	s_delay_alu instid0(VALU_DEP_1) | instskip(SKIP_1) | instid1(VALU_DEP_1)
	v_lshlrev_b64_e32 v[18:19], s12, v[10:11]
	s_add_nc_u64 s[12:13], s[12:13], 8
	v_or_b32_e32 v16, v18, v16
	s_delay_alu instid0(VALU_DEP_2)
	v_or_b32_e32 v17, v19, v17
	s_cbranch_scc1 .LBB1_134
.LBB1_135:                              ;   in Loop: Header=BB1_117 Depth=1
	s_wait_xcnt 0x0
	s_mov_b64 s[12:13], s[0:1]
	s_mov_b32 s16, 0
	s_cbranch_execz .LBB1_137
	s_branch .LBB1_138
.LBB1_136:                              ;   in Loop: Header=BB1_117 Depth=1
	s_wait_xcnt 0x0
	s_add_nc_u64 s[12:13], s[0:1], 8
	s_mov_b32 s16, 0
.LBB1_137:                              ;   in Loop: Header=BB1_117 Depth=1
	global_load_b64 v[16:17], v11, s[0:1]
	s_add_co_i32 s16, s17, -8
.LBB1_138:                              ;   in Loop: Header=BB1_117 Depth=1
	s_delay_alu instid0(SALU_CYCLE_1)
	s_cmp_gt_u32 s16, 7
	s_cbranch_scc1 .LBB1_143
; %bb.139:                              ;   in Loop: Header=BB1_117 Depth=1
	v_mov_b64_e32 v[18:19], 0
	s_cmp_eq_u32 s16, 0
	s_cbranch_scc1 .LBB1_142
; %bb.140:                              ;   in Loop: Header=BB1_117 Depth=1
	s_wait_xcnt 0x0
	s_mov_b64 s[0:1], 0
	s_mov_b64 s[14:15], 0
.LBB1_141:                              ;   Parent Loop BB1_117 Depth=1
                                        ; =>  This Inner Loop Header: Depth=2
	s_wait_xcnt 0x0
	s_add_nc_u64 s[18:19], s[12:13], s[14:15]
	s_add_nc_u64 s[14:15], s[14:15], 1
	global_load_u8 v3, v11, s[18:19]
	s_cmp_lg_u32 s16, s14
	s_wait_loadcnt 0x0
	v_and_b32_e32 v10, 0xffff, v3
	s_delay_alu instid0(VALU_DEP_1) | instskip(SKIP_1) | instid1(VALU_DEP_1)
	v_lshlrev_b64_e32 v[20:21], s0, v[10:11]
	s_add_nc_u64 s[0:1], s[0:1], 8
	v_or_b32_e32 v18, v20, v18
	s_delay_alu instid0(VALU_DEP_2)
	v_or_b32_e32 v19, v21, v19
	s_cbranch_scc1 .LBB1_141
.LBB1_142:                              ;   in Loop: Header=BB1_117 Depth=1
	s_wait_xcnt 0x0
	s_mov_b64 s[0:1], s[12:13]
	s_mov_b32 s17, 0
	s_cbranch_execz .LBB1_144
	s_branch .LBB1_145
.LBB1_143:                              ;   in Loop: Header=BB1_117 Depth=1
	s_wait_xcnt 0x0
	s_add_nc_u64 s[0:1], s[12:13], 8
                                        ; implicit-def: $vgpr18_vgpr19
	s_mov_b32 s17, 0
.LBB1_144:                              ;   in Loop: Header=BB1_117 Depth=1
	global_load_b64 v[18:19], v11, s[12:13]
	s_add_co_i32 s17, s16, -8
.LBB1_145:                              ;   in Loop: Header=BB1_117 Depth=1
	s_delay_alu instid0(SALU_CYCLE_1)
	s_cmp_gt_u32 s17, 7
	s_cbranch_scc1 .LBB1_150
; %bb.146:                              ;   in Loop: Header=BB1_117 Depth=1
	v_mov_b64_e32 v[20:21], 0
	s_cmp_eq_u32 s17, 0
	s_cbranch_scc1 .LBB1_149
; %bb.147:                              ;   in Loop: Header=BB1_117 Depth=1
	s_wait_xcnt 0x0
	s_mov_b64 s[12:13], 0
	s_mov_b64 s[14:15], 0
.LBB1_148:                              ;   Parent Loop BB1_117 Depth=1
                                        ; =>  This Inner Loop Header: Depth=2
	s_wait_xcnt 0x0
	s_add_nc_u64 s[18:19], s[0:1], s[14:15]
	s_add_nc_u64 s[14:15], s[14:15], 1
	global_load_u8 v3, v11, s[18:19]
	s_cmp_lg_u32 s17, s14
	s_wait_loadcnt 0x0
	v_and_b32_e32 v10, 0xffff, v3
	s_delay_alu instid0(VALU_DEP_1) | instskip(SKIP_1) | instid1(VALU_DEP_1)
	v_lshlrev_b64_e32 v[22:23], s12, v[10:11]
	s_add_nc_u64 s[12:13], s[12:13], 8
	v_or_b32_e32 v20, v22, v20
	s_delay_alu instid0(VALU_DEP_2)
	v_or_b32_e32 v21, v23, v21
	s_cbranch_scc1 .LBB1_148
.LBB1_149:                              ;   in Loop: Header=BB1_117 Depth=1
	s_wait_xcnt 0x0
	s_mov_b64 s[12:13], s[0:1]
	s_mov_b32 s16, 0
	s_cbranch_execz .LBB1_151
	s_branch .LBB1_152
.LBB1_150:                              ;   in Loop: Header=BB1_117 Depth=1
	s_wait_xcnt 0x0
	s_add_nc_u64 s[12:13], s[0:1], 8
	s_mov_b32 s16, 0
.LBB1_151:                              ;   in Loop: Header=BB1_117 Depth=1
	global_load_b64 v[20:21], v11, s[0:1]
	s_add_co_i32 s16, s17, -8
.LBB1_152:                              ;   in Loop: Header=BB1_117 Depth=1
	s_delay_alu instid0(SALU_CYCLE_1)
	s_cmp_gt_u32 s16, 7
	s_cbranch_scc1 .LBB1_157
; %bb.153:                              ;   in Loop: Header=BB1_117 Depth=1
	v_mov_b64_e32 v[22:23], 0
	s_cmp_eq_u32 s16, 0
	s_cbranch_scc1 .LBB1_156
; %bb.154:                              ;   in Loop: Header=BB1_117 Depth=1
	s_wait_xcnt 0x0
	s_mov_b64 s[0:1], 0
	s_mov_b64 s[14:15], 0
.LBB1_155:                              ;   Parent Loop BB1_117 Depth=1
                                        ; =>  This Inner Loop Header: Depth=2
	s_wait_xcnt 0x0
	s_add_nc_u64 s[18:19], s[12:13], s[14:15]
	s_add_nc_u64 s[14:15], s[14:15], 1
	global_load_u8 v3, v11, s[18:19]
	s_cmp_lg_u32 s16, s14
	s_wait_loadcnt 0x0
	v_and_b32_e32 v10, 0xffff, v3
	s_delay_alu instid0(VALU_DEP_1) | instskip(SKIP_1) | instid1(VALU_DEP_1)
	v_lshlrev_b64_e32 v[24:25], s0, v[10:11]
	s_add_nc_u64 s[0:1], s[0:1], 8
	v_or_b32_e32 v22, v24, v22
	s_delay_alu instid0(VALU_DEP_2)
	v_or_b32_e32 v23, v25, v23
	s_cbranch_scc1 .LBB1_155
.LBB1_156:                              ;   in Loop: Header=BB1_117 Depth=1
	s_wait_xcnt 0x0
	s_mov_b64 s[0:1], s[12:13]
	s_mov_b32 s17, 0
	s_cbranch_execz .LBB1_158
	s_branch .LBB1_159
.LBB1_157:                              ;   in Loop: Header=BB1_117 Depth=1
	s_wait_xcnt 0x0
	s_add_nc_u64 s[0:1], s[12:13], 8
                                        ; implicit-def: $vgpr22_vgpr23
	s_mov_b32 s17, 0
.LBB1_158:                              ;   in Loop: Header=BB1_117 Depth=1
	global_load_b64 v[22:23], v11, s[12:13]
	s_add_co_i32 s17, s16, -8
.LBB1_159:                              ;   in Loop: Header=BB1_117 Depth=1
	s_delay_alu instid0(SALU_CYCLE_1)
	s_cmp_gt_u32 s17, 7
	s_cbranch_scc1 .LBB1_164
; %bb.160:                              ;   in Loop: Header=BB1_117 Depth=1
	v_mov_b64_e32 v[24:25], 0
	s_cmp_eq_u32 s17, 0
	s_cbranch_scc1 .LBB1_163
; %bb.161:                              ;   in Loop: Header=BB1_117 Depth=1
	s_wait_xcnt 0x0
	s_mov_b64 s[12:13], 0
	s_mov_b64 s[14:15], s[0:1]
.LBB1_162:                              ;   Parent Loop BB1_117 Depth=1
                                        ; =>  This Inner Loop Header: Depth=2
	global_load_u8 v3, v11, s[14:15]
	s_add_co_i32 s17, s17, -1
	s_wait_xcnt 0x0
	s_add_nc_u64 s[14:15], s[14:15], 1
	s_cmp_lg_u32 s17, 0
	s_wait_loadcnt 0x0
	v_and_b32_e32 v10, 0xffff, v3
	s_delay_alu instid0(VALU_DEP_1) | instskip(SKIP_1) | instid1(VALU_DEP_1)
	v_lshlrev_b64_e32 v[26:27], s12, v[10:11]
	s_add_nc_u64 s[12:13], s[12:13], 8
	v_or_b32_e32 v24, v26, v24
	s_delay_alu instid0(VALU_DEP_2)
	v_or_b32_e32 v25, v27, v25
	s_cbranch_scc1 .LBB1_162
.LBB1_163:                              ;   in Loop: Header=BB1_117 Depth=1
	s_wait_xcnt 0x0
	s_cbranch_execz .LBB1_165
	s_branch .LBB1_166
.LBB1_164:                              ;   in Loop: Header=BB1_117 Depth=1
	s_wait_xcnt 0x0
.LBB1_165:                              ;   in Loop: Header=BB1_117 Depth=1
	global_load_b64 v[24:25], v11, s[0:1]
.LBB1_166:                              ;   in Loop: Header=BB1_117 Depth=1
	s_wait_xcnt 0x0
	v_readfirstlane_b32 s0, v48
	v_mov_b64_e32 v[32:33], 0
	s_delay_alu instid0(VALU_DEP_2)
	v_cmp_eq_u32_e64 s0, s0, v48
	s_and_saveexec_b32 s1, s0
	s_cbranch_execz .LBB1_172
; %bb.167:                              ;   in Loop: Header=BB1_117 Depth=1
	global_load_b64 v[28:29], v11, s[2:3] offset:24 scope:SCOPE_SYS
	s_wait_loadcnt 0x0
	global_inv scope:SCOPE_SYS
	s_clause 0x1
	global_load_b64 v[26:27], v11, s[2:3] offset:40
	global_load_b64 v[32:33], v11, s[2:3]
	s_mov_b32 s12, exec_lo
	s_wait_loadcnt 0x1
	v_and_b32_e32 v26, v26, v28
	v_and_b32_e32 v27, v27, v29
	s_delay_alu instid0(VALU_DEP_1) | instskip(SKIP_1) | instid1(VALU_DEP_1)
	v_mul_u64_e32 v[26:27], 24, v[26:27]
	s_wait_loadcnt 0x0
	v_add_nc_u64_e32 v[26:27], v[32:33], v[26:27]
	global_load_b64 v[26:27], v[26:27], off scope:SCOPE_SYS
	s_wait_xcnt 0x0
	s_wait_loadcnt 0x0
	global_atomic_cmpswap_b64 v[32:33], v11, v[26:29], s[2:3] offset:24 th:TH_ATOMIC_RETURN scope:SCOPE_SYS
	s_wait_loadcnt 0x0
	global_inv scope:SCOPE_SYS
	s_wait_xcnt 0x0
	v_cmpx_ne_u64_e64 v[32:33], v[28:29]
	s_cbranch_execz .LBB1_171
; %bb.168:                              ;   in Loop: Header=BB1_117 Depth=1
	s_mov_b32 s13, 0
.LBB1_169:                              ;   Parent Loop BB1_117 Depth=1
                                        ; =>  This Inner Loop Header: Depth=2
	s_sleep 1
	s_clause 0x1
	global_load_b64 v[26:27], v11, s[2:3] offset:40
	global_load_b64 v[34:35], v11, s[2:3]
	v_mov_b64_e32 v[28:29], v[32:33]
	s_wait_loadcnt 0x1
	s_delay_alu instid0(VALU_DEP_1) | instskip(SKIP_1) | instid1(VALU_DEP_1)
	v_and_b32_e32 v3, v26, v28
	s_wait_loadcnt 0x0
	v_mad_nc_u64_u32 v[32:33], v3, 24, v[34:35]
	s_delay_alu instid0(VALU_DEP_3) | instskip(NEXT) | instid1(VALU_DEP_1)
	v_and_b32_e32 v3, v27, v29
	v_mad_u32 v33, v3, 24, v33
	global_load_b64 v[26:27], v[32:33], off scope:SCOPE_SYS
	s_wait_xcnt 0x0
	s_wait_loadcnt 0x0
	global_atomic_cmpswap_b64 v[32:33], v11, v[26:29], s[2:3] offset:24 th:TH_ATOMIC_RETURN scope:SCOPE_SYS
	s_wait_loadcnt 0x0
	global_inv scope:SCOPE_SYS
	v_cmp_eq_u64_e32 vcc_lo, v[32:33], v[28:29]
	s_or_b32 s13, vcc_lo, s13
	s_wait_xcnt 0x0
	s_and_not1_b32 exec_lo, exec_lo, s13
	s_cbranch_execnz .LBB1_169
; %bb.170:                              ;   in Loop: Header=BB1_117 Depth=1
	s_or_b32 exec_lo, exec_lo, s13
.LBB1_171:                              ;   in Loop: Header=BB1_117 Depth=1
	s_delay_alu instid0(SALU_CYCLE_1)
	s_or_b32 exec_lo, exec_lo, s12
.LBB1_172:                              ;   in Loop: Header=BB1_117 Depth=1
	s_delay_alu instid0(SALU_CYCLE_1)
	s_or_b32 exec_lo, exec_lo, s1
	s_clause 0x1
	global_load_b64 v[34:35], v11, s[2:3] offset:40
	global_load_b128 v[26:29], v11, s[2:3]
	v_readfirstlane_b32 s12, v32
	v_readfirstlane_b32 s13, v33
	s_mov_b32 s1, exec_lo
	s_wait_loadcnt 0x1
	v_and_b32_e32 v34, s12, v34
	v_and_b32_e32 v35, s13, v35
	s_delay_alu instid0(VALU_DEP_1) | instskip(SKIP_1) | instid1(VALU_DEP_1)
	v_mul_u64_e32 v[32:33], 24, v[34:35]
	s_wait_loadcnt 0x0
	v_add_nc_u64_e32 v[32:33], v[26:27], v[32:33]
	s_wait_xcnt 0x0
	s_and_saveexec_b32 s14, s0
	s_cbranch_execz .LBB1_174
; %bb.173:                              ;   in Loop: Header=BB1_117 Depth=1
	v_mov_b32_e32 v10, s1
	global_store_b128 v[32:33], v[10:13], off offset:8
.LBB1_174:                              ;   in Loop: Header=BB1_117 Depth=1
	s_wait_xcnt 0x0
	s_or_b32 exec_lo, exec_lo, s14
	v_cmp_lt_u64_e64 vcc_lo, s[6:7], 57
	v_lshlrev_b64_e32 v[34:35], 12, v[34:35]
	v_and_b32_e32 v6, 0xffffff1f, v6
	s_lshl_b32 s1, s10, 2
	s_delay_alu instid0(SALU_CYCLE_1) | instskip(SKIP_1) | instid1(VALU_DEP_3)
	s_add_co_i32 s1, s1, 28
	v_cndmask_b32_e32 v3, 0, v2, vcc_lo
	v_add_nc_u64_e32 v[28:29], v[28:29], v[34:35]
	s_delay_alu instid0(VALU_DEP_2) | instskip(NEXT) | instid1(VALU_DEP_2)
	v_or_b32_e32 v3, v6, v3
	v_readfirstlane_b32 s14, v28
	s_delay_alu instid0(VALU_DEP_3) | instskip(NEXT) | instid1(VALU_DEP_3)
	v_readfirstlane_b32 s15, v29
	v_and_or_b32 v6, 0x1e0, s1, v3
	s_clause 0x3
	global_store_b128 v30, v[6:9], s[14:15]
	global_store_b128 v30, v[14:17], s[14:15] offset:16
	global_store_b128 v30, v[18:21], s[14:15] offset:32
	;; [unrolled: 1-line block ×3, first 2 shown]
	s_wait_xcnt 0x0
	s_and_saveexec_b32 s1, s0
	s_cbranch_execz .LBB1_182
; %bb.175:                              ;   in Loop: Header=BB1_117 Depth=1
	s_clause 0x1
	global_load_b64 v[18:19], v11, s[2:3] offset:32 scope:SCOPE_SYS
	global_load_b64 v[6:7], v11, s[2:3] offset:40
	s_mov_b32 s14, exec_lo
	v_dual_mov_b32 v16, s12 :: v_dual_mov_b32 v17, s13
	s_wait_loadcnt 0x0
	v_and_b32_e32 v7, s13, v7
	v_and_b32_e32 v6, s12, v6
	s_delay_alu instid0(VALU_DEP_1) | instskip(NEXT) | instid1(VALU_DEP_1)
	v_mul_u64_e32 v[6:7], 24, v[6:7]
	v_add_nc_u64_e32 v[14:15], v[26:27], v[6:7]
	global_store_b64 v[14:15], v[18:19], off
	global_wb scope:SCOPE_SYS
	s_wait_storecnt 0x0
	s_wait_xcnt 0x0
	global_atomic_cmpswap_b64 v[8:9], v11, v[16:19], s[2:3] offset:32 th:TH_ATOMIC_RETURN scope:SCOPE_SYS
	s_wait_loadcnt 0x0
	v_cmpx_ne_u64_e64 v[8:9], v[18:19]
	s_cbranch_execz .LBB1_178
; %bb.176:                              ;   in Loop: Header=BB1_117 Depth=1
	s_mov_b32 s15, 0
.LBB1_177:                              ;   Parent Loop BB1_117 Depth=1
                                        ; =>  This Inner Loop Header: Depth=2
	v_dual_mov_b32 v6, s12 :: v_dual_mov_b32 v7, s13
	s_sleep 1
	global_store_b64 v[14:15], v[8:9], off
	global_wb scope:SCOPE_SYS
	s_wait_storecnt 0x0
	s_wait_xcnt 0x0
	global_atomic_cmpswap_b64 v[6:7], v11, v[6:9], s[2:3] offset:32 th:TH_ATOMIC_RETURN scope:SCOPE_SYS
	s_wait_loadcnt 0x0
	v_cmp_eq_u64_e32 vcc_lo, v[6:7], v[8:9]
	v_mov_b64_e32 v[8:9], v[6:7]
	s_or_b32 s15, vcc_lo, s15
	s_delay_alu instid0(SALU_CYCLE_1)
	s_and_not1_b32 exec_lo, exec_lo, s15
	s_cbranch_execnz .LBB1_177
.LBB1_178:                              ;   in Loop: Header=BB1_117 Depth=1
	s_or_b32 exec_lo, exec_lo, s14
	global_load_b64 v[6:7], v11, s[2:3] offset:16
	s_mov_b32 s15, exec_lo
	s_mov_b32 s14, exec_lo
	v_mbcnt_lo_u32_b32 v3, s15, 0
	s_wait_xcnt 0x0
	s_delay_alu instid0(VALU_DEP_1)
	v_cmpx_eq_u32_e32 0, v3
	s_cbranch_execz .LBB1_180
; %bb.179:                              ;   in Loop: Header=BB1_117 Depth=1
	s_bcnt1_i32_b32 s15, s15
	s_delay_alu instid0(SALU_CYCLE_1)
	v_mov_b32_e32 v10, s15
	global_wb scope:SCOPE_SYS
	s_wait_loadcnt 0x0
	s_wait_storecnt 0x0
	global_atomic_add_u64 v[6:7], v[10:11], off offset:8 scope:SCOPE_SYS
.LBB1_180:                              ;   in Loop: Header=BB1_117 Depth=1
	s_wait_xcnt 0x0
	s_or_b32 exec_lo, exec_lo, s14
	s_wait_loadcnt 0x0
	global_load_b64 v[8:9], v[6:7], off offset:16
	s_wait_loadcnt 0x0
	v_cmp_eq_u64_e32 vcc_lo, 0, v[8:9]
	s_cbranch_vccnz .LBB1_182
; %bb.181:                              ;   in Loop: Header=BB1_117 Depth=1
	global_load_b32 v10, v[6:7], off offset:24
	s_wait_loadcnt 0x0
	v_readfirstlane_b32 s14, v10
	global_wb scope:SCOPE_SYS
	s_wait_storecnt 0x0
	s_wait_xcnt 0x0
	global_store_b64 v[8:9], v[10:11], off scope:SCOPE_SYS
	s_and_b32 m0, s14, 0xffffff
	s_sendmsg sendmsg(MSG_INTERRUPT)
.LBB1_182:                              ;   in Loop: Header=BB1_117 Depth=1
	s_wait_xcnt 0x0
	s_or_b32 exec_lo, exec_lo, s1
	v_mov_b32_e32 v31, v11
	s_delay_alu instid0(VALU_DEP_1)
	v_add_nc_u64_e32 v[6:7], v[28:29], v[30:31]
	s_branch .LBB1_186
.LBB1_183:                              ;   in Loop: Header=BB1_186 Depth=2
	s_wait_xcnt 0x0
	s_or_b32 exec_lo, exec_lo, s1
	s_delay_alu instid0(VALU_DEP_1)
	v_readfirstlane_b32 s1, v3
	s_cmp_eq_u32 s1, 0
	s_cbranch_scc1 .LBB1_185
; %bb.184:                              ;   in Loop: Header=BB1_186 Depth=2
	s_sleep 1
	s_cbranch_execnz .LBB1_186
	s_branch .LBB1_188
.LBB1_185:                              ;   in Loop: Header=BB1_117 Depth=1
	s_branch .LBB1_188
.LBB1_186:                              ;   Parent Loop BB1_117 Depth=1
                                        ; =>  This Inner Loop Header: Depth=2
	v_mov_b32_e32 v3, 1
	s_and_saveexec_b32 s1, s0
	s_cbranch_execz .LBB1_183
; %bb.187:                              ;   in Loop: Header=BB1_186 Depth=2
	global_load_b32 v3, v[32:33], off offset:20 scope:SCOPE_SYS
	s_wait_loadcnt 0x0
	global_inv scope:SCOPE_SYS
	v_and_b32_e32 v3, 1, v3
	s_branch .LBB1_183
.LBB1_188:                              ;   in Loop: Header=BB1_117 Depth=1
	global_load_b64 v[6:7], v[6:7], off
	s_wait_xcnt 0x0
	s_and_saveexec_b32 s14, s0
	s_cbranch_execz .LBB1_116
; %bb.189:                              ;   in Loop: Header=BB1_117 Depth=1
	s_clause 0x2
	global_load_b64 v[8:9], v11, s[2:3] offset:40
	global_load_b64 v[18:19], v11, s[2:3] offset:24 scope:SCOPE_SYS
	global_load_b64 v[14:15], v11, s[2:3]
	s_wait_loadcnt 0x2
	v_readfirstlane_b32 s16, v8
	v_readfirstlane_b32 s17, v9
	s_add_nc_u64 s[0:1], s[16:17], 1
	s_delay_alu instid0(SALU_CYCLE_1) | instskip(NEXT) | instid1(SALU_CYCLE_1)
	s_add_nc_u64 s[12:13], s[0:1], s[12:13]
	s_cmp_eq_u64 s[12:13], 0
	s_cselect_b32 s1, s1, s13
	s_cselect_b32 s0, s0, s12
	s_delay_alu instid0(SALU_CYCLE_1) | instskip(SKIP_1) | instid1(SALU_CYCLE_1)
	v_dual_mov_b32 v17, s1 :: v_dual_mov_b32 v16, s0
	s_and_b64 s[12:13], s[0:1], s[16:17]
	s_mul_u64 s[12:13], s[12:13], 24
	s_wait_loadcnt 0x0
	v_add_nc_u64_e32 v[8:9], s[12:13], v[14:15]
	global_store_b64 v[8:9], v[18:19], off
	global_wb scope:SCOPE_SYS
	s_wait_storecnt 0x0
	s_wait_xcnt 0x0
	global_atomic_cmpswap_b64 v[16:17], v11, v[16:19], s[2:3] offset:24 th:TH_ATOMIC_RETURN scope:SCOPE_SYS
	s_wait_loadcnt 0x0
	v_cmp_ne_u64_e32 vcc_lo, v[16:17], v[18:19]
	s_and_b32 exec_lo, exec_lo, vcc_lo
	s_cbranch_execz .LBB1_116
; %bb.190:                              ;   in Loop: Header=BB1_117 Depth=1
	s_mov_b32 s12, 0
.LBB1_191:                              ;   Parent Loop BB1_117 Depth=1
                                        ; =>  This Inner Loop Header: Depth=2
	v_dual_mov_b32 v14, s0 :: v_dual_mov_b32 v15, s1
	s_sleep 1
	global_store_b64 v[8:9], v[16:17], off
	global_wb scope:SCOPE_SYS
	s_wait_storecnt 0x0
	s_wait_xcnt 0x0
	global_atomic_cmpswap_b64 v[14:15], v11, v[14:17], s[2:3] offset:24 th:TH_ATOMIC_RETURN scope:SCOPE_SYS
	s_wait_loadcnt 0x0
	v_cmp_eq_u64_e32 vcc_lo, v[14:15], v[16:17]
	v_mov_b64_e32 v[16:17], v[14:15]
	s_or_b32 s12, vcc_lo, s12
	s_delay_alu instid0(SALU_CYCLE_1)
	s_and_not1_b32 exec_lo, exec_lo, s12
	s_cbranch_execnz .LBB1_191
	s_branch .LBB1_116
.LBB1_192:
	s_or_b32 exec_lo, exec_lo, s6
	s_branch .LBB1_114
.LBB1_193:
	v_readfirstlane_b32 s0, v48
	v_mov_b64_e32 v[8:9], 0
	s_delay_alu instid0(VALU_DEP_2)
	v_cmp_eq_u32_e64 s0, s0, v48
	s_and_saveexec_b32 s1, s0
	s_cbranch_execz .LBB1_199
; %bb.194:
	s_wait_loadcnt 0x0
	v_mov_b32_e32 v0, 0
	s_mov_b32 s4, exec_lo
	global_load_b64 v[10:11], v0, s[2:3] offset:24 scope:SCOPE_SYS
	s_wait_loadcnt 0x0
	global_inv scope:SCOPE_SYS
	s_clause 0x1
	global_load_b64 v[2:3], v0, s[2:3] offset:40
	global_load_b64 v[8:9], v0, s[2:3]
	s_wait_loadcnt 0x1
	v_and_b32_e32 v2, v2, v10
	v_and_b32_e32 v3, v3, v11
	s_delay_alu instid0(VALU_DEP_1) | instskip(SKIP_1) | instid1(VALU_DEP_1)
	v_mul_u64_e32 v[2:3], 24, v[2:3]
	s_wait_loadcnt 0x0
	v_add_nc_u64_e32 v[2:3], v[8:9], v[2:3]
	global_load_b64 v[8:9], v[2:3], off scope:SCOPE_SYS
	s_wait_xcnt 0x0
	s_wait_loadcnt 0x0
	global_atomic_cmpswap_b64 v[8:9], v0, v[8:11], s[2:3] offset:24 th:TH_ATOMIC_RETURN scope:SCOPE_SYS
	s_wait_loadcnt 0x0
	global_inv scope:SCOPE_SYS
	s_wait_xcnt 0x0
	v_cmpx_ne_u64_e64 v[8:9], v[10:11]
	s_cbranch_execz .LBB1_198
; %bb.195:
	s_mov_b32 s5, 0
.LBB1_196:                              ; =>This Inner Loop Header: Depth=1
	s_sleep 1
	s_clause 0x1
	global_load_b64 v[2:3], v0, s[2:3] offset:40
	global_load_b64 v[12:13], v0, s[2:3]
	v_mov_b64_e32 v[10:11], v[8:9]
	s_wait_loadcnt 0x1
	s_delay_alu instid0(VALU_DEP_1) | instskip(SKIP_1) | instid1(VALU_DEP_1)
	v_and_b32_e32 v1, v2, v10
	s_wait_loadcnt 0x0
	v_mad_nc_u64_u32 v[8:9], v1, 24, v[12:13]
	s_delay_alu instid0(VALU_DEP_3) | instskip(NEXT) | instid1(VALU_DEP_1)
	v_and_b32_e32 v1, v3, v11
	v_mad_u32 v9, v1, 24, v9
	global_load_b64 v[8:9], v[8:9], off scope:SCOPE_SYS
	s_wait_xcnt 0x0
	s_wait_loadcnt 0x0
	global_atomic_cmpswap_b64 v[8:9], v0, v[8:11], s[2:3] offset:24 th:TH_ATOMIC_RETURN scope:SCOPE_SYS
	s_wait_loadcnt 0x0
	global_inv scope:SCOPE_SYS
	v_cmp_eq_u64_e32 vcc_lo, v[8:9], v[10:11]
	s_or_b32 s5, vcc_lo, s5
	s_wait_xcnt 0x0
	s_and_not1_b32 exec_lo, exec_lo, s5
	s_cbranch_execnz .LBB1_196
; %bb.197:
	s_or_b32 exec_lo, exec_lo, s5
.LBB1_198:
	s_delay_alu instid0(SALU_CYCLE_1)
	s_or_b32 exec_lo, exec_lo, s4
.LBB1_199:
	s_delay_alu instid0(SALU_CYCLE_1)
	s_or_b32 exec_lo, exec_lo, s1
	v_readfirstlane_b32 s4, v8
	v_mov_b32_e32 v31, 0
	v_readfirstlane_b32 s5, v9
	s_mov_b32 s1, exec_lo
	global_load_b64 v[10:11], v31, s[2:3] offset:40
	s_wait_loadcnt 0x1
	global_load_b128 v[0:3], v31, s[2:3]
	s_wait_loadcnt 0x1
	v_and_b32_e32 v8, s4, v10
	v_and_b32_e32 v9, s5, v11
	s_delay_alu instid0(VALU_DEP_1) | instskip(SKIP_1) | instid1(VALU_DEP_1)
	v_mul_u64_e32 v[10:11], 24, v[8:9]
	s_wait_loadcnt 0x0
	v_add_nc_u64_e32 v[10:11], v[0:1], v[10:11]
	s_wait_xcnt 0x0
	s_and_saveexec_b32 s6, s0
	s_cbranch_execz .LBB1_201
; %bb.200:
	v_mov_b64_e32 v[14:15], 0x100000002
	v_dual_mov_b32 v12, s1 :: v_dual_mov_b32 v13, v31
	global_store_b128 v[10:11], v[12:15], off offset:8
.LBB1_201:
	s_wait_xcnt 0x0
	s_or_b32 exec_lo, exec_lo, s6
	v_lshlrev_b64_e32 v[8:9], 12, v[8:9]
	s_mov_b32 s12, 0
	v_and_or_b32 v6, 0xffffff1f, v6, 32
	s_mov_b32 s14, s12
	s_mov_b32 s15, s12
	;; [unrolled: 1-line block ×3, first 2 shown]
	v_mov_b64_e32 v[16:17], s[14:15]
	v_add_nc_u64_e32 v[12:13], v[2:3], v[8:9]
	v_mov_b64_e32 v[14:15], s[12:13]
	v_dual_mov_b32 v8, v31 :: v_dual_mov_b32 v9, v31
	s_delay_alu instid0(VALU_DEP_3) | instskip(NEXT) | instid1(VALU_DEP_4)
	v_readfirstlane_b32 s6, v12
	v_readfirstlane_b32 s7, v13
	s_clause 0x3
	global_store_b128 v30, v[6:9], s[6:7]
	global_store_b128 v30, v[14:17], s[6:7] offset:16
	global_store_b128 v30, v[14:17], s[6:7] offset:32
	;; [unrolled: 1-line block ×3, first 2 shown]
	s_wait_xcnt 0x0
	s_and_saveexec_b32 s1, s0
	s_cbranch_execz .LBB1_209
; %bb.202:
	v_dual_mov_b32 v8, 0 :: v_dual_mov_b32 v15, s5
	s_mov_b32 s6, exec_lo
	s_clause 0x1
	global_load_b64 v[16:17], v8, s[2:3] offset:32 scope:SCOPE_SYS
	global_load_b64 v[2:3], v8, s[2:3] offset:40
	s_wait_loadcnt 0x0
	v_dual_mov_b32 v14, s4 :: v_dual_bitop2_b32 v3, s5, v3 bitop3:0x40
	v_and_b32_e32 v2, s4, v2
	s_delay_alu instid0(VALU_DEP_1) | instskip(NEXT) | instid1(VALU_DEP_1)
	v_mul_u64_e32 v[2:3], 24, v[2:3]
	v_add_nc_u64_e32 v[6:7], v[0:1], v[2:3]
	global_store_b64 v[6:7], v[16:17], off
	global_wb scope:SCOPE_SYS
	s_wait_storecnt 0x0
	s_wait_xcnt 0x0
	global_atomic_cmpswap_b64 v[2:3], v8, v[14:17], s[2:3] offset:32 th:TH_ATOMIC_RETURN scope:SCOPE_SYS
	s_wait_loadcnt 0x0
	v_cmpx_ne_u64_e64 v[2:3], v[16:17]
	s_cbranch_execz .LBB1_205
; %bb.203:
	s_mov_b32 s7, 0
.LBB1_204:                              ; =>This Inner Loop Header: Depth=1
	v_dual_mov_b32 v0, s4 :: v_dual_mov_b32 v1, s5
	s_sleep 1
	global_store_b64 v[6:7], v[2:3], off
	global_wb scope:SCOPE_SYS
	s_wait_storecnt 0x0
	s_wait_xcnt 0x0
	global_atomic_cmpswap_b64 v[0:1], v8, v[0:3], s[2:3] offset:32 th:TH_ATOMIC_RETURN scope:SCOPE_SYS
	s_wait_loadcnt 0x0
	v_cmp_eq_u64_e32 vcc_lo, v[0:1], v[2:3]
	v_mov_b64_e32 v[2:3], v[0:1]
	s_or_b32 s7, vcc_lo, s7
	s_delay_alu instid0(SALU_CYCLE_1)
	s_and_not1_b32 exec_lo, exec_lo, s7
	s_cbranch_execnz .LBB1_204
.LBB1_205:
	s_or_b32 exec_lo, exec_lo, s6
	v_mov_b32_e32 v3, 0
	s_mov_b32 s7, exec_lo
	s_mov_b32 s6, exec_lo
	v_mbcnt_lo_u32_b32 v2, s7, 0
	global_load_b64 v[0:1], v3, s[2:3] offset:16
	s_wait_xcnt 0x0
	v_cmpx_eq_u32_e32 0, v2
	s_cbranch_execz .LBB1_207
; %bb.206:
	s_bcnt1_i32_b32 s7, s7
	s_delay_alu instid0(SALU_CYCLE_1)
	v_mov_b32_e32 v2, s7
	global_wb scope:SCOPE_SYS
	s_wait_loadcnt 0x0
	s_wait_storecnt 0x0
	global_atomic_add_u64 v[0:1], v[2:3], off offset:8 scope:SCOPE_SYS
.LBB1_207:
	s_wait_xcnt 0x0
	s_or_b32 exec_lo, exec_lo, s6
	s_wait_loadcnt 0x0
	global_load_b64 v[2:3], v[0:1], off offset:16
	s_wait_loadcnt 0x0
	v_cmp_eq_u64_e32 vcc_lo, 0, v[2:3]
	s_cbranch_vccnz .LBB1_209
; %bb.208:
	global_load_b32 v0, v[0:1], off offset:24
	s_wait_xcnt 0x0
	v_mov_b32_e32 v1, 0
	s_wait_loadcnt 0x0
	v_readfirstlane_b32 s6, v0
	global_wb scope:SCOPE_SYS
	s_wait_storecnt 0x0
	global_store_b64 v[2:3], v[0:1], off scope:SCOPE_SYS
	s_and_b32 m0, s6, 0xffffff
	s_sendmsg sendmsg(MSG_INTERRUPT)
.LBB1_209:
	s_wait_xcnt 0x0
	s_or_b32 exec_lo, exec_lo, s1
	v_add_nc_u64_e32 v[0:1], v[12:13], v[30:31]
	s_branch .LBB1_213
.LBB1_210:                              ;   in Loop: Header=BB1_213 Depth=1
	s_wait_xcnt 0x0
	s_or_b32 exec_lo, exec_lo, s1
	s_delay_alu instid0(VALU_DEP_1)
	v_readfirstlane_b32 s1, v2
	s_cmp_eq_u32 s1, 0
	s_cbranch_scc1 .LBB1_212
; %bb.211:                              ;   in Loop: Header=BB1_213 Depth=1
	s_sleep 1
	s_cbranch_execnz .LBB1_213
	s_branch .LBB1_216
.LBB1_212:
	s_branch .LBB1_216
.LBB1_213:                              ; =>This Inner Loop Header: Depth=1
	v_mov_b32_e32 v2, 1
	s_and_saveexec_b32 s1, s0
	s_cbranch_execz .LBB1_210
; %bb.214:                              ;   in Loop: Header=BB1_213 Depth=1
	global_load_b32 v2, v[10:11], off offset:20 scope:SCOPE_SYS
	s_wait_loadcnt 0x0
	global_inv scope:SCOPE_SYS
	v_and_b32_e32 v2, 1, v2
	s_branch .LBB1_210
.LBB1_215:
	s_branch .LBB1_249
.LBB1_216:
	global_load_b64 v[0:1], v[0:1], off
	s_wait_xcnt 0x0
	s_and_saveexec_b32 s6, s0
	s_cbranch_execz .LBB1_220
; %bb.217:
	v_mov_b32_e32 v10, 0
	s_clause 0x2
	global_load_b64 v[2:3], v10, s[2:3] offset:40
	global_load_b64 v[14:15], v10, s[2:3] offset:24 scope:SCOPE_SYS
	global_load_b64 v[6:7], v10, s[2:3]
	s_wait_loadcnt 0x2
	v_readfirstlane_b32 s10, v2
	v_readfirstlane_b32 s11, v3
	s_add_nc_u64 s[0:1], s[10:11], 1
	s_delay_alu instid0(SALU_CYCLE_1) | instskip(NEXT) | instid1(SALU_CYCLE_1)
	s_add_nc_u64 s[4:5], s[0:1], s[4:5]
	s_cmp_eq_u64 s[4:5], 0
	s_cselect_b32 s1, s1, s5
	s_cselect_b32 s0, s0, s4
	v_mov_b32_e32 v13, s1
	s_and_b64 s[4:5], s[0:1], s[10:11]
	v_mov_b32_e32 v12, s0
	s_mul_u64 s[4:5], s[4:5], 24
	s_wait_loadcnt 0x0
	v_add_nc_u64_e32 v[2:3], s[4:5], v[6:7]
	global_store_b64 v[2:3], v[14:15], off
	global_wb scope:SCOPE_SYS
	s_wait_storecnt 0x0
	s_wait_xcnt 0x0
	global_atomic_cmpswap_b64 v[8:9], v10, v[12:15], s[2:3] offset:24 th:TH_ATOMIC_RETURN scope:SCOPE_SYS
	s_wait_loadcnt 0x0
	v_cmp_ne_u64_e32 vcc_lo, v[8:9], v[14:15]
	s_and_b32 exec_lo, exec_lo, vcc_lo
	s_cbranch_execz .LBB1_220
; %bb.218:
	s_mov_b32 s4, 0
.LBB1_219:                              ; =>This Inner Loop Header: Depth=1
	v_dual_mov_b32 v6, s0 :: v_dual_mov_b32 v7, s1
	s_sleep 1
	global_store_b64 v[2:3], v[8:9], off
	global_wb scope:SCOPE_SYS
	s_wait_storecnt 0x0
	s_wait_xcnt 0x0
	global_atomic_cmpswap_b64 v[6:7], v10, v[6:9], s[2:3] offset:24 th:TH_ATOMIC_RETURN scope:SCOPE_SYS
	s_wait_loadcnt 0x0
	v_cmp_eq_u64_e32 vcc_lo, v[6:7], v[8:9]
	v_mov_b64_e32 v[8:9], v[6:7]
	s_or_b32 s4, vcc_lo, s4
	s_delay_alu instid0(SALU_CYCLE_1)
	s_and_not1_b32 exec_lo, exec_lo, s4
	s_cbranch_execnz .LBB1_219
.LBB1_220:
	s_or_b32 exec_lo, exec_lo, s6
	s_get_pc_i64 s[4:5]
	s_add_nc_u64 s[4:5], s[4:5], .str.4@rel64+4
	s_delay_alu instid0(SALU_CYCLE_1)
	s_cmp_lg_u64 s[4:5], 0
	s_cbranch_scc1 .LBB1_115
.LBB1_221:
                                        ; implicit-def: $vgpr6_vgpr7
	s_cbranch_execz .LBB1_249
; %bb.222:
	v_readfirstlane_b32 s0, v48
	v_mov_b64_e32 v[2:3], 0
	s_delay_alu instid0(VALU_DEP_2)
	v_cmp_eq_u32_e64 s0, s0, v48
	s_and_saveexec_b32 s1, s0
	s_cbranch_execz .LBB1_228
; %bb.223:
	s_wait_loadcnt 0x0
	v_mov_b32_e32 v6, 0
	s_mov_b32 s4, exec_lo
	global_load_b64 v[10:11], v6, s[2:3] offset:24 scope:SCOPE_SYS
	s_wait_loadcnt 0x0
	global_inv scope:SCOPE_SYS
	s_clause 0x1
	global_load_b64 v[2:3], v6, s[2:3] offset:40
	global_load_b64 v[8:9], v6, s[2:3]
	s_wait_loadcnt 0x1
	v_and_b32_e32 v2, v2, v10
	v_and_b32_e32 v3, v3, v11
	s_delay_alu instid0(VALU_DEP_1) | instskip(SKIP_1) | instid1(VALU_DEP_1)
	v_mul_u64_e32 v[2:3], 24, v[2:3]
	s_wait_loadcnt 0x0
	v_add_nc_u64_e32 v[2:3], v[8:9], v[2:3]
	global_load_b64 v[8:9], v[2:3], off scope:SCOPE_SYS
	s_wait_xcnt 0x0
	s_wait_loadcnt 0x0
	global_atomic_cmpswap_b64 v[2:3], v6, v[8:11], s[2:3] offset:24 th:TH_ATOMIC_RETURN scope:SCOPE_SYS
	s_wait_loadcnt 0x0
	global_inv scope:SCOPE_SYS
	s_wait_xcnt 0x0
	v_cmpx_ne_u64_e64 v[2:3], v[10:11]
	s_cbranch_execz .LBB1_227
; %bb.224:
	s_mov_b32 s5, 0
.LBB1_225:                              ; =>This Inner Loop Header: Depth=1
	s_sleep 1
	s_clause 0x1
	global_load_b64 v[8:9], v6, s[2:3] offset:40
	global_load_b64 v[12:13], v6, s[2:3]
	v_mov_b64_e32 v[10:11], v[2:3]
	s_wait_loadcnt 0x1
	s_delay_alu instid0(VALU_DEP_1) | instskip(NEXT) | instid1(VALU_DEP_2)
	v_and_b32_e32 v2, v8, v10
	v_and_b32_e32 v7, v9, v11
	s_wait_loadcnt 0x0
	s_delay_alu instid0(VALU_DEP_2) | instskip(NEXT) | instid1(VALU_DEP_1)
	v_mad_nc_u64_u32 v[2:3], v2, 24, v[12:13]
	v_mad_u32 v3, v7, 24, v3
	global_load_b64 v[8:9], v[2:3], off scope:SCOPE_SYS
	s_wait_xcnt 0x0
	s_wait_loadcnt 0x0
	global_atomic_cmpswap_b64 v[2:3], v6, v[8:11], s[2:3] offset:24 th:TH_ATOMIC_RETURN scope:SCOPE_SYS
	s_wait_loadcnt 0x0
	global_inv scope:SCOPE_SYS
	v_cmp_eq_u64_e32 vcc_lo, v[2:3], v[10:11]
	s_or_b32 s5, vcc_lo, s5
	s_wait_xcnt 0x0
	s_and_not1_b32 exec_lo, exec_lo, s5
	s_cbranch_execnz .LBB1_225
; %bb.226:
	s_or_b32 exec_lo, exec_lo, s5
.LBB1_227:
	s_delay_alu instid0(SALU_CYCLE_1)
	s_or_b32 exec_lo, exec_lo, s4
.LBB1_228:
	s_delay_alu instid0(SALU_CYCLE_1)
	s_or_b32 exec_lo, exec_lo, s1
	v_readfirstlane_b32 s4, v2
	v_mov_b32_e32 v31, 0
	v_readfirstlane_b32 s5, v3
	s_mov_b32 s1, exec_lo
	global_load_b64 v[10:11], v31, s[2:3] offset:40
	s_wait_loadcnt 0x1
	global_load_b128 v[6:9], v31, s[2:3]
	s_wait_loadcnt 0x1
	v_and_b32_e32 v2, s4, v10
	v_and_b32_e32 v3, s5, v11
	s_delay_alu instid0(VALU_DEP_1) | instskip(SKIP_1) | instid1(VALU_DEP_1)
	v_mul_u64_e32 v[10:11], 24, v[2:3]
	s_wait_loadcnt 0x0
	v_add_nc_u64_e32 v[10:11], v[6:7], v[10:11]
	s_wait_xcnt 0x0
	s_and_saveexec_b32 s6, s0
	s_cbranch_execz .LBB1_230
; %bb.229:
	v_mov_b64_e32 v[14:15], 0x100000002
	v_dual_mov_b32 v12, s1 :: v_dual_mov_b32 v13, v31
	global_store_b128 v[10:11], v[12:15], off offset:8
.LBB1_230:
	s_wait_xcnt 0x0
	s_or_b32 exec_lo, exec_lo, s6
	v_lshlrev_b64_e32 v[2:3], 12, v[2:3]
	s_mov_b32 s12, 0
	v_and_or_b32 v0, 0xffffff1f, v0, 32
	s_mov_b32 s13, s12
	s_mov_b32 s14, s12
	;; [unrolled: 1-line block ×3, first 2 shown]
	v_mov_b64_e32 v[12:13], s[12:13]
	v_add_nc_u64_e32 v[8:9], v[8:9], v[2:3]
	v_mov_b64_e32 v[14:15], s[14:15]
	v_dual_mov_b32 v2, v31 :: v_dual_mov_b32 v3, v31
	s_delay_alu instid0(VALU_DEP_3) | instskip(NEXT) | instid1(VALU_DEP_4)
	v_readfirstlane_b32 s6, v8
	v_readfirstlane_b32 s7, v9
	s_clause 0x3
	global_store_b128 v30, v[0:3], s[6:7]
	global_store_b128 v30, v[12:15], s[6:7] offset:16
	global_store_b128 v30, v[12:15], s[6:7] offset:32
	;; [unrolled: 1-line block ×3, first 2 shown]
	s_wait_xcnt 0x0
	s_and_saveexec_b32 s1, s0
	s_cbranch_execz .LBB1_238
; %bb.231:
	v_dual_mov_b32 v12, 0 :: v_dual_mov_b32 v15, s5
	s_mov_b32 s6, exec_lo
	s_clause 0x1
	global_load_b64 v[16:17], v12, s[2:3] offset:32 scope:SCOPE_SYS
	global_load_b64 v[0:1], v12, s[2:3] offset:40
	s_wait_loadcnt 0x0
	v_dual_mov_b32 v14, s4 :: v_dual_bitop2_b32 v1, s5, v1 bitop3:0x40
	v_and_b32_e32 v0, s4, v0
	s_delay_alu instid0(VALU_DEP_1) | instskip(NEXT) | instid1(VALU_DEP_1)
	v_mul_u64_e32 v[0:1], 24, v[0:1]
	v_add_nc_u64_e32 v[6:7], v[6:7], v[0:1]
	global_store_b64 v[6:7], v[16:17], off
	global_wb scope:SCOPE_SYS
	s_wait_storecnt 0x0
	s_wait_xcnt 0x0
	global_atomic_cmpswap_b64 v[2:3], v12, v[14:17], s[2:3] offset:32 th:TH_ATOMIC_RETURN scope:SCOPE_SYS
	s_wait_loadcnt 0x0
	v_cmpx_ne_u64_e64 v[2:3], v[16:17]
	s_cbranch_execz .LBB1_234
; %bb.232:
	s_mov_b32 s7, 0
.LBB1_233:                              ; =>This Inner Loop Header: Depth=1
	v_dual_mov_b32 v0, s4 :: v_dual_mov_b32 v1, s5
	s_sleep 1
	global_store_b64 v[6:7], v[2:3], off
	global_wb scope:SCOPE_SYS
	s_wait_storecnt 0x0
	s_wait_xcnt 0x0
	global_atomic_cmpswap_b64 v[0:1], v12, v[0:3], s[2:3] offset:32 th:TH_ATOMIC_RETURN scope:SCOPE_SYS
	s_wait_loadcnt 0x0
	v_cmp_eq_u64_e32 vcc_lo, v[0:1], v[2:3]
	v_mov_b64_e32 v[2:3], v[0:1]
	s_or_b32 s7, vcc_lo, s7
	s_delay_alu instid0(SALU_CYCLE_1)
	s_and_not1_b32 exec_lo, exec_lo, s7
	s_cbranch_execnz .LBB1_233
.LBB1_234:
	s_or_b32 exec_lo, exec_lo, s6
	v_mov_b32_e32 v3, 0
	s_mov_b32 s7, exec_lo
	s_mov_b32 s6, exec_lo
	v_mbcnt_lo_u32_b32 v2, s7, 0
	global_load_b64 v[0:1], v3, s[2:3] offset:16
	s_wait_xcnt 0x0
	v_cmpx_eq_u32_e32 0, v2
	s_cbranch_execz .LBB1_236
; %bb.235:
	s_bcnt1_i32_b32 s7, s7
	s_delay_alu instid0(SALU_CYCLE_1)
	v_mov_b32_e32 v2, s7
	global_wb scope:SCOPE_SYS
	s_wait_loadcnt 0x0
	s_wait_storecnt 0x0
	global_atomic_add_u64 v[0:1], v[2:3], off offset:8 scope:SCOPE_SYS
.LBB1_236:
	s_wait_xcnt 0x0
	s_or_b32 exec_lo, exec_lo, s6
	s_wait_loadcnt 0x0
	global_load_b64 v[2:3], v[0:1], off offset:16
	s_wait_loadcnt 0x0
	v_cmp_eq_u64_e32 vcc_lo, 0, v[2:3]
	s_cbranch_vccnz .LBB1_238
; %bb.237:
	global_load_b32 v0, v[0:1], off offset:24
	s_wait_xcnt 0x0
	v_mov_b32_e32 v1, 0
	s_wait_loadcnt 0x0
	v_readfirstlane_b32 s6, v0
	global_wb scope:SCOPE_SYS
	s_wait_storecnt 0x0
	global_store_b64 v[2:3], v[0:1], off scope:SCOPE_SYS
	s_and_b32 m0, s6, 0xffffff
	s_sendmsg sendmsg(MSG_INTERRUPT)
.LBB1_238:
	s_wait_xcnt 0x0
	s_or_b32 exec_lo, exec_lo, s1
	v_add_nc_u64_e32 v[0:1], v[8:9], v[30:31]
	s_branch .LBB1_242
.LBB1_239:                              ;   in Loop: Header=BB1_242 Depth=1
	s_wait_xcnt 0x0
	s_or_b32 exec_lo, exec_lo, s1
	s_delay_alu instid0(VALU_DEP_1)
	v_readfirstlane_b32 s1, v2
	s_cmp_eq_u32 s1, 0
	s_cbranch_scc1 .LBB1_241
; %bb.240:                              ;   in Loop: Header=BB1_242 Depth=1
	s_sleep 1
	s_cbranch_execnz .LBB1_242
	s_branch .LBB1_244
.LBB1_241:
	s_branch .LBB1_244
.LBB1_242:                              ; =>This Inner Loop Header: Depth=1
	v_mov_b32_e32 v2, 1
	s_and_saveexec_b32 s1, s0
	s_cbranch_execz .LBB1_239
; %bb.243:                              ;   in Loop: Header=BB1_242 Depth=1
	global_load_b32 v2, v[10:11], off offset:20 scope:SCOPE_SYS
	s_wait_loadcnt 0x0
	global_inv scope:SCOPE_SYS
	v_and_b32_e32 v2, 1, v2
	s_branch .LBB1_239
.LBB1_244:
	global_load_b64 v[6:7], v[0:1], off
	s_wait_xcnt 0x0
	s_and_saveexec_b32 s6, s0
	s_cbranch_execz .LBB1_248
; %bb.245:
	v_mov_b32_e32 v10, 0
	s_clause 0x2
	global_load_b64 v[0:1], v10, s[2:3] offset:40
	global_load_b64 v[14:15], v10, s[2:3] offset:24 scope:SCOPE_SYS
	global_load_b64 v[2:3], v10, s[2:3]
	s_wait_loadcnt 0x2
	v_readfirstlane_b32 s10, v0
	v_readfirstlane_b32 s11, v1
	s_add_nc_u64 s[0:1], s[10:11], 1
	s_delay_alu instid0(SALU_CYCLE_1) | instskip(NEXT) | instid1(SALU_CYCLE_1)
	s_add_nc_u64 s[4:5], s[0:1], s[4:5]
	s_cmp_eq_u64 s[4:5], 0
	s_cselect_b32 s1, s1, s5
	s_cselect_b32 s0, s0, s4
	v_mov_b32_e32 v13, s1
	s_and_b64 s[4:5], s[0:1], s[10:11]
	v_mov_b32_e32 v12, s0
	s_mul_u64 s[4:5], s[4:5], 24
	s_wait_loadcnt 0x0
	v_add_nc_u64_e32 v[8:9], s[4:5], v[2:3]
	global_store_b64 v[8:9], v[14:15], off
	global_wb scope:SCOPE_SYS
	s_wait_storecnt 0x0
	s_wait_xcnt 0x0
	global_atomic_cmpswap_b64 v[2:3], v10, v[12:15], s[2:3] offset:24 th:TH_ATOMIC_RETURN scope:SCOPE_SYS
	s_wait_loadcnt 0x0
	v_cmp_ne_u64_e32 vcc_lo, v[2:3], v[14:15]
	s_and_b32 exec_lo, exec_lo, vcc_lo
	s_cbranch_execz .LBB1_248
; %bb.246:
	s_mov_b32 s4, 0
.LBB1_247:                              ; =>This Inner Loop Header: Depth=1
	v_dual_mov_b32 v0, s0 :: v_dual_mov_b32 v1, s1
	s_sleep 1
	global_store_b64 v[8:9], v[2:3], off
	global_wb scope:SCOPE_SYS
	s_wait_storecnt 0x0
	s_wait_xcnt 0x0
	global_atomic_cmpswap_b64 v[0:1], v10, v[0:3], s[2:3] offset:24 th:TH_ATOMIC_RETURN scope:SCOPE_SYS
	s_wait_loadcnt 0x0
	v_cmp_eq_u64_e32 vcc_lo, v[0:1], v[2:3]
	v_mov_b64_e32 v[2:3], v[0:1]
	s_or_b32 s4, vcc_lo, s4
	s_delay_alu instid0(SALU_CYCLE_1)
	s_and_not1_b32 exec_lo, exec_lo, s4
	s_cbranch_execnz .LBB1_247
.LBB1_248:
	s_or_b32 exec_lo, exec_lo, s6
.LBB1_249:
	v_readfirstlane_b32 s0, v48
	v_mov_b64_e32 v[8:9], 0
	s_delay_alu instid0(VALU_DEP_2)
	v_cmp_eq_u32_e64 s0, s0, v48
	s_and_saveexec_b32 s1, s0
	s_cbranch_execz .LBB1_255
; %bb.250:
	s_wait_loadcnt 0x0
	v_mov_b32_e32 v0, 0
	s_mov_b32 s4, exec_lo
	global_load_b64 v[10:11], v0, s[2:3] offset:24 scope:SCOPE_SYS
	s_wait_loadcnt 0x0
	global_inv scope:SCOPE_SYS
	s_clause 0x1
	global_load_b64 v[2:3], v0, s[2:3] offset:40
	global_load_b64 v[8:9], v0, s[2:3]
	s_wait_loadcnt 0x1
	v_and_b32_e32 v2, v2, v10
	v_and_b32_e32 v3, v3, v11
	s_delay_alu instid0(VALU_DEP_1) | instskip(SKIP_1) | instid1(VALU_DEP_1)
	v_mul_u64_e32 v[2:3], 24, v[2:3]
	s_wait_loadcnt 0x0
	v_add_nc_u64_e32 v[2:3], v[8:9], v[2:3]
	global_load_b64 v[8:9], v[2:3], off scope:SCOPE_SYS
	s_wait_xcnt 0x0
	s_wait_loadcnt 0x0
	global_atomic_cmpswap_b64 v[8:9], v0, v[8:11], s[2:3] offset:24 th:TH_ATOMIC_RETURN scope:SCOPE_SYS
	s_wait_loadcnt 0x0
	global_inv scope:SCOPE_SYS
	s_wait_xcnt 0x0
	v_cmpx_ne_u64_e64 v[8:9], v[10:11]
	s_cbranch_execz .LBB1_254
; %bb.251:
	s_mov_b32 s5, 0
.LBB1_252:                              ; =>This Inner Loop Header: Depth=1
	s_sleep 1
	s_clause 0x1
	global_load_b64 v[2:3], v0, s[2:3] offset:40
	global_load_b64 v[12:13], v0, s[2:3]
	v_mov_b64_e32 v[10:11], v[8:9]
	s_wait_loadcnt 0x1
	s_delay_alu instid0(VALU_DEP_1) | instskip(SKIP_1) | instid1(VALU_DEP_1)
	v_and_b32_e32 v1, v2, v10
	s_wait_loadcnt 0x0
	v_mad_nc_u64_u32 v[8:9], v1, 24, v[12:13]
	s_delay_alu instid0(VALU_DEP_3) | instskip(NEXT) | instid1(VALU_DEP_1)
	v_and_b32_e32 v1, v3, v11
	v_mad_u32 v9, v1, 24, v9
	global_load_b64 v[8:9], v[8:9], off scope:SCOPE_SYS
	s_wait_xcnt 0x0
	s_wait_loadcnt 0x0
	global_atomic_cmpswap_b64 v[8:9], v0, v[8:11], s[2:3] offset:24 th:TH_ATOMIC_RETURN scope:SCOPE_SYS
	s_wait_loadcnt 0x0
	global_inv scope:SCOPE_SYS
	v_cmp_eq_u64_e32 vcc_lo, v[8:9], v[10:11]
	s_or_b32 s5, vcc_lo, s5
	s_wait_xcnt 0x0
	s_and_not1_b32 exec_lo, exec_lo, s5
	s_cbranch_execnz .LBB1_252
; %bb.253:
	s_or_b32 exec_lo, exec_lo, s5
.LBB1_254:
	s_delay_alu instid0(SALU_CYCLE_1)
	s_or_b32 exec_lo, exec_lo, s4
.LBB1_255:
	s_delay_alu instid0(SALU_CYCLE_1)
	s_or_b32 exec_lo, exec_lo, s1
	v_readfirstlane_b32 s4, v8
	v_mov_b32_e32 v31, 0
	v_readfirstlane_b32 s5, v9
	s_mov_b32 s1, exec_lo
	global_load_b64 v[10:11], v31, s[2:3] offset:40
	s_wait_loadcnt 0x1
	global_load_b128 v[0:3], v31, s[2:3]
	s_wait_loadcnt 0x1
	v_and_b32_e32 v8, s4, v10
	v_and_b32_e32 v9, s5, v11
	s_delay_alu instid0(VALU_DEP_1) | instskip(SKIP_1) | instid1(VALU_DEP_1)
	v_mul_u64_e32 v[10:11], 24, v[8:9]
	s_wait_loadcnt 0x0
	v_add_nc_u64_e32 v[10:11], v[0:1], v[10:11]
	s_wait_xcnt 0x0
	s_and_saveexec_b32 s6, s0
	s_cbranch_execz .LBB1_257
; %bb.256:
	v_mov_b64_e32 v[14:15], 0x100000002
	v_dual_mov_b32 v12, s1 :: v_dual_mov_b32 v13, v31
	global_store_b128 v[10:11], v[12:15], off offset:8
.LBB1_257:
	s_wait_xcnt 0x0
	s_or_b32 exec_lo, exec_lo, s6
	v_lshlrev_b64_e32 v[8:9], 12, v[8:9]
	s_mov_b32 s12, 0
	v_and_or_b32 v6, 0xffffff1f, v6, 32
	s_mov_b32 s14, s12
	s_mov_b32 s15, s12
	s_mov_b32 s13, s12
	v_mov_b64_e32 v[16:17], s[14:15]
	v_add_nc_u64_e32 v[12:13], v[2:3], v[8:9]
	v_mov_b64_e32 v[14:15], s[12:13]
	v_dual_mov_b32 v8, 0x331 :: v_dual_mov_b32 v9, v31
	s_delay_alu instid0(VALU_DEP_3) | instskip(NEXT) | instid1(VALU_DEP_4)
	v_readfirstlane_b32 s6, v12
	v_readfirstlane_b32 s7, v13
	s_clause 0x3
	global_store_b128 v30, v[6:9], s[6:7]
	global_store_b128 v30, v[14:17], s[6:7] offset:16
	global_store_b128 v30, v[14:17], s[6:7] offset:32
	;; [unrolled: 1-line block ×3, first 2 shown]
	s_wait_xcnt 0x0
	s_and_saveexec_b32 s1, s0
	s_cbranch_execz .LBB1_265
; %bb.258:
	v_dual_mov_b32 v8, 0 :: v_dual_mov_b32 v15, s5
	s_mov_b32 s6, exec_lo
	s_clause 0x1
	global_load_b64 v[16:17], v8, s[2:3] offset:32 scope:SCOPE_SYS
	global_load_b64 v[2:3], v8, s[2:3] offset:40
	s_wait_loadcnt 0x0
	v_dual_mov_b32 v14, s4 :: v_dual_bitop2_b32 v3, s5, v3 bitop3:0x40
	v_and_b32_e32 v2, s4, v2
	s_delay_alu instid0(VALU_DEP_1) | instskip(NEXT) | instid1(VALU_DEP_1)
	v_mul_u64_e32 v[2:3], 24, v[2:3]
	v_add_nc_u64_e32 v[6:7], v[0:1], v[2:3]
	global_store_b64 v[6:7], v[16:17], off
	global_wb scope:SCOPE_SYS
	s_wait_storecnt 0x0
	s_wait_xcnt 0x0
	global_atomic_cmpswap_b64 v[2:3], v8, v[14:17], s[2:3] offset:32 th:TH_ATOMIC_RETURN scope:SCOPE_SYS
	s_wait_loadcnt 0x0
	v_cmpx_ne_u64_e64 v[2:3], v[16:17]
	s_cbranch_execz .LBB1_261
; %bb.259:
	s_mov_b32 s7, 0
.LBB1_260:                              ; =>This Inner Loop Header: Depth=1
	v_dual_mov_b32 v0, s4 :: v_dual_mov_b32 v1, s5
	s_sleep 1
	global_store_b64 v[6:7], v[2:3], off
	global_wb scope:SCOPE_SYS
	s_wait_storecnt 0x0
	s_wait_xcnt 0x0
	global_atomic_cmpswap_b64 v[0:1], v8, v[0:3], s[2:3] offset:32 th:TH_ATOMIC_RETURN scope:SCOPE_SYS
	s_wait_loadcnt 0x0
	v_cmp_eq_u64_e32 vcc_lo, v[0:1], v[2:3]
	v_mov_b64_e32 v[2:3], v[0:1]
	s_or_b32 s7, vcc_lo, s7
	s_delay_alu instid0(SALU_CYCLE_1)
	s_and_not1_b32 exec_lo, exec_lo, s7
	s_cbranch_execnz .LBB1_260
.LBB1_261:
	s_or_b32 exec_lo, exec_lo, s6
	v_mov_b32_e32 v3, 0
	s_mov_b32 s7, exec_lo
	s_mov_b32 s6, exec_lo
	v_mbcnt_lo_u32_b32 v2, s7, 0
	global_load_b64 v[0:1], v3, s[2:3] offset:16
	s_wait_xcnt 0x0
	v_cmpx_eq_u32_e32 0, v2
	s_cbranch_execz .LBB1_263
; %bb.262:
	s_bcnt1_i32_b32 s7, s7
	s_delay_alu instid0(SALU_CYCLE_1)
	v_mov_b32_e32 v2, s7
	global_wb scope:SCOPE_SYS
	s_wait_loadcnt 0x0
	s_wait_storecnt 0x0
	global_atomic_add_u64 v[0:1], v[2:3], off offset:8 scope:SCOPE_SYS
.LBB1_263:
	s_wait_xcnt 0x0
	s_or_b32 exec_lo, exec_lo, s6
	s_wait_loadcnt 0x0
	global_load_b64 v[2:3], v[0:1], off offset:16
	s_wait_loadcnt 0x0
	v_cmp_eq_u64_e32 vcc_lo, 0, v[2:3]
	s_cbranch_vccnz .LBB1_265
; %bb.264:
	global_load_b32 v0, v[0:1], off offset:24
	s_wait_xcnt 0x0
	v_mov_b32_e32 v1, 0
	s_wait_loadcnt 0x0
	v_readfirstlane_b32 s6, v0
	global_wb scope:SCOPE_SYS
	s_wait_storecnt 0x0
	global_store_b64 v[2:3], v[0:1], off scope:SCOPE_SYS
	s_and_b32 m0, s6, 0xffffff
	s_sendmsg sendmsg(MSG_INTERRUPT)
.LBB1_265:
	s_wait_xcnt 0x0
	s_or_b32 exec_lo, exec_lo, s1
	v_add_nc_u64_e32 v[0:1], v[12:13], v[30:31]
	s_branch .LBB1_269
.LBB1_266:                              ;   in Loop: Header=BB1_269 Depth=1
	s_wait_xcnt 0x0
	s_or_b32 exec_lo, exec_lo, s1
	s_delay_alu instid0(VALU_DEP_1)
	v_readfirstlane_b32 s1, v2
	s_cmp_eq_u32 s1, 0
	s_cbranch_scc1 .LBB1_268
; %bb.267:                              ;   in Loop: Header=BB1_269 Depth=1
	s_sleep 1
	s_cbranch_execnz .LBB1_269
	s_branch .LBB1_271
.LBB1_268:
	s_branch .LBB1_271
.LBB1_269:                              ; =>This Inner Loop Header: Depth=1
	v_mov_b32_e32 v2, 1
	s_and_saveexec_b32 s1, s0
	s_cbranch_execz .LBB1_266
; %bb.270:                              ;   in Loop: Header=BB1_269 Depth=1
	global_load_b32 v2, v[10:11], off offset:20 scope:SCOPE_SYS
	s_wait_loadcnt 0x0
	global_inv scope:SCOPE_SYS
	v_and_b32_e32 v2, 1, v2
	s_branch .LBB1_266
.LBB1_271:
	global_load_b64 v[0:1], v[0:1], off
	s_wait_xcnt 0x0
	s_and_saveexec_b32 s6, s0
	s_cbranch_execz .LBB1_275
; %bb.272:
	v_mov_b32_e32 v10, 0
	s_clause 0x2
	global_load_b64 v[2:3], v10, s[2:3] offset:40
	global_load_b64 v[14:15], v10, s[2:3] offset:24 scope:SCOPE_SYS
	global_load_b64 v[6:7], v10, s[2:3]
	s_wait_loadcnt 0x2
	v_readfirstlane_b32 s10, v2
	v_readfirstlane_b32 s11, v3
	s_add_nc_u64 s[0:1], s[10:11], 1
	s_delay_alu instid0(SALU_CYCLE_1) | instskip(NEXT) | instid1(SALU_CYCLE_1)
	s_add_nc_u64 s[4:5], s[0:1], s[4:5]
	s_cmp_eq_u64 s[4:5], 0
	s_cselect_b32 s1, s1, s5
	s_cselect_b32 s0, s0, s4
	v_mov_b32_e32 v13, s1
	s_and_b64 s[4:5], s[0:1], s[10:11]
	v_mov_b32_e32 v12, s0
	s_mul_u64 s[4:5], s[4:5], 24
	s_wait_loadcnt 0x0
	v_add_nc_u64_e32 v[2:3], s[4:5], v[6:7]
	global_store_b64 v[2:3], v[14:15], off
	global_wb scope:SCOPE_SYS
	s_wait_storecnt 0x0
	s_wait_xcnt 0x0
	global_atomic_cmpswap_b64 v[8:9], v10, v[12:15], s[2:3] offset:24 th:TH_ATOMIC_RETURN scope:SCOPE_SYS
	s_wait_loadcnt 0x0
	v_cmp_ne_u64_e32 vcc_lo, v[8:9], v[14:15]
	s_and_b32 exec_lo, exec_lo, vcc_lo
	s_cbranch_execz .LBB1_275
; %bb.273:
	s_mov_b32 s4, 0
.LBB1_274:                              ; =>This Inner Loop Header: Depth=1
	v_dual_mov_b32 v6, s0 :: v_dual_mov_b32 v7, s1
	s_sleep 1
	global_store_b64 v[2:3], v[8:9], off
	global_wb scope:SCOPE_SYS
	s_wait_storecnt 0x0
	s_wait_xcnt 0x0
	global_atomic_cmpswap_b64 v[6:7], v10, v[6:9], s[2:3] offset:24 th:TH_ATOMIC_RETURN scope:SCOPE_SYS
	s_wait_loadcnt 0x0
	v_cmp_eq_u64_e32 vcc_lo, v[6:7], v[8:9]
	v_mov_b64_e32 v[8:9], v[6:7]
	s_or_b32 s4, vcc_lo, s4
	s_delay_alu instid0(SALU_CYCLE_1)
	s_and_not1_b32 exec_lo, exec_lo, s4
	s_cbranch_execnz .LBB1_274
.LBB1_275:
	s_or_b32 exec_lo, exec_lo, s6
	v_mov_b64_e32 v[2:3], v[4:5]
	s_mov_b32 s0, 0
.LBB1_276:                              ; =>This Inner Loop Header: Depth=1
	global_load_u8 v6, v[2:3], off
	s_wait_xcnt 0x0
	v_add_nc_u64_e32 v[2:3], 1, v[2:3]
	s_wait_loadcnt 0x0
	v_cmp_eq_u16_e32 vcc_lo, 0, v6
	s_or_b32 s0, vcc_lo, s0
	s_delay_alu instid0(SALU_CYCLE_1)
	s_and_not1_b32 exec_lo, exec_lo, s0
	s_cbranch_execnz .LBB1_276
; %bb.277:
	s_or_b32 exec_lo, exec_lo, s0
	s_delay_alu instid0(SALU_CYCLE_1)
	s_mov_b32 s0, exec_lo
	v_cmpx_ne_u64_e32 0, v[4:5]
	s_xor_b32 s6, exec_lo, s0
	s_cbranch_execz .LBB1_363
; %bb.278:
	v_dual_mov_b32 v31, 0 :: v_dual_sub_nc_u32 v26, v2, v4
	v_mov_b64_e32 v[8:9], 0x100000002
	v_and_b32_e32 v28, 2, v0
	s_delay_alu instid0(VALU_DEP_3)
	v_dual_ashrrev_i32 v27, 31, v26 :: v_dual_bitop2_b32 v0, -3, v0 bitop3:0x40
	s_mov_b32 s10, 0
	s_mov_b32 s7, 0
	s_branch .LBB1_280
.LBB1_279:                              ;   in Loop: Header=BB1_280 Depth=1
	s_or_b32 exec_lo, exec_lo, s11
	v_sub_nc_u64_e32 v[26:27], v[26:27], v[32:33]
	v_add_nc_u64_e32 v[4:5], v[4:5], v[32:33]
	s_delay_alu instid0(VALU_DEP_2) | instskip(SKIP_1) | instid1(SALU_CYCLE_1)
	v_cmp_eq_u64_e32 vcc_lo, 0, v[26:27]
	s_or_b32 s7, vcc_lo, s7
	s_and_not1_b32 exec_lo, exec_lo, s7
	s_cbranch_execz .LBB1_362
.LBB1_280:                              ; =>This Loop Header: Depth=1
                                        ;     Child Loop BB1_283 Depth 2
                                        ;     Child Loop BB1_291 Depth 2
	;; [unrolled: 1-line block ×11, first 2 shown]
	s_delay_alu instid0(VALU_DEP_1) | instskip(NEXT) | instid1(VALU_DEP_3)
	v_min_u64 v[32:33], v[26:27], 56
	v_add_nc_u64_e32 v[12:13], 8, v[4:5]
	s_mov_b32 s0, exec_lo
	v_cmpx_gt_u64_e32 8, v[26:27]
	s_xor_b32 s4, exec_lo, s0
	s_cbranch_execz .LBB1_286
; %bb.281:                              ;   in Loop: Header=BB1_280 Depth=1
	v_mov_b64_e32 v[2:3], 0
	s_mov_b32 s5, exec_lo
	v_cmpx_ne_u64_e32 0, v[26:27]
	s_cbranch_execz .LBB1_285
; %bb.282:                              ;   in Loop: Header=BB1_280 Depth=1
	v_mov_b64_e32 v[2:3], 0
	v_mov_b64_e32 v[10:11], v[4:5]
	v_lshlrev_b32_e32 v6, 3, v32
	s_mov_b64 s[0:1], 0
	s_mov_b32 s11, 0
.LBB1_283:                              ;   Parent Loop BB1_280 Depth=1
                                        ; =>  This Inner Loop Header: Depth=2
	global_load_u8 v7, v[10:11], off
	v_mov_b32_e32 v13, s10
	s_wait_xcnt 0x0
	v_add_nc_u64_e32 v[10:11], 1, v[10:11]
	s_wait_loadcnt 0x0
	v_and_b32_e32 v12, 0xffff, v7
	s_delay_alu instid0(VALU_DEP_1) | instskip(SKIP_1) | instid1(SALU_CYCLE_1)
	v_lshlrev_b64_e32 v[12:13], s0, v[12:13]
	s_add_nc_u64 s[0:1], s[0:1], 8
	v_cmp_eq_u32_e32 vcc_lo, s0, v6
	s_delay_alu instid0(VALU_DEP_2) | instskip(NEXT) | instid1(VALU_DEP_3)
	v_or_b32_e32 v3, v13, v3
	v_or_b32_e32 v2, v12, v2
	s_or_b32 s11, vcc_lo, s11
	s_delay_alu instid0(SALU_CYCLE_1)
	s_and_not1_b32 exec_lo, exec_lo, s11
	s_cbranch_execnz .LBB1_283
; %bb.284:                              ;   in Loop: Header=BB1_280 Depth=1
	s_or_b32 exec_lo, exec_lo, s11
.LBB1_285:                              ;   in Loop: Header=BB1_280 Depth=1
	s_delay_alu instid0(SALU_CYCLE_1)
	s_or_b32 exec_lo, exec_lo, s5
	v_mov_b64_e32 v[12:13], v[4:5]
.LBB1_286:                              ;   in Loop: Header=BB1_280 Depth=1
	s_or_saveexec_b32 s0, s4
	v_mov_b32_e32 v14, 0
	s_xor_b32 exec_lo, exec_lo, s0
	s_cbranch_execz .LBB1_288
; %bb.287:                              ;   in Loop: Header=BB1_280 Depth=1
	global_load_b64 v[2:3], v[4:5], off
	v_add_nc_u32_e32 v14, -8, v32
.LBB1_288:                              ;   in Loop: Header=BB1_280 Depth=1
	s_wait_xcnt 0x0
	s_or_b32 exec_lo, exec_lo, s0
	v_add_nc_u64_e32 v[6:7], 8, v[12:13]
                                        ; implicit-def: $vgpr10_vgpr11
	s_mov_b32 s0, exec_lo
	v_cmpx_gt_u32_e32 8, v14
	s_xor_b32 s11, exec_lo, s0
	s_cbranch_execz .LBB1_294
; %bb.289:                              ;   in Loop: Header=BB1_280 Depth=1
	v_mov_b64_e32 v[10:11], 0
	s_mov_b32 s12, exec_lo
	v_cmpx_ne_u32_e32 0, v14
	s_cbranch_execz .LBB1_293
; %bb.290:                              ;   in Loop: Header=BB1_280 Depth=1
	v_mov_b64_e32 v[10:11], 0
	s_mov_b64 s[0:1], 0
	s_mov_b32 s13, 0
	s_mov_b64 s[4:5], 0
.LBB1_291:                              ;   Parent Loop BB1_280 Depth=1
                                        ; =>  This Inner Loop Header: Depth=2
	s_delay_alu instid0(SALU_CYCLE_1) | instskip(SKIP_1) | instid1(SALU_CYCLE_1)
	v_add_nc_u64_e32 v[6:7], s[4:5], v[12:13]
	s_add_nc_u64 s[4:5], s[4:5], 1
	v_cmp_eq_u32_e32 vcc_lo, s4, v14
	global_load_u8 v6, v[6:7], off
	s_wait_xcnt 0x0
	v_mov_b32_e32 v7, s10
	s_or_b32 s13, vcc_lo, s13
	s_wait_loadcnt 0x0
	v_and_b32_e32 v6, 0xffff, v6
	s_delay_alu instid0(VALU_DEP_1) | instskip(SKIP_1) | instid1(VALU_DEP_1)
	v_lshlrev_b64_e32 v[6:7], s0, v[6:7]
	s_add_nc_u64 s[0:1], s[0:1], 8
	v_or_b32_e32 v11, v7, v11
	s_delay_alu instid0(VALU_DEP_2)
	v_or_b32_e32 v10, v6, v10
	s_and_not1_b32 exec_lo, exec_lo, s13
	s_cbranch_execnz .LBB1_291
; %bb.292:                              ;   in Loop: Header=BB1_280 Depth=1
	s_or_b32 exec_lo, exec_lo, s13
.LBB1_293:                              ;   in Loop: Header=BB1_280 Depth=1
	s_delay_alu instid0(SALU_CYCLE_1)
	s_or_b32 exec_lo, exec_lo, s12
	v_mov_b64_e32 v[6:7], v[12:13]
                                        ; implicit-def: $vgpr14
.LBB1_294:                              ;   in Loop: Header=BB1_280 Depth=1
	s_or_saveexec_b32 s0, s11
	v_mov_b32_e32 v15, 0
	s_xor_b32 exec_lo, exec_lo, s0
	s_cbranch_execz .LBB1_296
; %bb.295:                              ;   in Loop: Header=BB1_280 Depth=1
	global_load_b64 v[10:11], v[12:13], off
	v_add_nc_u32_e32 v15, -8, v14
.LBB1_296:                              ;   in Loop: Header=BB1_280 Depth=1
	s_wait_xcnt 0x0
	s_or_b32 exec_lo, exec_lo, s0
	v_add_nc_u64_e32 v[16:17], 8, v[6:7]
	s_mov_b32 s0, exec_lo
	v_cmpx_gt_u32_e32 8, v15
	s_xor_b32 s11, exec_lo, s0
	s_cbranch_execz .LBB1_302
; %bb.297:                              ;   in Loop: Header=BB1_280 Depth=1
	v_mov_b64_e32 v[12:13], 0
	s_mov_b32 s12, exec_lo
	v_cmpx_ne_u32_e32 0, v15
	s_cbranch_execz .LBB1_301
; %bb.298:                              ;   in Loop: Header=BB1_280 Depth=1
	v_mov_b64_e32 v[12:13], 0
	s_mov_b64 s[0:1], 0
	s_mov_b32 s13, 0
	s_mov_b64 s[4:5], 0
.LBB1_299:                              ;   Parent Loop BB1_280 Depth=1
                                        ; =>  This Inner Loop Header: Depth=2
	s_delay_alu instid0(SALU_CYCLE_1) | instskip(SKIP_1) | instid1(SALU_CYCLE_1)
	v_add_nc_u64_e32 v[16:17], s[4:5], v[6:7]
	s_add_nc_u64 s[4:5], s[4:5], 1
	v_cmp_eq_u32_e32 vcc_lo, s4, v15
	global_load_u8 v14, v[16:17], off
	s_wait_xcnt 0x0
	v_mov_b32_e32 v17, s10
	s_or_b32 s13, vcc_lo, s13
	s_wait_loadcnt 0x0
	v_and_b32_e32 v16, 0xffff, v14
	s_delay_alu instid0(VALU_DEP_1) | instskip(SKIP_1) | instid1(VALU_DEP_1)
	v_lshlrev_b64_e32 v[16:17], s0, v[16:17]
	s_add_nc_u64 s[0:1], s[0:1], 8
	v_or_b32_e32 v13, v17, v13
	s_delay_alu instid0(VALU_DEP_2)
	v_or_b32_e32 v12, v16, v12
	s_and_not1_b32 exec_lo, exec_lo, s13
	s_cbranch_execnz .LBB1_299
; %bb.300:                              ;   in Loop: Header=BB1_280 Depth=1
	s_or_b32 exec_lo, exec_lo, s13
.LBB1_301:                              ;   in Loop: Header=BB1_280 Depth=1
	s_delay_alu instid0(SALU_CYCLE_1)
	s_or_b32 exec_lo, exec_lo, s12
	v_mov_b64_e32 v[16:17], v[6:7]
                                        ; implicit-def: $vgpr15
.LBB1_302:                              ;   in Loop: Header=BB1_280 Depth=1
	s_or_saveexec_b32 s0, s11
	v_mov_b32_e32 v18, 0
	s_xor_b32 exec_lo, exec_lo, s0
	s_cbranch_execz .LBB1_304
; %bb.303:                              ;   in Loop: Header=BB1_280 Depth=1
	global_load_b64 v[12:13], v[6:7], off
	v_add_nc_u32_e32 v18, -8, v15
.LBB1_304:                              ;   in Loop: Header=BB1_280 Depth=1
	s_wait_xcnt 0x0
	s_or_b32 exec_lo, exec_lo, s0
	v_add_nc_u64_e32 v[6:7], 8, v[16:17]
                                        ; implicit-def: $vgpr14_vgpr15
	s_mov_b32 s0, exec_lo
	v_cmpx_gt_u32_e32 8, v18
	s_xor_b32 s11, exec_lo, s0
	s_cbranch_execz .LBB1_310
; %bb.305:                              ;   in Loop: Header=BB1_280 Depth=1
	v_mov_b64_e32 v[14:15], 0
	s_mov_b32 s12, exec_lo
	v_cmpx_ne_u32_e32 0, v18
	s_cbranch_execz .LBB1_309
; %bb.306:                              ;   in Loop: Header=BB1_280 Depth=1
	v_mov_b64_e32 v[14:15], 0
	s_mov_b64 s[0:1], 0
	s_mov_b32 s13, 0
	s_mov_b64 s[4:5], 0
.LBB1_307:                              ;   Parent Loop BB1_280 Depth=1
                                        ; =>  This Inner Loop Header: Depth=2
	s_delay_alu instid0(SALU_CYCLE_1) | instskip(SKIP_1) | instid1(SALU_CYCLE_1)
	v_add_nc_u64_e32 v[6:7], s[4:5], v[16:17]
	s_add_nc_u64 s[4:5], s[4:5], 1
	v_cmp_eq_u32_e32 vcc_lo, s4, v18
	global_load_u8 v6, v[6:7], off
	s_wait_xcnt 0x0
	v_mov_b32_e32 v7, s10
	s_or_b32 s13, vcc_lo, s13
	s_wait_loadcnt 0x0
	v_and_b32_e32 v6, 0xffff, v6
	s_delay_alu instid0(VALU_DEP_1) | instskip(SKIP_1) | instid1(VALU_DEP_1)
	v_lshlrev_b64_e32 v[6:7], s0, v[6:7]
	s_add_nc_u64 s[0:1], s[0:1], 8
	v_or_b32_e32 v15, v7, v15
	s_delay_alu instid0(VALU_DEP_2)
	v_or_b32_e32 v14, v6, v14
	s_and_not1_b32 exec_lo, exec_lo, s13
	s_cbranch_execnz .LBB1_307
; %bb.308:                              ;   in Loop: Header=BB1_280 Depth=1
	s_or_b32 exec_lo, exec_lo, s13
.LBB1_309:                              ;   in Loop: Header=BB1_280 Depth=1
	s_delay_alu instid0(SALU_CYCLE_1)
	s_or_b32 exec_lo, exec_lo, s12
	v_mov_b64_e32 v[6:7], v[16:17]
                                        ; implicit-def: $vgpr18
.LBB1_310:                              ;   in Loop: Header=BB1_280 Depth=1
	s_or_saveexec_b32 s0, s11
	v_mov_b32_e32 v19, 0
	s_xor_b32 exec_lo, exec_lo, s0
	s_cbranch_execz .LBB1_312
; %bb.311:                              ;   in Loop: Header=BB1_280 Depth=1
	global_load_b64 v[14:15], v[16:17], off
	v_add_nc_u32_e32 v19, -8, v18
.LBB1_312:                              ;   in Loop: Header=BB1_280 Depth=1
	s_wait_xcnt 0x0
	s_or_b32 exec_lo, exec_lo, s0
	v_add_nc_u64_e32 v[20:21], 8, v[6:7]
	s_mov_b32 s0, exec_lo
	v_cmpx_gt_u32_e32 8, v19
	s_xor_b32 s11, exec_lo, s0
	s_cbranch_execz .LBB1_318
; %bb.313:                              ;   in Loop: Header=BB1_280 Depth=1
	v_mov_b64_e32 v[16:17], 0
	s_mov_b32 s12, exec_lo
	v_cmpx_ne_u32_e32 0, v19
	s_cbranch_execz .LBB1_317
; %bb.314:                              ;   in Loop: Header=BB1_280 Depth=1
	v_mov_b64_e32 v[16:17], 0
	s_mov_b64 s[0:1], 0
	s_mov_b32 s13, 0
	s_mov_b64 s[4:5], 0
.LBB1_315:                              ;   Parent Loop BB1_280 Depth=1
                                        ; =>  This Inner Loop Header: Depth=2
	s_delay_alu instid0(SALU_CYCLE_1) | instskip(SKIP_1) | instid1(SALU_CYCLE_1)
	v_add_nc_u64_e32 v[20:21], s[4:5], v[6:7]
	s_add_nc_u64 s[4:5], s[4:5], 1
	v_cmp_eq_u32_e32 vcc_lo, s4, v19
	global_load_u8 v18, v[20:21], off
	s_wait_xcnt 0x0
	v_mov_b32_e32 v21, s10
	s_or_b32 s13, vcc_lo, s13
	s_wait_loadcnt 0x0
	v_and_b32_e32 v20, 0xffff, v18
	s_delay_alu instid0(VALU_DEP_1) | instskip(SKIP_1) | instid1(VALU_DEP_1)
	v_lshlrev_b64_e32 v[20:21], s0, v[20:21]
	s_add_nc_u64 s[0:1], s[0:1], 8
	v_or_b32_e32 v17, v21, v17
	s_delay_alu instid0(VALU_DEP_2)
	v_or_b32_e32 v16, v20, v16
	s_and_not1_b32 exec_lo, exec_lo, s13
	s_cbranch_execnz .LBB1_315
; %bb.316:                              ;   in Loop: Header=BB1_280 Depth=1
	s_or_b32 exec_lo, exec_lo, s13
.LBB1_317:                              ;   in Loop: Header=BB1_280 Depth=1
	s_delay_alu instid0(SALU_CYCLE_1)
	s_or_b32 exec_lo, exec_lo, s12
	v_mov_b64_e32 v[20:21], v[6:7]
                                        ; implicit-def: $vgpr19
.LBB1_318:                              ;   in Loop: Header=BB1_280 Depth=1
	s_or_saveexec_b32 s0, s11
	v_mov_b32_e32 v22, 0
	s_xor_b32 exec_lo, exec_lo, s0
	s_cbranch_execz .LBB1_320
; %bb.319:                              ;   in Loop: Header=BB1_280 Depth=1
	global_load_b64 v[16:17], v[6:7], off
	v_add_nc_u32_e32 v22, -8, v19
.LBB1_320:                              ;   in Loop: Header=BB1_280 Depth=1
	s_wait_xcnt 0x0
	s_or_b32 exec_lo, exec_lo, s0
	v_add_nc_u64_e32 v[6:7], 8, v[20:21]
                                        ; implicit-def: $vgpr18_vgpr19
	s_mov_b32 s0, exec_lo
	v_cmpx_gt_u32_e32 8, v22
	s_xor_b32 s11, exec_lo, s0
	s_cbranch_execz .LBB1_326
; %bb.321:                              ;   in Loop: Header=BB1_280 Depth=1
	v_mov_b64_e32 v[18:19], 0
	s_mov_b32 s12, exec_lo
	v_cmpx_ne_u32_e32 0, v22
	s_cbranch_execz .LBB1_325
; %bb.322:                              ;   in Loop: Header=BB1_280 Depth=1
	v_mov_b64_e32 v[18:19], 0
	s_mov_b64 s[0:1], 0
	s_mov_b32 s13, 0
	s_mov_b64 s[4:5], 0
.LBB1_323:                              ;   Parent Loop BB1_280 Depth=1
                                        ; =>  This Inner Loop Header: Depth=2
	s_delay_alu instid0(SALU_CYCLE_1) | instskip(SKIP_1) | instid1(SALU_CYCLE_1)
	v_add_nc_u64_e32 v[6:7], s[4:5], v[20:21]
	s_add_nc_u64 s[4:5], s[4:5], 1
	v_cmp_eq_u32_e32 vcc_lo, s4, v22
	global_load_u8 v6, v[6:7], off
	s_wait_xcnt 0x0
	v_mov_b32_e32 v7, s10
	s_or_b32 s13, vcc_lo, s13
	s_wait_loadcnt 0x0
	v_and_b32_e32 v6, 0xffff, v6
	s_delay_alu instid0(VALU_DEP_1) | instskip(SKIP_1) | instid1(VALU_DEP_1)
	v_lshlrev_b64_e32 v[6:7], s0, v[6:7]
	s_add_nc_u64 s[0:1], s[0:1], 8
	v_or_b32_e32 v19, v7, v19
	s_delay_alu instid0(VALU_DEP_2)
	v_or_b32_e32 v18, v6, v18
	s_and_not1_b32 exec_lo, exec_lo, s13
	s_cbranch_execnz .LBB1_323
; %bb.324:                              ;   in Loop: Header=BB1_280 Depth=1
	s_or_b32 exec_lo, exec_lo, s13
.LBB1_325:                              ;   in Loop: Header=BB1_280 Depth=1
	s_delay_alu instid0(SALU_CYCLE_1)
	s_or_b32 exec_lo, exec_lo, s12
	v_mov_b64_e32 v[6:7], v[20:21]
                                        ; implicit-def: $vgpr22
.LBB1_326:                              ;   in Loop: Header=BB1_280 Depth=1
	s_or_saveexec_b32 s0, s11
	v_mov_b32_e32 v23, 0
	s_xor_b32 exec_lo, exec_lo, s0
	s_cbranch_execz .LBB1_328
; %bb.327:                              ;   in Loop: Header=BB1_280 Depth=1
	global_load_b64 v[18:19], v[20:21], off
	v_add_nc_u32_e32 v23, -8, v22
.LBB1_328:                              ;   in Loop: Header=BB1_280 Depth=1
	s_wait_xcnt 0x0
	s_or_b32 exec_lo, exec_lo, s0
	s_delay_alu instid0(SALU_CYCLE_1) | instskip(NEXT) | instid1(VALU_DEP_1)
	s_mov_b32 s0, exec_lo
	v_cmpx_gt_u32_e32 8, v23
	s_xor_b32 s4, exec_lo, s0
	s_cbranch_execz .LBB1_334
; %bb.329:                              ;   in Loop: Header=BB1_280 Depth=1
	v_mov_b64_e32 v[20:21], 0
	s_mov_b32 s5, exec_lo
	v_cmpx_ne_u32_e32 0, v23
	s_cbranch_execz .LBB1_333
; %bb.330:                              ;   in Loop: Header=BB1_280 Depth=1
	v_mov_b64_e32 v[20:21], 0
	s_mov_b64 s[0:1], 0
	s_mov_b32 s11, 0
.LBB1_331:                              ;   Parent Loop BB1_280 Depth=1
                                        ; =>  This Inner Loop Header: Depth=2
	global_load_u8 v22, v[6:7], off
	v_dual_mov_b32 v25, s10 :: v_dual_add_nc_u32 v23, -1, v23
	s_wait_xcnt 0x0
	v_add_nc_u64_e32 v[6:7], 1, v[6:7]
	s_delay_alu instid0(VALU_DEP_2) | instskip(SKIP_3) | instid1(VALU_DEP_1)
	v_cmp_eq_u32_e32 vcc_lo, 0, v23
	s_or_b32 s11, vcc_lo, s11
	s_wait_loadcnt 0x0
	v_and_b32_e32 v24, 0xffff, v22
	v_lshlrev_b64_e32 v[24:25], s0, v[24:25]
	s_add_nc_u64 s[0:1], s[0:1], 8
	s_delay_alu instid0(VALU_DEP_1) | instskip(NEXT) | instid1(VALU_DEP_2)
	v_or_b32_e32 v21, v25, v21
	v_or_b32_e32 v20, v24, v20
	s_and_not1_b32 exec_lo, exec_lo, s11
	s_cbranch_execnz .LBB1_331
; %bb.332:                              ;   in Loop: Header=BB1_280 Depth=1
	s_or_b32 exec_lo, exec_lo, s11
.LBB1_333:                              ;   in Loop: Header=BB1_280 Depth=1
	s_delay_alu instid0(SALU_CYCLE_1)
	s_or_b32 exec_lo, exec_lo, s5
                                        ; implicit-def: $vgpr6_vgpr7
.LBB1_334:                              ;   in Loop: Header=BB1_280 Depth=1
	s_and_not1_saveexec_b32 s0, s4
	s_cbranch_execz .LBB1_336
; %bb.335:                              ;   in Loop: Header=BB1_280 Depth=1
	global_load_b64 v[20:21], v[6:7], off
.LBB1_336:                              ;   in Loop: Header=BB1_280 Depth=1
	s_wait_xcnt 0x0
	s_or_b32 exec_lo, exec_lo, s0
	v_readfirstlane_b32 s0, v48
	v_mov_b64_e32 v[6:7], 0
	s_delay_alu instid0(VALU_DEP_2)
	v_cmp_eq_u32_e64 s0, s0, v48
	s_and_saveexec_b32 s1, s0
	s_cbranch_execz .LBB1_342
; %bb.337:                              ;   in Loop: Header=BB1_280 Depth=1
	global_load_b64 v[24:25], v31, s[2:3] offset:24 scope:SCOPE_SYS
	s_wait_loadcnt 0x0
	global_inv scope:SCOPE_SYS
	s_clause 0x1
	global_load_b64 v[6:7], v31, s[2:3] offset:40
	global_load_b64 v[22:23], v31, s[2:3]
	s_mov_b32 s4, exec_lo
	s_wait_loadcnt 0x1
	v_and_b32_e32 v6, v6, v24
	v_and_b32_e32 v7, v7, v25
	s_delay_alu instid0(VALU_DEP_1) | instskip(SKIP_1) | instid1(VALU_DEP_1)
	v_mul_u64_e32 v[6:7], 24, v[6:7]
	s_wait_loadcnt 0x0
	v_add_nc_u64_e32 v[6:7], v[22:23], v[6:7]
	global_load_b64 v[22:23], v[6:7], off scope:SCOPE_SYS
	s_wait_xcnt 0x0
	s_wait_loadcnt 0x0
	global_atomic_cmpswap_b64 v[6:7], v31, v[22:25], s[2:3] offset:24 th:TH_ATOMIC_RETURN scope:SCOPE_SYS
	s_wait_loadcnt 0x0
	global_inv scope:SCOPE_SYS
	s_wait_xcnt 0x0
	v_cmpx_ne_u64_e64 v[6:7], v[24:25]
	s_cbranch_execz .LBB1_341
; %bb.338:                              ;   in Loop: Header=BB1_280 Depth=1
	s_mov_b32 s5, 0
.LBB1_339:                              ;   Parent Loop BB1_280 Depth=1
                                        ; =>  This Inner Loop Header: Depth=2
	s_sleep 1
	s_clause 0x1
	global_load_b64 v[22:23], v31, s[2:3] offset:40
	global_load_b64 v[34:35], v31, s[2:3]
	v_mov_b64_e32 v[24:25], v[6:7]
	s_wait_loadcnt 0x1
	s_delay_alu instid0(VALU_DEP_1) | instskip(NEXT) | instid1(VALU_DEP_2)
	v_and_b32_e32 v6, v22, v24
	v_and_b32_e32 v22, v23, v25
	s_wait_loadcnt 0x0
	s_delay_alu instid0(VALU_DEP_2) | instskip(NEXT) | instid1(VALU_DEP_1)
	v_mad_nc_u64_u32 v[6:7], v6, 24, v[34:35]
	v_mad_u32 v7, v22, 24, v7
	global_load_b64 v[22:23], v[6:7], off scope:SCOPE_SYS
	s_wait_xcnt 0x0
	s_wait_loadcnt 0x0
	global_atomic_cmpswap_b64 v[6:7], v31, v[22:25], s[2:3] offset:24 th:TH_ATOMIC_RETURN scope:SCOPE_SYS
	s_wait_loadcnt 0x0
	global_inv scope:SCOPE_SYS
	v_cmp_eq_u64_e32 vcc_lo, v[6:7], v[24:25]
	s_or_b32 s5, vcc_lo, s5
	s_wait_xcnt 0x0
	s_and_not1_b32 exec_lo, exec_lo, s5
	s_cbranch_execnz .LBB1_339
; %bb.340:                              ;   in Loop: Header=BB1_280 Depth=1
	s_or_b32 exec_lo, exec_lo, s5
.LBB1_341:                              ;   in Loop: Header=BB1_280 Depth=1
	s_delay_alu instid0(SALU_CYCLE_1)
	s_or_b32 exec_lo, exec_lo, s4
.LBB1_342:                              ;   in Loop: Header=BB1_280 Depth=1
	s_delay_alu instid0(SALU_CYCLE_1)
	s_or_b32 exec_lo, exec_lo, s1
	s_clause 0x1
	global_load_b64 v[34:35], v31, s[2:3] offset:40
	global_load_b128 v[22:25], v31, s[2:3]
	v_readfirstlane_b32 s4, v6
	v_readfirstlane_b32 s5, v7
	s_mov_b32 s1, exec_lo
	s_wait_loadcnt 0x1
	v_and_b32_e32 v36, s4, v34
	v_and_b32_e32 v37, s5, v35
	s_delay_alu instid0(VALU_DEP_1) | instskip(SKIP_1) | instid1(VALU_DEP_1)
	v_mul_u64_e32 v[6:7], 24, v[36:37]
	s_wait_loadcnt 0x0
	v_add_nc_u64_e32 v[34:35], v[22:23], v[6:7]
	s_wait_xcnt 0x0
	s_and_saveexec_b32 s11, s0
	s_cbranch_execz .LBB1_344
; %bb.343:                              ;   in Loop: Header=BB1_280 Depth=1
	v_dual_mov_b32 v6, s1 :: v_dual_mov_b32 v7, v31
	global_store_b128 v[34:35], v[6:9], off offset:8
.LBB1_344:                              ;   in Loop: Header=BB1_280 Depth=1
	s_wait_xcnt 0x0
	s_or_b32 exec_lo, exec_lo, s11
	v_cmp_gt_u64_e32 vcc_lo, 57, v[26:27]
	v_lshlrev_b64_e32 v[6:7], 12, v[36:37]
	v_and_b32_e32 v0, 0xffffff1f, v0
	v_lshl_add_u32 v36, v32, 2, 28
	v_cndmask_b32_e32 v29, 0, v28, vcc_lo
	s_delay_alu instid0(VALU_DEP_4) | instskip(NEXT) | instid1(VALU_DEP_2)
	v_add_nc_u64_e32 v[6:7], v[24:25], v[6:7]
	v_or_b32_e32 v0, v0, v29
	s_delay_alu instid0(VALU_DEP_2) | instskip(NEXT) | instid1(VALU_DEP_3)
	v_readfirstlane_b32 s12, v6
	v_readfirstlane_b32 s13, v7
	s_delay_alu instid0(VALU_DEP_3)
	v_and_or_b32 v0, 0x1e0, v36, v0
	s_clause 0x3
	global_store_b128 v30, v[0:3], s[12:13]
	global_store_b128 v30, v[10:13], s[12:13] offset:16
	global_store_b128 v30, v[14:17], s[12:13] offset:32
	;; [unrolled: 1-line block ×3, first 2 shown]
	s_wait_xcnt 0x0
	s_and_saveexec_b32 s1, s0
	s_cbranch_execz .LBB1_352
; %bb.345:                              ;   in Loop: Header=BB1_280 Depth=1
	s_clause 0x1
	global_load_b64 v[14:15], v31, s[2:3] offset:32 scope:SCOPE_SYS
	global_load_b64 v[0:1], v31, s[2:3] offset:40
	s_mov_b32 s11, exec_lo
	v_dual_mov_b32 v12, s4 :: v_dual_mov_b32 v13, s5
	s_wait_loadcnt 0x0
	v_and_b32_e32 v1, s5, v1
	v_and_b32_e32 v0, s4, v0
	s_delay_alu instid0(VALU_DEP_1) | instskip(NEXT) | instid1(VALU_DEP_1)
	v_mul_u64_e32 v[0:1], 24, v[0:1]
	v_add_nc_u64_e32 v[10:11], v[22:23], v[0:1]
	global_store_b64 v[10:11], v[14:15], off
	global_wb scope:SCOPE_SYS
	s_wait_storecnt 0x0
	s_wait_xcnt 0x0
	global_atomic_cmpswap_b64 v[2:3], v31, v[12:15], s[2:3] offset:32 th:TH_ATOMIC_RETURN scope:SCOPE_SYS
	s_wait_loadcnt 0x0
	v_cmpx_ne_u64_e64 v[2:3], v[14:15]
	s_cbranch_execz .LBB1_348
; %bb.346:                              ;   in Loop: Header=BB1_280 Depth=1
	s_mov_b32 s12, 0
.LBB1_347:                              ;   Parent Loop BB1_280 Depth=1
                                        ; =>  This Inner Loop Header: Depth=2
	v_dual_mov_b32 v0, s4 :: v_dual_mov_b32 v1, s5
	s_sleep 1
	global_store_b64 v[10:11], v[2:3], off
	global_wb scope:SCOPE_SYS
	s_wait_storecnt 0x0
	s_wait_xcnt 0x0
	global_atomic_cmpswap_b64 v[0:1], v31, v[0:3], s[2:3] offset:32 th:TH_ATOMIC_RETURN scope:SCOPE_SYS
	s_wait_loadcnt 0x0
	v_cmp_eq_u64_e32 vcc_lo, v[0:1], v[2:3]
	v_mov_b64_e32 v[2:3], v[0:1]
	s_or_b32 s12, vcc_lo, s12
	s_delay_alu instid0(SALU_CYCLE_1)
	s_and_not1_b32 exec_lo, exec_lo, s12
	s_cbranch_execnz .LBB1_347
.LBB1_348:                              ;   in Loop: Header=BB1_280 Depth=1
	s_or_b32 exec_lo, exec_lo, s11
	global_load_b64 v[0:1], v31, s[2:3] offset:16
	s_mov_b32 s12, exec_lo
	s_mov_b32 s11, exec_lo
	v_mbcnt_lo_u32_b32 v2, s12, 0
	s_wait_xcnt 0x0
	s_delay_alu instid0(VALU_DEP_1)
	v_cmpx_eq_u32_e32 0, v2
	s_cbranch_execz .LBB1_350
; %bb.349:                              ;   in Loop: Header=BB1_280 Depth=1
	s_bcnt1_i32_b32 s12, s12
	s_delay_alu instid0(SALU_CYCLE_1)
	v_dual_mov_b32 v3, v31 :: v_dual_mov_b32 v2, s12
	global_wb scope:SCOPE_SYS
	s_wait_loadcnt 0x0
	s_wait_storecnt 0x0
	global_atomic_add_u64 v[0:1], v[2:3], off offset:8 scope:SCOPE_SYS
.LBB1_350:                              ;   in Loop: Header=BB1_280 Depth=1
	s_wait_xcnt 0x0
	s_or_b32 exec_lo, exec_lo, s11
	s_wait_loadcnt 0x0
	global_load_b64 v[2:3], v[0:1], off offset:16
	s_wait_loadcnt 0x0
	v_cmp_eq_u64_e32 vcc_lo, 0, v[2:3]
	s_cbranch_vccnz .LBB1_352
; %bb.351:                              ;   in Loop: Header=BB1_280 Depth=1
	global_load_b32 v0, v[0:1], off offset:24
	s_wait_xcnt 0x0
	v_mov_b32_e32 v1, v31
	s_wait_loadcnt 0x0
	v_readfirstlane_b32 s11, v0
	global_wb scope:SCOPE_SYS
	s_wait_storecnt 0x0
	global_store_b64 v[2:3], v[0:1], off scope:SCOPE_SYS
	s_and_b32 m0, s11, 0xffffff
	s_sendmsg sendmsg(MSG_INTERRUPT)
.LBB1_352:                              ;   in Loop: Header=BB1_280 Depth=1
	s_wait_xcnt 0x0
	s_or_b32 exec_lo, exec_lo, s1
	v_add_nc_u64_e32 v[0:1], v[6:7], v[30:31]
	s_branch .LBB1_356
.LBB1_353:                              ;   in Loop: Header=BB1_356 Depth=2
	s_wait_xcnt 0x0
	s_or_b32 exec_lo, exec_lo, s1
	s_delay_alu instid0(VALU_DEP_1)
	v_readfirstlane_b32 s1, v2
	s_cmp_eq_u32 s1, 0
	s_cbranch_scc1 .LBB1_355
; %bb.354:                              ;   in Loop: Header=BB1_356 Depth=2
	s_sleep 1
	s_cbranch_execnz .LBB1_356
	s_branch .LBB1_358
.LBB1_355:                              ;   in Loop: Header=BB1_280 Depth=1
	s_branch .LBB1_358
.LBB1_356:                              ;   Parent Loop BB1_280 Depth=1
                                        ; =>  This Inner Loop Header: Depth=2
	v_mov_b32_e32 v2, 1
	s_and_saveexec_b32 s1, s0
	s_cbranch_execz .LBB1_353
; %bb.357:                              ;   in Loop: Header=BB1_356 Depth=2
	global_load_b32 v2, v[34:35], off offset:20 scope:SCOPE_SYS
	s_wait_loadcnt 0x0
	global_inv scope:SCOPE_SYS
	v_and_b32_e32 v2, 1, v2
	s_branch .LBB1_353
.LBB1_358:                              ;   in Loop: Header=BB1_280 Depth=1
	global_load_b64 v[0:1], v[0:1], off
	s_wait_xcnt 0x0
	s_and_saveexec_b32 s11, s0
	s_cbranch_execz .LBB1_279
; %bb.359:                              ;   in Loop: Header=BB1_280 Depth=1
	s_clause 0x2
	global_load_b64 v[2:3], v31, s[2:3] offset:40
	global_load_b64 v[14:15], v31, s[2:3] offset:24 scope:SCOPE_SYS
	global_load_b64 v[6:7], v31, s[2:3]
	s_wait_loadcnt 0x2
	v_readfirstlane_b32 s12, v2
	v_readfirstlane_b32 s13, v3
	s_add_nc_u64 s[0:1], s[12:13], 1
	s_delay_alu instid0(SALU_CYCLE_1) | instskip(NEXT) | instid1(SALU_CYCLE_1)
	s_add_nc_u64 s[4:5], s[0:1], s[4:5]
	s_cmp_eq_u64 s[4:5], 0
	s_cselect_b32 s1, s1, s5
	s_cselect_b32 s0, s0, s4
	s_delay_alu instid0(SALU_CYCLE_1) | instskip(SKIP_1) | instid1(SALU_CYCLE_1)
	v_dual_mov_b32 v13, s1 :: v_dual_mov_b32 v12, s0
	s_and_b64 s[4:5], s[0:1], s[12:13]
	s_mul_u64 s[4:5], s[4:5], 24
	s_wait_loadcnt 0x0
	v_add_nc_u64_e32 v[2:3], s[4:5], v[6:7]
	global_store_b64 v[2:3], v[14:15], off
	global_wb scope:SCOPE_SYS
	s_wait_storecnt 0x0
	s_wait_xcnt 0x0
	global_atomic_cmpswap_b64 v[12:13], v31, v[12:15], s[2:3] offset:24 th:TH_ATOMIC_RETURN scope:SCOPE_SYS
	s_wait_loadcnt 0x0
	v_cmp_ne_u64_e32 vcc_lo, v[12:13], v[14:15]
	s_and_b32 exec_lo, exec_lo, vcc_lo
	s_cbranch_execz .LBB1_279
; %bb.360:                              ;   in Loop: Header=BB1_280 Depth=1
	s_mov_b32 s4, 0
.LBB1_361:                              ;   Parent Loop BB1_280 Depth=1
                                        ; =>  This Inner Loop Header: Depth=2
	v_dual_mov_b32 v10, s0 :: v_dual_mov_b32 v11, s1
	s_sleep 1
	global_store_b64 v[2:3], v[12:13], off
	global_wb scope:SCOPE_SYS
	s_wait_storecnt 0x0
	s_wait_xcnt 0x0
	global_atomic_cmpswap_b64 v[6:7], v31, v[10:13], s[2:3] offset:24 th:TH_ATOMIC_RETURN scope:SCOPE_SYS
	s_wait_loadcnt 0x0
	v_cmp_eq_u64_e32 vcc_lo, v[6:7], v[12:13]
	v_mov_b64_e32 v[12:13], v[6:7]
	s_or_b32 s4, vcc_lo, s4
	s_delay_alu instid0(SALU_CYCLE_1)
	s_and_not1_b32 exec_lo, exec_lo, s4
	s_cbranch_execnz .LBB1_361
	s_branch .LBB1_279
.LBB1_362:
	s_or_b32 exec_lo, exec_lo, s7
                                        ; implicit-def: $vgpr30
                                        ; implicit-def: $vgpr48
.LBB1_363:
	s_and_not1_saveexec_b32 s6, s6
	s_cbranch_execz .LBB1_391
; %bb.364:
	v_readfirstlane_b32 s0, v48
	v_mov_b64_e32 v[2:3], 0
	s_delay_alu instid0(VALU_DEP_2)
	v_cmp_eq_u32_e64 s0, s0, v48
	s_and_saveexec_b32 s1, s0
	s_cbranch_execz .LBB1_370
; %bb.365:
	v_mov_b32_e32 v4, 0
	s_mov_b32 s4, exec_lo
	global_load_b64 v[8:9], v4, s[2:3] offset:24 scope:SCOPE_SYS
	s_wait_loadcnt 0x0
	global_inv scope:SCOPE_SYS
	s_clause 0x1
	global_load_b64 v[2:3], v4, s[2:3] offset:40
	global_load_b64 v[6:7], v4, s[2:3]
	s_wait_loadcnt 0x1
	v_and_b32_e32 v2, v2, v8
	v_and_b32_e32 v3, v3, v9
	s_delay_alu instid0(VALU_DEP_1) | instskip(SKIP_1) | instid1(VALU_DEP_1)
	v_mul_u64_e32 v[2:3], 24, v[2:3]
	s_wait_loadcnt 0x0
	v_add_nc_u64_e32 v[2:3], v[6:7], v[2:3]
	global_load_b64 v[6:7], v[2:3], off scope:SCOPE_SYS
	s_wait_xcnt 0x0
	s_wait_loadcnt 0x0
	global_atomic_cmpswap_b64 v[2:3], v4, v[6:9], s[2:3] offset:24 th:TH_ATOMIC_RETURN scope:SCOPE_SYS
	s_wait_loadcnt 0x0
	global_inv scope:SCOPE_SYS
	s_wait_xcnt 0x0
	v_cmpx_ne_u64_e64 v[2:3], v[8:9]
	s_cbranch_execz .LBB1_369
; %bb.366:
	s_mov_b32 s5, 0
.LBB1_367:                              ; =>This Inner Loop Header: Depth=1
	s_sleep 1
	s_clause 0x1
	global_load_b64 v[6:7], v4, s[2:3] offset:40
	global_load_b64 v[10:11], v4, s[2:3]
	v_mov_b64_e32 v[8:9], v[2:3]
	s_wait_loadcnt 0x1
	s_delay_alu instid0(VALU_DEP_1) | instskip(NEXT) | instid1(VALU_DEP_2)
	v_and_b32_e32 v2, v6, v8
	v_and_b32_e32 v5, v7, v9
	s_wait_loadcnt 0x0
	s_delay_alu instid0(VALU_DEP_2) | instskip(NEXT) | instid1(VALU_DEP_1)
	v_mad_nc_u64_u32 v[2:3], v2, 24, v[10:11]
	v_mad_u32 v3, v5, 24, v3
	global_load_b64 v[6:7], v[2:3], off scope:SCOPE_SYS
	s_wait_xcnt 0x0
	s_wait_loadcnt 0x0
	global_atomic_cmpswap_b64 v[2:3], v4, v[6:9], s[2:3] offset:24 th:TH_ATOMIC_RETURN scope:SCOPE_SYS
	s_wait_loadcnt 0x0
	global_inv scope:SCOPE_SYS
	v_cmp_eq_u64_e32 vcc_lo, v[2:3], v[8:9]
	s_or_b32 s5, vcc_lo, s5
	s_wait_xcnt 0x0
	s_and_not1_b32 exec_lo, exec_lo, s5
	s_cbranch_execnz .LBB1_367
; %bb.368:
	s_or_b32 exec_lo, exec_lo, s5
.LBB1_369:
	s_delay_alu instid0(SALU_CYCLE_1)
	s_or_b32 exec_lo, exec_lo, s4
.LBB1_370:
	s_delay_alu instid0(SALU_CYCLE_1)
	s_or_b32 exec_lo, exec_lo, s1
	v_readfirstlane_b32 s4, v2
	v_mov_b32_e32 v31, 0
	v_readfirstlane_b32 s5, v3
	s_mov_b32 s1, exec_lo
	s_clause 0x1
	global_load_b64 v[8:9], v31, s[2:3] offset:40
	global_load_b128 v[4:7], v31, s[2:3]
	s_wait_loadcnt 0x1
	v_and_b32_e32 v2, s4, v8
	v_and_b32_e32 v3, s5, v9
	s_delay_alu instid0(VALU_DEP_1) | instskip(SKIP_1) | instid1(VALU_DEP_1)
	v_mul_u64_e32 v[8:9], 24, v[2:3]
	s_wait_loadcnt 0x0
	v_add_nc_u64_e32 v[8:9], v[4:5], v[8:9]
	s_wait_xcnt 0x0
	s_and_saveexec_b32 s7, s0
	s_cbranch_execz .LBB1_372
; %bb.371:
	v_mov_b64_e32 v[12:13], 0x100000002
	v_dual_mov_b32 v10, s1 :: v_dual_mov_b32 v11, v31
	global_store_b128 v[8:9], v[10:13], off offset:8
.LBB1_372:
	s_wait_xcnt 0x0
	s_or_b32 exec_lo, exec_lo, s7
	v_lshlrev_b64_e32 v[2:3], 12, v[2:3]
	s_mov_b32 s12, 0
	v_and_or_b32 v0, 0xffffff1f, v0, 32
	s_mov_b32 s13, s12
	s_mov_b32 s14, s12
	;; [unrolled: 1-line block ×3, first 2 shown]
	v_mov_b64_e32 v[10:11], s[12:13]
	v_add_nc_u64_e32 v[6:7], v[6:7], v[2:3]
	v_mov_b64_e32 v[12:13], s[14:15]
	v_dual_mov_b32 v2, v31 :: v_dual_mov_b32 v3, v31
	s_delay_alu instid0(VALU_DEP_3) | instskip(NEXT) | instid1(VALU_DEP_4)
	v_readfirstlane_b32 s10, v6
	v_readfirstlane_b32 s11, v7
	s_clause 0x3
	global_store_b128 v30, v[0:3], s[10:11]
	global_store_b128 v30, v[10:13], s[10:11] offset:16
	global_store_b128 v30, v[10:13], s[10:11] offset:32
	global_store_b128 v30, v[10:13], s[10:11] offset:48
	s_wait_xcnt 0x0
	s_and_saveexec_b32 s1, s0
	s_cbranch_execz .LBB1_380
; %bb.373:
	v_dual_mov_b32 v10, 0 :: v_dual_mov_b32 v13, s5
	s_mov_b32 s7, exec_lo
	s_clause 0x1
	global_load_b64 v[14:15], v10, s[2:3] offset:32 scope:SCOPE_SYS
	global_load_b64 v[0:1], v10, s[2:3] offset:40
	s_wait_loadcnt 0x0
	v_dual_mov_b32 v12, s4 :: v_dual_bitop2_b32 v1, s5, v1 bitop3:0x40
	v_and_b32_e32 v0, s4, v0
	s_delay_alu instid0(VALU_DEP_1) | instskip(NEXT) | instid1(VALU_DEP_1)
	v_mul_u64_e32 v[0:1], 24, v[0:1]
	v_add_nc_u64_e32 v[4:5], v[4:5], v[0:1]
	global_store_b64 v[4:5], v[14:15], off
	global_wb scope:SCOPE_SYS
	s_wait_storecnt 0x0
	s_wait_xcnt 0x0
	global_atomic_cmpswap_b64 v[2:3], v10, v[12:15], s[2:3] offset:32 th:TH_ATOMIC_RETURN scope:SCOPE_SYS
	s_wait_loadcnt 0x0
	v_cmpx_ne_u64_e64 v[2:3], v[14:15]
	s_cbranch_execz .LBB1_376
; %bb.374:
	s_mov_b32 s10, 0
.LBB1_375:                              ; =>This Inner Loop Header: Depth=1
	v_dual_mov_b32 v0, s4 :: v_dual_mov_b32 v1, s5
	s_sleep 1
	global_store_b64 v[4:5], v[2:3], off
	global_wb scope:SCOPE_SYS
	s_wait_storecnt 0x0
	s_wait_xcnt 0x0
	global_atomic_cmpswap_b64 v[0:1], v10, v[0:3], s[2:3] offset:32 th:TH_ATOMIC_RETURN scope:SCOPE_SYS
	s_wait_loadcnt 0x0
	v_cmp_eq_u64_e32 vcc_lo, v[0:1], v[2:3]
	v_mov_b64_e32 v[2:3], v[0:1]
	s_or_b32 s10, vcc_lo, s10
	s_delay_alu instid0(SALU_CYCLE_1)
	s_and_not1_b32 exec_lo, exec_lo, s10
	s_cbranch_execnz .LBB1_375
.LBB1_376:
	s_or_b32 exec_lo, exec_lo, s7
	v_mov_b32_e32 v3, 0
	s_mov_b32 s10, exec_lo
	s_mov_b32 s7, exec_lo
	v_mbcnt_lo_u32_b32 v2, s10, 0
	global_load_b64 v[0:1], v3, s[2:3] offset:16
	s_wait_xcnt 0x0
	v_cmpx_eq_u32_e32 0, v2
	s_cbranch_execz .LBB1_378
; %bb.377:
	s_bcnt1_i32_b32 s10, s10
	s_delay_alu instid0(SALU_CYCLE_1)
	v_mov_b32_e32 v2, s10
	global_wb scope:SCOPE_SYS
	s_wait_loadcnt 0x0
	s_wait_storecnt 0x0
	global_atomic_add_u64 v[0:1], v[2:3], off offset:8 scope:SCOPE_SYS
.LBB1_378:
	s_wait_xcnt 0x0
	s_or_b32 exec_lo, exec_lo, s7
	s_wait_loadcnt 0x0
	global_load_b64 v[2:3], v[0:1], off offset:16
	s_wait_loadcnt 0x0
	v_cmp_eq_u64_e32 vcc_lo, 0, v[2:3]
	s_cbranch_vccnz .LBB1_380
; %bb.379:
	global_load_b32 v0, v[0:1], off offset:24
	s_wait_xcnt 0x0
	v_mov_b32_e32 v1, 0
	s_wait_loadcnt 0x0
	v_readfirstlane_b32 s7, v0
	global_wb scope:SCOPE_SYS
	s_wait_storecnt 0x0
	global_store_b64 v[2:3], v[0:1], off scope:SCOPE_SYS
	s_and_b32 m0, s7, 0xffffff
	s_sendmsg sendmsg(MSG_INTERRUPT)
.LBB1_380:
	s_wait_xcnt 0x0
	s_or_b32 exec_lo, exec_lo, s1
	v_add_nc_u64_e32 v[0:1], v[6:7], v[30:31]
	s_branch .LBB1_384
.LBB1_381:                              ;   in Loop: Header=BB1_384 Depth=1
	s_wait_xcnt 0x0
	s_or_b32 exec_lo, exec_lo, s1
	s_delay_alu instid0(VALU_DEP_1)
	v_readfirstlane_b32 s1, v2
	s_cmp_eq_u32 s1, 0
	s_cbranch_scc1 .LBB1_383
; %bb.382:                              ;   in Loop: Header=BB1_384 Depth=1
	s_sleep 1
	s_cbranch_execnz .LBB1_384
	s_branch .LBB1_386
.LBB1_383:
	s_branch .LBB1_386
.LBB1_384:                              ; =>This Inner Loop Header: Depth=1
	v_mov_b32_e32 v2, 1
	s_and_saveexec_b32 s1, s0
	s_cbranch_execz .LBB1_381
; %bb.385:                              ;   in Loop: Header=BB1_384 Depth=1
	global_load_b32 v2, v[8:9], off offset:20 scope:SCOPE_SYS
	s_wait_loadcnt 0x0
	global_inv scope:SCOPE_SYS
	v_and_b32_e32 v2, 1, v2
	s_branch .LBB1_381
.LBB1_386:
	global_load_b64 v[0:1], v[0:1], off
	s_wait_xcnt 0x0
	s_and_saveexec_b32 s7, s0
	s_cbranch_execz .LBB1_390
; %bb.387:
	v_mov_b32_e32 v8, 0
	s_clause 0x2
	global_load_b64 v[2:3], v8, s[2:3] offset:40
	global_load_b64 v[12:13], v8, s[2:3] offset:24 scope:SCOPE_SYS
	global_load_b64 v[4:5], v8, s[2:3]
	s_wait_loadcnt 0x2
	v_readfirstlane_b32 s10, v2
	v_readfirstlane_b32 s11, v3
	s_add_nc_u64 s[0:1], s[10:11], 1
	s_delay_alu instid0(SALU_CYCLE_1) | instskip(NEXT) | instid1(SALU_CYCLE_1)
	s_add_nc_u64 s[4:5], s[0:1], s[4:5]
	s_cmp_eq_u64 s[4:5], 0
	s_cselect_b32 s1, s1, s5
	s_cselect_b32 s0, s0, s4
	v_mov_b32_e32 v11, s1
	s_and_b64 s[4:5], s[0:1], s[10:11]
	v_mov_b32_e32 v10, s0
	s_mul_u64 s[4:5], s[4:5], 24
	s_wait_loadcnt 0x0
	v_add_nc_u64_e32 v[6:7], s[4:5], v[4:5]
	global_store_b64 v[6:7], v[12:13], off
	global_wb scope:SCOPE_SYS
	s_wait_storecnt 0x0
	s_wait_xcnt 0x0
	global_atomic_cmpswap_b64 v[4:5], v8, v[10:13], s[2:3] offset:24 th:TH_ATOMIC_RETURN scope:SCOPE_SYS
	s_wait_loadcnt 0x0
	v_cmp_ne_u64_e32 vcc_lo, v[4:5], v[12:13]
	s_and_b32 exec_lo, exec_lo, vcc_lo
	s_cbranch_execz .LBB1_390
; %bb.388:
	s_mov_b32 s4, 0
.LBB1_389:                              ; =>This Inner Loop Header: Depth=1
	v_dual_mov_b32 v2, s0 :: v_dual_mov_b32 v3, s1
	s_sleep 1
	global_store_b64 v[6:7], v[4:5], off
	global_wb scope:SCOPE_SYS
	s_wait_storecnt 0x0
	s_wait_xcnt 0x0
	global_atomic_cmpswap_b64 v[2:3], v8, v[2:5], s[2:3] offset:24 th:TH_ATOMIC_RETURN scope:SCOPE_SYS
	s_wait_loadcnt 0x0
	v_cmp_eq_u64_e32 vcc_lo, v[2:3], v[4:5]
	v_mov_b64_e32 v[4:5], v[2:3]
	s_or_b32 s4, vcc_lo, s4
	s_delay_alu instid0(SALU_CYCLE_1)
	s_and_not1_b32 exec_lo, exec_lo, s4
	s_cbranch_execnz .LBB1_389
.LBB1_390:
	s_or_b32 exec_lo, exec_lo, s7
.LBB1_391:
	s_delay_alu instid0(SALU_CYCLE_1)
	s_or_b32 exec_lo, exec_lo, s6
	s_get_pc_i64 s[0:1]
	s_add_nc_u64 s[0:1], s[0:1], .str.3@rel64+4
	s_get_pc_i64 s[2:3]
	s_add_nc_u64 s[2:3], s[2:3], .str.3@rel64+32
	v_dual_mov_b32 v2, s0 :: v_dual_mov_b32 v3, s1
	s_sub_co_i32 s4, s2, s0
	v_mov_b32_e32 v6, 1
	s_ashr_i32 s5, s4, 31
	s_delay_alu instid0(SALU_CYCLE_1) | instskip(SKIP_2) | instid1(SALU_CYCLE_1)
	v_dual_mov_b32 v4, s4 :: v_dual_mov_b32 v5, s5
	s_get_pc_i64 s[2:3]
	s_add_nc_u64 s[2:3], s[2:3], __ockl_fprintf_append_string_n@rel64+4
	s_swap_pc_i64 s[30:31], s[2:3]
	s_trap 2
.Lfunc_end1:
	.size	__assert_fail, .Lfunc_end1-__assert_fail
                                        ; -- End function
	.set .L__assert_fail.num_vgpr, max(49, .L__ockl_fprintf_append_string_n.num_vgpr)
	.set .L__assert_fail.num_agpr, max(0, .L__ockl_fprintf_append_string_n.num_agpr)
	.set .L__assert_fail.numbered_sgpr, max(34, .L__ockl_fprintf_append_string_n.numbered_sgpr)
	.set .L__assert_fail.num_named_barrier, max(0, .L__ockl_fprintf_append_string_n.num_named_barrier)
	.set .L__assert_fail.private_seg_size, 64+max(.L__ockl_fprintf_append_string_n.private_seg_size)
	.set .L__assert_fail.uses_vcc, or(1, .L__ockl_fprintf_append_string_n.uses_vcc)
	.set .L__assert_fail.uses_flat_scratch, or(1, .L__ockl_fprintf_append_string_n.uses_flat_scratch)
	.set .L__assert_fail.has_dyn_sized_stack, or(0, .L__ockl_fprintf_append_string_n.has_dyn_sized_stack)
	.set .L__assert_fail.has_recursion, or(0, .L__ockl_fprintf_append_string_n.has_recursion)
	.set .L__assert_fail.has_indirect_call, or(0, .L__ockl_fprintf_append_string_n.has_indirect_call)
	.section	.AMDGPU.csdata,"",@progbits
; Function info:
; codeLenInByte = 15740
; TotalNumSgprs: 36
; NumVgprs: 49
; ScratchSize: 64
; MemoryBound: 0
	.text
	.p2align	2                               ; -- Begin function _ZN12_GLOBAL__N_17runRingI14__hip_fp8_e5m213FuncPreMulSumIS1_E11ProtoSimpleILi1ELi1ELi0ELi1ELi0ELi0EELi0ELi1ELi0EEEviiP15ncclDevWorkColl
	.type	_ZN12_GLOBAL__N_17runRingI14__hip_fp8_e5m213FuncPreMulSumIS1_E11ProtoSimpleILi1ELi1ELi0ELi1ELi0ELi0EELi0ELi1ELi0EEEviiP15ncclDevWorkColl,@function
_ZN12_GLOBAL__N_17runRingI14__hip_fp8_e5m213FuncPreMulSumIS1_E11ProtoSimpleILi1ELi1ELi0ELi1ELi0ELi0EELi0ELi1ELi0EEEviiP15ncclDevWorkColl: ; @_ZN12_GLOBAL__N_17runRingI14__hip_fp8_e5m213FuncPreMulSumIS1_E11ProtoSimpleILi1ELi1ELi0ELi1ELi0ELi0EELi0ELi1ELi0EEEviiP15ncclDevWorkColl
; %bb.0:
	s_wait_loadcnt_dscnt 0x0
	s_wait_kmcnt 0x0
	s_mov_b32 s46, s33
	s_mov_b32 s33, s32
	s_or_saveexec_b32 s0, -1
	scratch_store_b32 off, v90, s33 offset:104 ; 4-byte Folded Spill
	s_wait_xcnt 0x0
	s_mov_b32 exec_lo, s0
	s_addk_co_i32 s32, 0x70
	s_clause 0x19
	scratch_store_b32 off, v40, s33 offset:100
	; meta instruction
	scratch_store_b32 off, v41, s33 offset:96
	; meta instruction
	;; [unrolled: 2-line block ×25, first 2 shown]
	scratch_store_b32 off, v89, s33
	v_writelane_b32 v90, s30, 0
	v_writelane_b32 v90, s31, 1
	s_trap 2
	ds_load_b64 v[34:35], v0
	ds_load_b32 v9, v0
	flat_load_b64 v[6:7], v[2:3]
                                        ; implicit-def: $vgpr28_vgpr29
                                        ; implicit-def: $vgpr4_vgpr5
                                        ; implicit-def: $vgpr14_vgpr15
	s_wait_dscnt 0x2
	v_readfirstlane_b32 s0, v34
	v_readfirstlane_b32 s1, v35
	flat_load_u16 v25, v[2:3] offset:8
	flat_load_b32 v21, v35, s[0:1] offset:-4 scale_offset
	s_wait_xcnt 0x0
	s_mov_b32 s0, exec_lo
	s_wait_loadcnt_dscnt 0x202
	v_and_b32_e32 v8, 0xff, v6
	v_mov_b32_e32 v24, v7
	s_delay_alu instid0(VALU_DEP_2)
	v_cmpx_ne_u32_e64 v9, v8
	s_xor_b32 s0, exec_lo, s0
	s_cbranch_execz .LBB2_6
; %bb.1:
	v_bfe_u32 v10, v6, 8, 8
	v_not_b32_e32 v8, v8
	s_mov_b32 s1, exec_lo
                                        ; implicit-def: $vgpr28_vgpr29
                                        ; implicit-def: $vgpr4_vgpr5
                                        ; implicit-def: $vgpr14_vgpr15
	s_delay_alu instid0(VALU_DEP_2)
	v_cmpx_ne_u32_e64 v9, v10
	s_xor_b32 s1, exec_lo, s1
	s_cbranch_execz .LBB2_3
; %bb.2:
	s_clause 0x1
	flat_load_b128 v[4:7], v[2:3] offset:72
	flat_load_b64 v[10:11], v[2:3] offset:96
	v_add_nc_u32_e32 v8, v9, v8
	s_wait_loadcnt_dscnt 0x101
	s_delay_alu instid0(VALU_DEP_1) | instskip(SKIP_3) | instid1(VALU_DEP_3)
	v_mad_nc_u64_u32 v[14:15], v6, v8, v[4:5]
	v_ashrrev_i32_e32 v5, 31, v8
	s_wait_loadcnt_dscnt 0x0
	v_lshrrev_b64 v[28:29], 12, v[10:11]
                                        ; implicit-def: $vgpr10
	v_mad_u32 v4, v7, v8, v15
                                        ; implicit-def: $vgpr8
	s_delay_alu instid0(VALU_DEP_1)
	v_mad_u32 v15, v6, v5, v4
	v_mov_b64_e32 v[4:5], v[6:7]
.LBB2_3:
	s_wait_xcnt 0x0
	s_and_not1_saveexec_b32 s1, s1
	s_cbranch_execz .LBB2_5
; %bb.4:
	s_clause 0x1
	flat_load_b128 v[14:17], v[2:3] offset:72
	flat_load_b128 v[4:7], v[2:3] offset:88
	s_wait_loadcnt_dscnt 0x0
	v_dual_add_nc_u32 v6, v10, v8 :: v_dual_lshrrev_b32 v28, 1, v7
	s_delay_alu instid0(VALU_DEP_1) | instskip(NEXT) | instid1(VALU_DEP_1)
	v_mad_nc_u64_u32 v[14:15], v16, v6, v[14:15]
	v_mad_u32 v8, v17, v6, v15
	v_ashrrev_i32_e32 v6, 31, v6
	s_delay_alu instid0(VALU_DEP_1)
	v_mad_u32 v15, v16, v6, v8
.LBB2_5:
	s_wait_xcnt 0x0
	s_or_b32 exec_lo, exec_lo, s1
.LBB2_6:
	s_and_not1_saveexec_b32 s0, s0
	s_cbranch_execz .LBB2_8
; %bb.7:
	s_clause 0x1
	flat_load_b64 v[6:7], v[2:3] offset:96
	flat_load_b64 v[4:5], v[2:3] offset:72
	v_mov_b64_e32 v[14:15], 0
	s_wait_loadcnt_dscnt 0x101
	v_lshlrev_b64_e32 v[28:29], 9, v[6:7]
.LBB2_8:
	s_wait_xcnt 0x0
	s_or_b32 exec_lo, exec_lo, s0
	s_trap 2
	ds_load_b64 v[6:7], v0
	s_mov_b32 s1, 0
	s_mov_b32 s2, exec_lo
	s_wait_dscnt 0x0
	v_cmp_ne_u32_e32 vcc_lo, -1, v6
	v_cndmask_b32_e64 v30, 0, 1, vcc_lo
	v_cmp_ne_u32_e32 vcc_lo, -1, v7
	s_delay_alu instid0(VALU_DEP_2) | instskip(NEXT) | instid1(VALU_DEP_1)
	v_add_co_ci_u32_e64 v6, null, 0, v30, vcc_lo
	v_lshlrev_b32_e32 v7, 1, v6
	s_delay_alu instid0(VALU_DEP_1)
	v_cmpx_le_u32_e64 v7, v1
	s_xor_b32 s14, exec_lo, s2
	s_cbranch_execnz .LBB2_9
; %bb.8072:
	s_add_pc_i64 .LBB2_8069-.Lpost_addpc0
.Lpost_addpc0:
.LBB2_9:
	s_clause 0x1
	flat_load_b128 v[10:13], v[2:3] offset:16
	flat_load_b64 v[36:37], v[2:3] offset:104
	s_trap 2
	s_load_b32 s0, s[8:9], 0x0
	s_bfe_u32 s2, ttmp6, 0x4000c
	s_and_b32 s3, ttmp6, 15
	s_add_co_i32 s2, s2, 1
	s_getreg_b32 s4, hwreg(HW_REG_IB_STS2, 6, 4)
	s_mul_i32 s2, ttmp9, s2
	v_dual_mov_b32 v2, 0 :: v_dual_mov_b32 v56, 4
	s_add_co_i32 s3, s3, s2
	s_cmp_eq_u32 s4, 0
	s_cselect_b32 s2, ttmp9, s3
	s_wait_kmcnt 0x0
	s_cmp_lt_u32 s2, s0
	s_cselect_b32 s0, 12, 18
	s_delay_alu instid0(SALU_CYCLE_1)
	s_add_nc_u64 s[0:1], s[8:9], s[0:1]
	global_load_u16 v35, v2, s[0:1]
	s_wait_xcnt 0x0
	ds_load_b32 v2, v0
	s_mov_b32 s1, exec_lo
	s_wait_dscnt 0x0
	v_readfirstlane_b32 s15, v2
	v_cmpx_ge_u32_e64 v0, v30
	s_cbranch_execz .LBB2_19
; %bb.10:
	v_cmp_ge_u32_e64 s0, v0, v6
                                        ; implicit-def: $vgpr56
	s_and_saveexec_b32 s2, s0
	s_delay_alu instid0(SALU_CYCLE_1)
	s_xor_b32 s0, exec_lo, s2
	s_cbranch_execz .LBB2_16
; %bb.11:
	v_cndmask_b32_e64 v2, 0, 1, vcc_lo
	s_mov_b32 s2, exec_lo
	s_delay_alu instid0(VALU_DEP_1) | instskip(NEXT) | instid1(VALU_DEP_1)
	v_sub_nc_u32_e32 v2, v1, v2
	v_cmpx_ge_u32_e64 v0, v2
	s_xor_b32 s2, exec_lo, s2
; %bb.12:
                                        ; implicit-def: $vgpr6
; %bb.13:
	s_delay_alu instid0(SALU_CYCLE_1)
	s_or_saveexec_b32 s2, s2
	v_mov_b32_e32 v56, 16
	s_xor_b32 exec_lo, exec_lo, s2
; %bb.14:
	v_sub_nc_u32_e32 v2, v1, v6
	s_delay_alu instid0(VALU_DEP_1)
	v_cmp_lt_i32_e32 vcc_lo, v0, v2
	v_cndmask_b32_e64 v56, 32, 0, vcc_lo
; %bb.15:
	s_or_b32 exec_lo, exec_lo, s2
.LBB2_16:
	s_and_not1_saveexec_b32 s0, s0
; %bb.17:
	v_mov_b32_e32 v56, 8
; %bb.18:
	s_or_b32 exec_lo, exec_lo, s0
.LBB2_19:
	s_delay_alu instid0(SALU_CYCLE_1) | instskip(NEXT) | instid1(VALU_DEP_1)
	s_or_b32 exec_lo, exec_lo, s1
	v_dual_mov_b32 v29, -1 :: v_dual_bitop2_b32 v2, 36, v56 bitop3:0x40
	s_delay_alu instid0(VALU_DEP_1)
	v_cmp_ne_u32_e32 vcc_lo, 0, v2
	s_and_saveexec_b32 s0, vcc_lo
	s_cbranch_execz .LBB2_21
; %bb.20:
	s_trap 2
	ds_load_b32 v29, v0
.LBB2_21:
	s_or_b32 exec_lo, exec_lo, s0
	v_and_b32_e32 v2, 24, v56
	s_mov_b32 s1, exec_lo
	s_delay_alu instid0(VALU_DEP_1)
	v_cmpx_ne_u32_e32 0, v2
	s_cbranch_execz .LBB2_23
; %bb.22:
	s_trap 2
	s_wait_dscnt 0x0
	ds_load_b32 v29, v0
.LBB2_23:
	s_or_b32 exec_lo, exec_lo, s1
	s_wait_loadcnt 0x4
	v_lshrrev_b64 v[2:3], 31, v[24:25]
	v_mov_b64_e32 v[16:17], 0
	v_mov_b64_e32 v[6:7], 0
                                        ; implicit-def: $vgpr20
                                        ; implicit-def: $vgpr26_vgpr27
                                        ; implicit-def: $vgpr22_vgpr23
                                        ; implicit-def: $vgpr18_vgpr19
	s_delay_alu instid0(VALU_DEP_3) | instskip(NEXT) | instid1(VALU_DEP_1)
	v_and_b32_e32 v2, 3, v2
	v_and_b32_e32 v25, 0xffff, v2
                                        ; implicit-def: $vgpr2_vgpr3
	s_and_saveexec_b32 s0, vcc_lo
	s_cbranch_execz .LBB2_33
; %bb.24:
	s_trap 2
	ds_load_b64 v[2:3], v0
	s_wait_dscnt 0x0
	v_readfirstlane_b32 s2, v2
	v_readfirstlane_b32 s3, v3
	flat_load_b64 v[2:3], v29, s[2:3] scale_offset
	s_wait_loadcnt_dscnt 0x0
	v_mad_nc_u64_u32 v[32:33], 0xa8, v25, v[2:3]
	flat_load_b32 v2, v[32:33] offset:640
	s_wait_loadcnt_dscnt 0x0
	v_cmp_eq_u32_e32 vcc_lo, 1, v2
                                        ; implicit-def: $vgpr2_vgpr3
	s_wait_xcnt 0x0
	s_and_saveexec_b32 s1, vcc_lo
	s_cbranch_execz .LBB2_26
; %bb.25:
	flat_load_b64 v[2:3], v[32:33] offset:648
	v_or_b32_e32 v56, 0x2000, v56
	s_wait_loadcnt_dscnt 0x0
	flat_load_b64 v[6:7], v[2:3]
	s_trap 2
	s_wait_loadcnt_dscnt 0x0
	ds_store_b64 v0, v[6:7]
	flat_load_b64 v[6:7], v[2:3] offset:8
	s_wait_loadcnt_dscnt 0x0
	ds_store_b64 v0, v[6:7]
	flat_load_b64 v[6:7], v[2:3] offset:16
	s_wait_loadcnt_dscnt 0x0
	ds_store_b64 v0, v[6:7]
.LBB2_26:
	s_wait_xcnt 0x0
	s_or_b32 exec_lo, exec_lo, s1
	flat_load_b64 v[8:9], v[32:33] offset:608
	v_and_b32_e32 v6, 32, v56
	s_mov_b32 s1, exec_lo
                                        ; implicit-def: $vgpr18_vgpr19
	s_wait_xcnt 0x0
	s_delay_alu instid0(VALU_DEP_1)
	v_cmpx_ne_u32_e32 0, v6
	s_cbranch_execz .LBB2_28
; %bb.27:
	flat_load_b64 v[18:19], v[32:33] offset:560
	global_wb scope:SCOPE_SYS
	s_wait_storecnt 0x0
	s_wait_xcnt 0x0
	s_wait_loadcnt_dscnt 0x0
	flat_store_b64 v[18:19], v[8:9] scope:SCOPE_SYS
.LBB2_28:
	s_wait_xcnt 0x0
	s_or_b32 exec_lo, exec_lo, s1
	v_and_b32_e32 v20, 4, v56
	v_add_nc_u64_e32 v[16:17], 0x1f8, v[32:33]
	v_mov_b64_e32 v[6:7], 0
                                        ; implicit-def: $vgpr26_vgpr27
                                        ; implicit-def: $vgpr22_vgpr23
	s_delay_alu instid0(VALU_DEP_3)
	v_cmp_ne_u32_e32 vcc_lo, 0, v20
                                        ; implicit-def: $vgpr20
	s_and_saveexec_b32 s1, vcc_lo
	s_cbranch_execz .LBB2_32
; %bb.29:
	v_and_b32_e32 v6, 0x800, v56
	s_mov_b32 s2, exec_lo
	s_delay_alu instid0(VALU_DEP_1)
	v_cmpx_eq_u32_e32 0, v6
	s_cbranch_execz .LBB2_31
; %bb.30:
	s_trap 2
	ds_store_b64 v0, v[16:17]
.LBB2_31:
	s_or_b32 exec_lo, exec_lo, s2
	flat_load_b64 v[18:19], v[32:33] offset:552
	s_wait_loadcnt_dscnt 0x0
	flat_load_b64 v[26:27], v[18:19] scope:SCOPE_SYS
	s_clause 0x2
	flat_load_b64 v[6:7], v[32:33] offset:600
	flat_load_b32 v20, v[32:33] offset:576
	flat_load_b64 v[22:23], v[32:33] offset:520
	s_wait_xcnt 0x0
	v_or_b32_e32 v32, 0x100, v56
	s_wait_loadcnt_dscnt 0x202
	v_cmp_eq_u64_e32 vcc_lo, 0, v[6:7]
	s_delay_alu instid0(VALU_DEP_2)
	v_cndmask_b32_e32 v56, v32, v56, vcc_lo
.LBB2_32:
	s_or_b32 exec_lo, exec_lo, s1
.LBB2_33:
	s_delay_alu instid0(SALU_CYCLE_1) | instskip(NEXT) | instid1(VALU_DEP_1)
	s_or_b32 exec_lo, exec_lo, s0
	v_and_b32_e32 v32, 24, v56
	s_delay_alu instid0(VALU_DEP_1)
	v_cmp_ne_u32_e32 vcc_lo, 0, v32
                                        ; implicit-def: $vgpr32_vgpr33
	s_and_saveexec_b32 s0, vcc_lo
	s_cbranch_execz .LBB2_41
; %bb.34:
	s_trap 2
	ds_load_b64 v[6:7], v0
	s_mov_b32 s1, exec_lo
                                        ; implicit-def: $vgpr32_vgpr33
	s_wait_dscnt 0x0
	v_readfirstlane_b32 s2, v6
	v_readfirstlane_b32 s3, v7
	flat_load_b64 v[6:7], v29, s[2:3] scale_offset
	s_wait_loadcnt_dscnt 0x0
	v_mad_nc_u64_u32 v[16:17], 0xa8, v25, v[6:7]
	v_or_b32_e32 v25, 0x100, v56
	flat_load_b128 v[6:9], v[16:17] offset:96
	s_wait_loadcnt_dscnt 0x0
	v_cmp_eq_u64_e32 vcc_lo, 0, v[6:7]
	v_cndmask_b32_e32 v56, v25, v56, vcc_lo
	s_delay_alu instid0(VALU_DEP_1) | instskip(SKIP_1) | instid1(VALU_DEP_1)
	v_and_b32_e32 v25, 16, v56
	s_wait_xcnt 0x0
	v_cmpx_ne_u32_e32 0, v25
	s_cbranch_execz .LBB2_36
; %bb.35:
	s_clause 0x2
	flat_load_b64 v[18:19], v[16:17] offset:48
	flat_load_b64 v[32:33], v[16:17] offset:120
	;; [unrolled: 1-line block ×3, first 2 shown]
.LBB2_36:
	s_wait_xcnt 0x0
	s_or_b32 exec_lo, exec_lo, s1
	v_and_b32_e32 v25, 8, v56
	s_mov_b32 s1, exec_lo
	s_delay_alu instid0(VALU_DEP_1)
	v_cmpx_ne_u32_e32 0, v25
	s_cbranch_execz .LBB2_40
; %bb.37:
	s_wait_loadcnt_dscnt 0x202
	v_and_b32_e32 v18, 0x800, v56
	s_mov_b32 s2, exec_lo
	s_delay_alu instid0(VALU_DEP_1)
	v_cmpx_eq_u32_e32 0, v18
	s_cbranch_execz .LBB2_39
; %bb.38:
	s_trap 2
	ds_store_b64 v0, v[16:17]
.LBB2_39:
	s_or_b32 exec_lo, exec_lo, s2
	flat_load_b64 v[18:19], v[16:17] offset:56
	s_wait_loadcnt_dscnt 0x0
	flat_load_b64 v[26:27], v[18:19] scope:SCOPE_SYS
	s_clause 0x1
	flat_load_b32 v20, v[16:17] offset:72
	flat_load_b64 v[22:23], v[16:17] offset:16
.LBB2_40:
	s_wait_xcnt 0x0
	s_or_b32 exec_lo, exec_lo, s1
.LBB2_41:
	s_delay_alu instid0(SALU_CYCLE_1)
	s_or_b32 exec_lo, exec_lo, s0
	v_cmp_eq_u32_e64 s0, 0, v0
	s_and_saveexec_b32 s1, s0
	s_cbranch_execz .LBB2_43
; %bb.42:
	v_mov_b64_e32 v[38:39], 0
	s_wait_loadcnt 0x2
	ds_store_2addr_b64 v0, v[12:13], v[10:11] offset1:1
	s_trap 2
	ds_store_b64 v0, v[38:39]
	s_wait_loadcnt 0x1
	ds_store_b64 v0, v[36:37]
.LBB2_43:
	s_or_b32 exec_lo, exec_lo, s1
	s_wait_loadcnt 0x2
	v_bfe_u32 v10, v24, 1, 30
	v_and_b32_e32 v28, 0x3ffffe00, v28
	s_wait_dscnt 0x0
	v_mov_b32_e32 v29, 0
	s_wait_loadcnt 0x0
	v_and_b32_e32 v57, 0xffff, v35
                                        ; implicit-def: $vgpr24_vgpr25
	s_mov_b32 s1, exec_lo
	v_cmpx_ne_u32_e64 v21, v10
	s_xor_b32 s16, exec_lo, s1
	s_cbranch_execnz .LBB2_44
; %bb.8074:
	s_add_pc_i64 .LBB2_6085-.Lpost_addpc1
.Lpost_addpc1:
.LBB2_44:
                                        ; implicit-def: $vgpr24_vgpr25
	s_mov_b32 s1, exec_lo
	v_cmpx_ne_u32_e64 v34, v10
	s_xor_b32 s17, exec_lo, s1
	s_cbranch_execz .LBB2_3070
; %bb.45:
	v_mov_b64_e32 v[24:25], 0
	s_mov_b32 s18, exec_lo
	v_cmpx_ne_u64_e32 0, v[4:5]
	s_cbranch_execz .LBB2_3069
; %bb.46:
	s_ashr_i32 s2, s15, 31
	v_dual_ashrrev_i32 v21, 31, v20 :: v_dual_bitop2_b32 v10, 31, v31 bitop3:0x40
	v_dual_mov_b32 v35, 0 :: v_dual_bitop2_b32 v58, 31, v0 bitop3:0x40
	v_lshrrev_b32_e32 v36, 5, v1
	s_lshr_b32 s2, s2, 24
	v_cmp_eq_u32_e32 vcc_lo, 32, v1
	s_add_co_i32 s2, s15, s2
	v_mov_b64_e32 v[54:55], 0
	v_cmp_eq_u64_e64 s7, 0, v[32:33]
	v_mov_b64_e32 v[64:65], 0
	v_mov_b64_e32 v[24:25], 0
	v_cmp_ge_u32_e64 s1, v0, v1
	s_ashr_i32 s19, s2, 8
	v_cmp_ne_u32_e64 s2, 32, v1
	v_cmp_ne_u32_e64 s3, v1, v57
	v_cmp_eq_u32_e64 s4, 0, v10
	v_mov_b32_e32 v37, v35
	v_cmp_le_u32_e64 s5, v58, v30
	v_cmp_lt_u32_e64 s6, v58, v30
	v_dual_lshrrev_b32 v59, 5, v0 :: v_dual_lshlrev_b32 v38, 4, v0
	v_dual_mov_b32 v39, v35 :: v_dual_lshlrev_b32 v48, 9, v36
	v_dual_mov_b32 v49, v35 :: v_dual_lshlrev_b32 v50, 8, v36
	v_dual_mov_b32 v51, v35 :: v_dual_mov_b32 v53, v35
	v_and_b32_e32 v52, 0x1fe0, v1
	v_dual_mov_b32 v60, 1 :: v_dual_mov_b32 v61, 0x90
	v_mov_b32_e32 v62, 0x7f800000
	v_mov_b32_e32 v63, 0x7c
	s_mov_b64 s[12:13], 0xffffffffffffff
	s_mov_b32 s20, 0
	s_xor_b32 s21, vcc_lo, -1
	s_mov_b32 s22, 0x7f800000
	s_trap 2
	s_branch .LBB2_49
.LBB2_47:                               ;   in Loop: Header=BB2_49 Depth=1
	s_wait_xcnt 0x0
	s_or_b32 exec_lo, exec_lo, s10
.LBB2_48:                               ;   in Loop: Header=BB2_49 Depth=1
	s_delay_alu instid0(SALU_CYCLE_1) | instskip(SKIP_1) | instid1(VALU_DEP_1)
	s_or_b32 exec_lo, exec_lo, s11
	v_add_nc_u64_e32 v[64:65], v[64:65], v[28:29]
	v_cmp_ge_u64_e32 vcc_lo, v[64:65], v[4:5]
	s_or_b32 s20, vcc_lo, s20
	s_delay_alu instid0(SALU_CYCLE_1)
	s_and_not1_b32 exec_lo, exec_lo, s20
	s_cbranch_execz .LBB2_3068
.LBB2_49:                               ; =>This Loop Header: Depth=1
                                        ;     Child Loop BB2_57 Depth 2
                                        ;     Child Loop BB2_86 Depth 2
	;; [unrolled: 1-line block ×10, first 2 shown]
	v_sub_nc_u64_e32 v[10:11], v[4:5], v[64:65]
	s_delay_alu instid0(VALU_DEP_1) | instskip(NEXT) | instid1(VALU_DEP_1)
	v_min_u64 v[66:67], v[28:29], v[10:11]
	v_add_nc_u32_e32 v10, 15, v66
	s_delay_alu instid0(VALU_DEP_2) | instskip(NEXT) | instid1(VALU_DEP_2)
	v_cmp_eq_u64_e32 vcc_lo, 0, v[66:67]
	v_and_b32_e32 v10, 0x7ffffff0, v10
	s_or_b32 s23, s1, vcc_lo
	s_delay_alu instid0(SALU_CYCLE_1) | instskip(NEXT) | instid1(VALU_DEP_1)
	s_xor_b32 s10, s23, -1
	v_dual_mov_b32 v10, v35 :: v_dual_max_i32 v68, s19, v10
	s_and_saveexec_b32 s24, s10
	s_cbranch_execz .LBB2_3016
; %bb.50:                               ;   in Loop: Header=BB2_49 Depth=1
	s_and_saveexec_b32 s10, s0
	s_cbranch_execz .LBB2_52
; %bb.51:                               ;   in Loop: Header=BB2_49 Depth=1
	s_trap 2
	ds_load_b64 v[10:11], v0
	s_wait_dscnt 0x0
	v_add_nc_u64_e32 v[10:11], v[10:11], v[14:15]
	s_delay_alu instid0(VALU_DEP_1)
	v_add_nc_u64_e32 v[10:11], v[10:11], v[64:65]
	ds_store_b64 v0, v[10:11]
	ds_store_b64 v0, v[54:55]
.LBB2_52:                               ;   in Loop: Header=BB2_49 Depth=1
	s_or_b32 exec_lo, exec_lo, s10
	v_and_b32_e32 v10, 12, v56
	v_min_u32_e32 v68, v68, v66
	s_mov_b32 s11, exec_lo
	s_delay_alu instid0(VALU_DEP_2)
	v_cmpx_ne_u32_e32 0, v10
	s_cbranch_execz .LBB2_78
; %bb.53:                               ;   in Loop: Header=BB2_49 Depth=1
	v_and_b32_e32 v34, 8, v56
	v_add_nc_u64_e32 v[10:11], 1, v[8:9]
	s_mov_b32 s25, exec_lo
	s_wait_loadcnt 0x0
	s_delay_alu instid0(VALU_DEP_2) | instskip(NEXT) | instid1(VALU_DEP_1)
	v_add_nc_u64_e32 v[12:13], v[26:27], v[34:35]
	v_cmpx_lt_u64_e64 v[12:13], v[10:11]
	s_cbranch_execz .LBB2_65
; %bb.54:                               ;   in Loop: Header=BB2_49 Depth=1
	v_and_b32_e32 v9, 64, v56
	s_mov_b32 s26, 0
	s_mov_b32 s40, 0
                                        ; implicit-def: $sgpr27
                                        ; implicit-def: $sgpr28
                                        ; implicit-def: $sgpr29
	s_delay_alu instid0(VALU_DEP_1)
	v_cmp_eq_u32_e32 vcc_lo, 0, v9
	s_branch .LBB2_57
.LBB2_55:                               ;   in Loop: Header=BB2_57 Depth=2
	s_or_b32 exec_lo, exec_lo, s45
	s_delay_alu instid0(SALU_CYCLE_1)
	s_and_not1_b32 s10, s29, exec_lo
	s_and_b32 s29, s43, exec_lo
	s_and_not1_b32 s28, s28, exec_lo
	s_and_b32 s42, s42, exec_lo
	s_or_b32 s29, s10, s29
	s_or_b32 s28, s28, s42
.LBB2_56:                               ;   in Loop: Header=BB2_57 Depth=2
	s_or_b32 exec_lo, exec_lo, s41
	s_delay_alu instid0(SALU_CYCLE_1) | instskip(NEXT) | instid1(SALU_CYCLE_1)
	s_and_b32 s10, exec_lo, s28
	s_or_b32 s26, s10, s26
	s_and_not1_b32 s10, s27, exec_lo
	s_and_b32 s27, s29, exec_lo
	s_delay_alu instid0(SALU_CYCLE_1)
	s_or_b32 s27, s10, s27
	s_and_not1_b32 exec_lo, exec_lo, s26
	s_cbranch_execz .LBB2_62
.LBB2_57:                               ;   Parent Loop BB2_49 Depth=1
                                        ; =>  This Inner Loop Header: Depth=2
	s_sleep 1
	s_wait_loadcnt_dscnt 0x0
	flat_load_b64 v[26:27], v[18:19] scope:SCOPE_SYS
	s_or_b32 s29, s29, exec_lo
	s_or_b32 s28, s28, exec_lo
                                        ; implicit-def: $vgpr9
	s_wait_xcnt 0x0
	s_and_saveexec_b32 s41, vcc_lo
	s_cbranch_execz .LBB2_56
; %bb.58:                               ;   in Loop: Header=BB2_57 Depth=2
	s_cmp_lt_i32 s40, 0x270f
	s_mov_b32 s42, -1
	s_cselect_b32 s44, -1, 0
	s_cmp_gt_i32 s40, 0x270e
	s_cbranch_scc0 .LBB2_60
; %bb.59:                               ;   in Loop: Header=BB2_57 Depth=2
	s_trap 2
	ds_load_b64 v[12:13], v0
	s_and_not1_b32 s40, s44, exec_lo
	s_mov_b32 s43, 0
	s_wait_storecnt 0x0
	s_wait_loadcnt_dscnt 0x0
	flat_load_b32 v9, v[12:13] scope:SCOPE_SYS
	s_wait_loadcnt_dscnt 0x0
	global_inv scope:SCOPE_SYS
	v_cmp_eq_u32_e64 s10, 0, v9
	s_and_b32 s10, s10, exec_lo
	s_delay_alu instid0(SALU_CYCLE_1)
	s_or_b32 s44, s40, s10
	s_mov_b32 s40, 0
	s_and_saveexec_b32 s45, s44
	s_cbranch_execz .LBB2_55
	s_branch .LBB2_61
.LBB2_60:                               ;   in Loop: Header=BB2_57 Depth=2
	s_add_co_i32 s40, s40, 1
	s_mov_b32 s43, -1
                                        ; implicit-def: $vgpr9
	s_and_saveexec_b32 s45, s44
	s_cbranch_execz .LBB2_55
.LBB2_61:                               ;   in Loop: Header=BB2_57 Depth=2
	s_wait_loadcnt_dscnt 0x0
	v_add_nc_u64_e32 v[12:13], v[26:27], v[34:35]
	s_or_b32 s43, s43, exec_lo
	s_delay_alu instid0(VALU_DEP_1)
	v_cmp_ge_u64_e64 s10, v[12:13], v[10:11]
	s_or_not1_b32 s42, s10, exec_lo
	s_branch .LBB2_55
.LBB2_62:                               ;   in Loop: Header=BB2_49 Depth=1
	s_or_b32 exec_lo, exec_lo, s26
	s_xor_b32 s10, s27, -1
	s_delay_alu instid0(SALU_CYCLE_1) | instskip(NEXT) | instid1(SALU_CYCLE_1)
	s_and_saveexec_b32 s26, s10
	s_xor_b32 s10, exec_lo, s26
	s_cbranch_execz .LBB2_64
; %bb.63:                               ;   in Loop: Header=BB2_49 Depth=1
	v_or_b32_e32 v56, 64, v56
	s_wait_storecnt 0x0
	s_wait_loadcnt_dscnt 0x0
	ds_store_b32 v0, v9
	s_trap 2
.LBB2_64:                               ;   in Loop: Header=BB2_49 Depth=1
	s_or_b32 exec_lo, exec_lo, s10
.LBB2_65:                               ;   in Loop: Header=BB2_49 Depth=1
	s_delay_alu instid0(SALU_CYCLE_1) | instskip(SKIP_2) | instid1(VALU_DEP_1)
	s_or_b32 exec_lo, exec_lo, s25
	v_and_b32_e32 v9, 0x108, v56
	;;#ASMSTART
	s_wakeup
	;;#ASMEND
	v_cmp_ne_u32_e32 vcc_lo, 0x108, v9
	v_and_b32_e32 v8, 7, v8
	s_and_saveexec_b32 s10, vcc_lo
	s_delay_alu instid0(SALU_CYCLE_1)
	s_xor_b32 s10, exec_lo, s10
; %bb.66:                               ;   in Loop: Header=BB2_49 Depth=1
	v_mov_b32_e32 v9, v35
; %bb.67:                               ;   in Loop: Header=BB2_49 Depth=1
	s_and_not1_saveexec_b32 s10, s10
	s_cbranch_execz .LBB2_69
; %bb.68:                               ;   in Loop: Header=BB2_49 Depth=1
	v_mad_nc_u64_u32 v[12:13], v8, 24, v[6:7]
	v_dual_mov_b32 v69, v35 :: v_dual_mov_b32 v9, v35
	flat_store_b64 v[12:13], v[68:69] offset:8
.LBB2_69:                               ;   in Loop: Header=BB2_49 Depth=1
	s_wait_xcnt 0x0
	s_or_b32 exec_lo, exec_lo, s10
	v_and_b32_e32 v12, 0x100, v56
	s_mov_b32 s10, -1
	s_delay_alu instid0(VALU_DEP_1)
	v_cmp_ne_u32_e32 vcc_lo, 0, v12
                                        ; implicit-def: $vgpr12_vgpr13
	s_and_saveexec_b32 s25, vcc_lo
	s_cbranch_execz .LBB2_73
; %bb.70:                               ;   in Loop: Header=BB2_49 Depth=1
	v_mad_nc_u64_u32 v[70:71], v8, 24, v[6:7]
	s_delay_alu instid0(VALU_DEP_1)
	v_mad_u32 v71, v9, 24, v71
	flat_load_b32 v12, v[70:71]
	s_wait_loadcnt_dscnt 0x0
	v_cmp_eq_u32_e64 s10, 1, v12
	v_cmp_ne_u32_e32 vcc_lo, 1, v12
                                        ; implicit-def: $vgpr12_vgpr13
	s_wait_xcnt 0x0
	s_and_saveexec_b32 s26, s10
	s_cbranch_execz .LBB2_72
; %bb.71:                               ;   in Loop: Header=BB2_49 Depth=1
	flat_load_b32 v12, v[70:71] offset:4 scope:SCOPE_SYS
	s_wait_loadcnt_dscnt 0x0
	v_ashrrev_i32_e32 v13, 31, v12
.LBB2_72:                               ;   in Loop: Header=BB2_49 Depth=1
	s_wait_xcnt 0x0
	s_or_b32 exec_lo, exec_lo, s26
	s_delay_alu instid0(SALU_CYCLE_1)
	s_or_not1_b32 s10, vcc_lo, exec_lo
.LBB2_73:                               ;   in Loop: Header=BB2_49 Depth=1
	s_or_b32 exec_lo, exec_lo, s25
	s_and_saveexec_b32 s25, s10
; %bb.74:                               ;   in Loop: Header=BB2_49 Depth=1
	v_mul_u64_e32 v[12:13], v[8:9], v[20:21]
; %bb.75:                               ;   in Loop: Header=BB2_49 Depth=1
	s_or_b32 exec_lo, exec_lo, s25
	v_cmp_eq_u32_e32 vcc_lo, 0, v34
	s_delay_alu instid0(VALU_DEP_2) | instskip(SKIP_3) | instid1(VALU_DEP_1)
	v_add_nc_u64_e32 v[8:9], v[22:23], v[12:13]
	v_and_b32_e32 v34, 0x2000, v56
	s_mov_b32 s10, exec_lo
	v_cndmask_b32_e32 v30, 0xc8, v61, vcc_lo
	v_add_nc_u32_e32 v12, v0, v30
	ds_store_b64 v12, v[8:9] offset:584
	v_cmpx_ne_u32_e32 0, v34
	s_cbranch_execz .LBB2_77
; %bb.76:                               ;   in Loop: Header=BB2_49 Depth=1
	ds_load_b64 v[8:9], v0 offset:872
	s_wait_dscnt 0x0
	v_add_nc_u64_e32 v[8:9], 1, v[8:9]
	ds_store_b64 v0, v[8:9] offset:872
.LBB2_77:                               ;   in Loop: Header=BB2_49 Depth=1
	s_or_b32 exec_lo, exec_lo, s10
	v_mov_b64_e32 v[8:9], v[10:11]
.LBB2_78:                               ;   in Loop: Header=BB2_49 Depth=1
	s_or_b32 exec_lo, exec_lo, s11
	s_and_saveexec_b32 s10, s2
	s_cbranch_execz .LBB2_97
; %bb.79:                               ;   in Loop: Header=BB2_49 Depth=1
	s_and_saveexec_b32 s11, s3
	s_delay_alu instid0(SALU_CYCLE_1)
	s_xor_b32 s11, exec_lo, s11
	s_cbranch_execz .LBB2_94
; %bb.80:                               ;   in Loop: Header=BB2_49 Depth=1
	s_and_saveexec_b32 s25, s4
	s_cbranch_execz .LBB2_93
; %bb.81:                               ;   in Loop: Header=BB2_49 Depth=1
	s_mov_b32 s27, exec_lo
	s_mov_b32 s26, exec_lo
	v_mbcnt_lo_u32_b32 v10, s27, 0
	global_wb scope:SCOPE_DEV
	s_wait_storecnt 0x0
	s_wait_loadcnt_dscnt 0x0
	global_inv scope:SCOPE_DEV
	v_cmpx_eq_u32_e32 0, v10
	s_cbranch_execz .LBB2_83
; %bb.82:                               ;   in Loop: Header=BB2_49 Depth=1
	s_bcnt1_i32_b32 s27, s27
	s_delay_alu instid0(SALU_CYCLE_1)
	v_mov_b32_e32 v34, s27
	s_wait_loadcnt 0x0
	ds_add_u64 v0, v[34:35]
	s_trap 2
.LBB2_83:                               ;   in Loop: Header=BB2_49 Depth=1
	s_or_b32 exec_lo, exec_lo, s26
	s_trap 2
	ds_load_b64 v[10:11], v0
	s_wait_dscnt 0x0
	v_add_nc_u64_e32 v[24:25], v[24:25], v[36:37]
	s_mov_b32 s26, exec_lo
	s_delay_alu instid0(VALU_DEP_1)
	v_cmpx_lt_u64_e64 v[10:11], v[24:25]
	s_cbranch_execz .LBB2_92
; %bb.84:                               ;   in Loop: Header=BB2_49 Depth=1
	s_mov_b32 s27, 0
	s_mov_b32 s40, 0
                                        ; implicit-def: $sgpr28
                                        ; implicit-def: $sgpr29
	s_branch .LBB2_86
.LBB2_85:                               ;   in Loop: Header=BB2_86 Depth=2
	s_or_b32 exec_lo, exec_lo, s42
	s_delay_alu instid0(SALU_CYCLE_1) | instskip(NEXT) | instid1(SALU_CYCLE_1)
	s_and_b32 s41, exec_lo, s43
	s_or_b32 s27, s41, s27
	s_and_not1_b32 s28, s28, exec_lo
	s_and_b32 s41, s29, exec_lo
	s_delay_alu instid0(SALU_CYCLE_1)
	s_or_b32 s28, s28, s41
	s_and_not1_b32 exec_lo, exec_lo, s27
	s_cbranch_execz .LBB2_90
.LBB2_86:                               ;   Parent Loop BB2_49 Depth=1
                                        ; =>  This Inner Loop Header: Depth=2
	s_add_co_i32 s40, s40, 1
	s_delay_alu instid0(SALU_CYCLE_1) | instskip(SKIP_1) | instid1(SALU_CYCLE_1)
	s_cmp_lg_u32 s40, 0x2710
	s_cselect_b32 s41, -1, 0
	s_and_b32 vcc_lo, exec_lo, s41
	s_cbranch_vccz .LBB2_88
; %bb.87:                               ;   in Loop: Header=BB2_86 Depth=2
	s_mov_b32 s43, -1
	s_or_b32 s29, s29, exec_lo
	s_and_saveexec_b32 s42, s41
	s_cbranch_execz .LBB2_85
	s_branch .LBB2_89
.LBB2_88:                               ;   in Loop: Header=BB2_86 Depth=2
	s_trap 2
	ds_load_b64 v[10:11], v0
	s_and_not1_b32 s41, s41, exec_lo
	s_mov_b32 s40, 0
	s_wait_loadcnt_dscnt 0x0
	flat_load_b32 v10, v[10:11] scope:SCOPE_SYS
	s_wait_loadcnt_dscnt 0x0
	global_inv scope:SCOPE_SYS
	v_cmp_eq_u32_e32 vcc_lo, 0, v10
	s_and_b32 s42, vcc_lo, exec_lo
	s_delay_alu instid0(SALU_CYCLE_1)
	s_or_b32 s41, s41, s42
	s_mov_b32 s43, -1
	s_or_b32 s29, s29, exec_lo
	s_and_saveexec_b32 s42, s41
	s_cbranch_execz .LBB2_85
.LBB2_89:                               ;   in Loop: Header=BB2_86 Depth=2
	s_sleep 1
	s_trap 2
	ds_load_b64 v[10:11], v0
	s_wait_dscnt 0x0
	s_and_not1_b32 s29, s29, exec_lo
	v_cmp_ge_u64_e32 vcc_lo, v[10:11], v[24:25]
	s_or_not1_b32 s43, vcc_lo, exec_lo
	s_branch .LBB2_85
.LBB2_90:                               ;   in Loop: Header=BB2_49 Depth=1
	s_or_b32 exec_lo, exec_lo, s27
	s_and_saveexec_b32 s27, s28
	s_delay_alu instid0(SALU_CYCLE_1)
	s_xor_b32 s27, exec_lo, s27
	s_cbranch_execz .LBB2_92
; %bb.91:                               ;   in Loop: Header=BB2_49 Depth=1
	ds_store_b32 v0, v60
	s_trap 2
.LBB2_92:                               ;   in Loop: Header=BB2_49 Depth=1
	s_or_b32 exec_lo, exec_lo, s26
	;;#ASMSTART
	s_wakeup
	;;#ASMEND
.LBB2_93:                               ;   in Loop: Header=BB2_49 Depth=1
	s_or_b32 exec_lo, exec_lo, s25
.LBB2_94:                               ;   in Loop: Header=BB2_49 Depth=1
	s_and_not1_saveexec_b32 s11, s11
	s_cbranch_execz .LBB2_96
; %bb.95:                               ;   in Loop: Header=BB2_49 Depth=1
	global_wb scope:SCOPE_DEV
	s_wait_storecnt 0x0
	s_wait_loadcnt_dscnt 0x0
	global_inv scope:SCOPE_DEV
	s_barrier_signal -1
	s_barrier_wait -1
.LBB2_96:                               ;   in Loop: Header=BB2_49 Depth=1
	s_or_b32 exec_lo, exec_lo, s11
.LBB2_97:                               ;   in Loop: Header=BB2_49 Depth=1
	s_delay_alu instid0(SALU_CYCLE_1) | instskip(SKIP_3) | instid1(VALU_DEP_1)
	s_or_b32 exec_lo, exec_lo, s10
	s_trap 2
	ds_load_b32 v10, v0
	v_and_b32_e32 v11, 0x4000, v56
	v_cmp_ne_u32_e32 vcc_lo, 0, v11
	s_and_b32 s11, s21, vcc_lo
	s_delay_alu instid0(SALU_CYCLE_1)
	s_and_saveexec_b32 s10, s11
	s_cbranch_execz .LBB2_116
; %bb.98:                               ;   in Loop: Header=BB2_49 Depth=1
	s_and_saveexec_b32 s11, s3
	s_delay_alu instid0(SALU_CYCLE_1)
	s_xor_b32 s11, exec_lo, s11
	s_cbranch_execz .LBB2_113
; %bb.99:                               ;   in Loop: Header=BB2_49 Depth=1
	s_and_saveexec_b32 s25, s4
	s_cbranch_execz .LBB2_112
; %bb.100:                              ;   in Loop: Header=BB2_49 Depth=1
	s_mov_b32 s27, exec_lo
	s_mov_b32 s26, exec_lo
	v_mbcnt_lo_u32_b32 v11, s27, 0
	global_wb scope:SCOPE_DEV
	s_wait_storecnt 0x0
	s_wait_loadcnt_dscnt 0x0
	global_inv scope:SCOPE_DEV
	v_cmpx_eq_u32_e32 0, v11
	s_cbranch_execz .LBB2_102
; %bb.101:                              ;   in Loop: Header=BB2_49 Depth=1
	s_bcnt1_i32_b32 s27, s27
	s_delay_alu instid0(SALU_CYCLE_1)
	v_mov_b32_e32 v34, s27
	s_wait_loadcnt 0x0
	ds_add_u64 v0, v[34:35]
	s_trap 2
.LBB2_102:                              ;   in Loop: Header=BB2_49 Depth=1
	s_or_b32 exec_lo, exec_lo, s26
	s_trap 2
	ds_load_b64 v[12:13], v0
	s_wait_dscnt 0x0
	v_add_nc_u64_e32 v[24:25], v[24:25], v[36:37]
	s_mov_b32 s26, exec_lo
	s_delay_alu instid0(VALU_DEP_1)
	v_cmpx_lt_u64_e64 v[12:13], v[24:25]
	s_cbranch_execz .LBB2_111
; %bb.103:                              ;   in Loop: Header=BB2_49 Depth=1
	s_mov_b32 s27, 0
	s_mov_b32 s40, 0
                                        ; implicit-def: $sgpr28
                                        ; implicit-def: $sgpr29
	s_branch .LBB2_105
.LBB2_104:                              ;   in Loop: Header=BB2_105 Depth=2
	s_or_b32 exec_lo, exec_lo, s42
	s_delay_alu instid0(SALU_CYCLE_1) | instskip(NEXT) | instid1(SALU_CYCLE_1)
	s_and_b32 s41, exec_lo, s43
	s_or_b32 s27, s41, s27
	s_and_not1_b32 s28, s28, exec_lo
	s_and_b32 s41, s29, exec_lo
	s_delay_alu instid0(SALU_CYCLE_1)
	s_or_b32 s28, s28, s41
	s_and_not1_b32 exec_lo, exec_lo, s27
	s_cbranch_execz .LBB2_109
.LBB2_105:                              ;   Parent Loop BB2_49 Depth=1
                                        ; =>  This Inner Loop Header: Depth=2
	s_add_co_i32 s40, s40, 1
	s_delay_alu instid0(SALU_CYCLE_1) | instskip(SKIP_1) | instid1(SALU_CYCLE_1)
	s_cmp_lg_u32 s40, 0x2710
	s_cselect_b32 s41, -1, 0
	s_and_b32 vcc_lo, exec_lo, s41
	s_cbranch_vccz .LBB2_107
; %bb.106:                              ;   in Loop: Header=BB2_105 Depth=2
	s_mov_b32 s43, -1
	s_or_b32 s29, s29, exec_lo
	s_and_saveexec_b32 s42, s41
	s_cbranch_execz .LBB2_104
	s_branch .LBB2_108
.LBB2_107:                              ;   in Loop: Header=BB2_105 Depth=2
	s_trap 2
	ds_load_b64 v[12:13], v0
	s_and_not1_b32 s41, s41, exec_lo
	s_mov_b32 s40, 0
	s_wait_loadcnt_dscnt 0x0
	flat_load_b32 v11, v[12:13] scope:SCOPE_SYS
	s_wait_loadcnt_dscnt 0x0
	global_inv scope:SCOPE_SYS
	v_cmp_eq_u32_e32 vcc_lo, 0, v11
	s_and_b32 s42, vcc_lo, exec_lo
	s_delay_alu instid0(SALU_CYCLE_1)
	s_or_b32 s41, s41, s42
	s_mov_b32 s43, -1
	s_or_b32 s29, s29, exec_lo
	s_and_saveexec_b32 s42, s41
	s_cbranch_execz .LBB2_104
.LBB2_108:                              ;   in Loop: Header=BB2_105 Depth=2
	s_sleep 1
	s_trap 2
	ds_load_b64 v[12:13], v0
	s_wait_dscnt 0x0
	s_and_not1_b32 s29, s29, exec_lo
	v_cmp_ge_u64_e32 vcc_lo, v[12:13], v[24:25]
	s_or_not1_b32 s43, vcc_lo, exec_lo
	s_branch .LBB2_104
.LBB2_109:                              ;   in Loop: Header=BB2_49 Depth=1
	s_or_b32 exec_lo, exec_lo, s27
	s_and_saveexec_b32 s27, s28
	s_delay_alu instid0(SALU_CYCLE_1)
	s_xor_b32 s27, exec_lo, s27
	s_cbranch_execz .LBB2_111
; %bb.110:                              ;   in Loop: Header=BB2_49 Depth=1
	ds_store_b32 v0, v60
	s_trap 2
.LBB2_111:                              ;   in Loop: Header=BB2_49 Depth=1
	s_or_b32 exec_lo, exec_lo, s26
	;;#ASMSTART
	s_wakeup
	;;#ASMEND
.LBB2_112:                              ;   in Loop: Header=BB2_49 Depth=1
	s_or_b32 exec_lo, exec_lo, s25
.LBB2_113:                              ;   in Loop: Header=BB2_49 Depth=1
	s_and_not1_saveexec_b32 s11, s11
	s_cbranch_execz .LBB2_115
; %bb.114:                              ;   in Loop: Header=BB2_49 Depth=1
	global_wb scope:SCOPE_DEV
	s_wait_storecnt 0x0
	s_wait_loadcnt_dscnt 0x0
	global_inv scope:SCOPE_DEV
	s_barrier_signal -1
	s_barrier_wait -1
.LBB2_115:                              ;   in Loop: Header=BB2_49 Depth=1
	s_or_b32 exec_lo, exec_lo, s11
.LBB2_116:                              ;   in Loop: Header=BB2_49 Depth=1
	s_delay_alu instid0(SALU_CYCLE_1)
	s_or_b32 exec_lo, exec_lo, s10
	s_trap 2
	ds_load_b64 v[70:71], v0
	s_wait_dscnt 0x0
	v_cmp_eq_u64_e32 vcc_lo, 0, v[70:71]
	s_cbranch_vccnz .LBB2_124
; %bb.117:                              ;   in Loop: Header=BB2_49 Depth=1
	s_trap 2
	ds_load_b64 v[80:81], v0
	s_wait_dscnt 0x0
	v_cmp_eq_u64_e32 vcc_lo, 0, v[80:81]
	s_cbranch_vccnz .LBB2_124
; %bb.118:                              ;   in Loop: Header=BB2_49 Depth=1
	s_mov_b32 s10, -1
	s_and_saveexec_b32 s11, s5
	s_cbranch_execz .LBB2_120
; %bb.119:                              ;   in Loop: Header=BB2_49 Depth=1
	ds_load_b32 v11, v0 offset:720
	s_wait_dscnt 0x0
	v_and_b32_e32 v11, 15, v11
	s_delay_alu instid0(VALU_DEP_1)
	v_cmp_eq_u32_e32 vcc_lo, 0, v11
	s_or_not1_b32 s10, vcc_lo, exec_lo
.LBB2_120:                              ;   in Loop: Header=BB2_49 Depth=1
	s_or_b32 exec_lo, exec_lo, s11
	s_and_saveexec_b32 s11, s6
	s_cbranch_execz .LBB2_122
; %bb.121:                              ;   in Loop: Header=BB2_49 Depth=1
	ds_load_b32 v11, v0 offset:784
	s_wait_dscnt 0x0
	v_and_b32_e32 v11, 15, v11
	s_delay_alu instid0(VALU_DEP_1) | instskip(SKIP_3) | instid1(SALU_CYCLE_1)
	v_cmp_eq_u32_e32 vcc_lo, 0, v11
	s_and_b32 s25, s10, vcc_lo
	s_and_not1_b32 s10, s10, exec_lo
	s_and_b32 s25, s25, exec_lo
	s_or_b32 s10, s10, s25
.LBB2_122:                              ;   in Loop: Header=BB2_49 Depth=1
	s_or_b32 exec_lo, exec_lo, s11
	v_cmp_eq_u32_e32 vcc_lo, 0, v10
	s_xor_b32 s10, s10, -1
	s_mov_b32 s26, -1
	v_cndmask_b32_e64 v11, 0, 1, s10
	v_dual_mov_b32 v69, 0 :: v_dual_cndmask_b32 v67, 0, v68, vcc_lo
	v_mov_b32_e32 v30, v0
	s_delay_alu instid0(VALU_DEP_3) | instskip(NEXT) | instid1(VALU_DEP_3)
	v_cmp_ne_u32_e32 vcc_lo, 0, v11
	v_mov_b32_e32 v72, v67
	s_cbranch_vccz .LBB2_125
; %bb.123:                              ;   in Loop: Header=BB2_49 Depth=1
	s_and_saveexec_b32 s25, s26
	s_cbranch_execnz .LBB2_2264
	s_branch .LBB2_2990
.LBB2_124:                              ;   in Loop: Header=BB2_49 Depth=1
	s_mov_b32 s10, 0
	s_and_saveexec_b32 s11, s2
	s_cbranch_execnz .LBB2_2991
	s_branch .LBB2_3009
.LBB2_125:                              ;   in Loop: Header=BB2_49 Depth=1
	v_dual_lshrrev_b32 v10, 9, v67 :: v_dual_sub_nc_u32 v103, v67, v38
	v_and_b32_e32 v69, 0x1ff, v67
	s_mov_b32 s25, exec_lo
	s_delay_alu instid0(VALU_DEP_2) | instskip(NEXT) | instid1(VALU_DEP_2)
	v_sub_nc_u32_e32 v10, v10, v59
	v_cmp_lt_u32_e64 s10, 15, v69
	s_delay_alu instid0(VALU_DEP_1)
	v_add_co_ci_u32_e64 v102, null, 0, v10, s10
	v_cmpx_lt_i32_e32 15, v103
	s_cbranch_execz .LBB2_1193
; %bb.126:                              ;   in Loop: Header=BB2_49 Depth=1
	s_trap 2
	ds_load_b64 v[10:11], v0
	v_add_nc_u64_e32 v[82:83], v[70:71], v[38:39]
	v_add_nc_u64_e32 v[84:85], v[80:81], v[38:39]
	s_wait_dscnt 0x0
	v_readfirstlane_b32 s26, v10
	v_readfirstlane_b32 s27, v11
	v_add_nc_u64_e32 v[86:87], v[10:11], v[38:39]
	s_and_b32 s28, s26, 3
	s_bfe_i32 s11, s26, 0x80000
	s_clz_i32_u32 s41, s28
	s_bfe_u32 s29, s26, 0x50002
	s_min_u32 s41, s41, 32
	s_and_b32 s40, s26, 0x7c
	s_sub_co_i32 s44, s41, 29
	s_lshl_b32 s42, s26, 24
	s_sext_i32_i8 s43, s26
	s_lshl_b64 s[26:27], s[26:27], s44
	s_and_b32 s42, s42, 0x80000000
	s_sub_co_i32 s27, 30, s41
	s_and_b32 s26, s26, 3
	s_cmp_gt_i32 s43, -1
	s_cselect_b32 s41, s22, 0xff800000
	s_cmp_eq_u32 s28, 0
	s_cselect_b32 s41, s41, 0x7f800001
	s_cmp_eq_u32 s29, 0
	s_cselect_b32 s27, s27, s29
	s_cselect_b32 s26, s26, s28
	s_lshl_b32 s27, s27, 23
	s_lshl_b32 s26, s26, 21
	s_add_co_i32 s27, s27, s42
	s_delay_alu instid0(SALU_CYCLE_1)
	s_or_b32 s26, s27, s26
	s_mov_b32 s27, 0
	s_add_co_i32 s26, s26, 0x38000000
	s_cmp_eq_u32 s40, 0x7c
	s_cselect_b32 s26, s41, s26
	s_and_b32 s28, s11, 0xff
	s_delay_alu instid0(SALU_CYCLE_1)
	s_and_b32 s29, 0xffff, s28
	s_branch .LBB2_129
.LBB2_127:                              ;   in Loop: Header=BB2_129 Depth=2
	s_or_b32 exec_lo, exec_lo, s40
.LBB2_128:                              ;   in Loop: Header=BB2_129 Depth=2
	s_delay_alu instid0(SALU_CYCLE_1)
	s_or_b32 exec_lo, exec_lo, s11
	v_lshl_or_b32 v11, v101, 8, v100
	v_dual_lshlrev_b32 v12, 16, v43 :: v_dual_lshlrev_b32 v13, 24, v30
	v_lshl_or_b32 v30, v114, 8, v112
	v_dual_lshlrev_b32 v34, 16, v117 :: v_dual_lshlrev_b32 v97, 24, v40
	v_lshl_or_b32 v100, v119, 8, v115
	v_dual_lshlrev_b32 v101, 16, v42 :: v_dual_lshlrev_b32 v112, 24, v44
	v_dual_lshlrev_b32 v113, 24, v10 :: v_dual_lshlrev_b32 v96, 16, v96
	v_lshl_or_b32 v98, v99, 8, v98
	v_or3_b32 v11, v11, v12, v13
	v_or3_b32 v10, v30, v34, v97
	;; [unrolled: 1-line block ×3, first 2 shown]
	v_sub_nc_u32_e32 v103, v103, v48
	v_or3_b32 v13, v98, v96, v113
	v_add_nc_u64_e32 v[82:83], v[82:83], v[48:49]
	v_add_nc_u64_e32 v[86:87], v[86:87], v[48:49]
	v_sub_nc_u32_e32 v102, v102, v36
	v_cmp_gt_i32_e32 vcc_lo, 16, v103
	global_store_b128 v[84:85], v[10:13], off th:TH_STORE_NT
	s_wait_xcnt 0x0
	v_add_nc_u64_e32 v[84:85], v[84:85], v[48:49]
	s_or_b32 s27, vcc_lo, s27
	s_delay_alu instid0(SALU_CYCLE_1)
	s_and_not1_b32 exec_lo, exec_lo, s27
	s_cbranch_execz .LBB2_1192
.LBB2_129:                              ;   Parent Loop BB2_49 Depth=1
                                        ; =>  This Inner Loop Header: Depth=2
	s_cmp_lt_i32 s28, 0x80
	s_cbranch_scc1 .LBB2_133
; %bb.130:                              ;   in Loop: Header=BB2_129 Depth=2
	s_cmp_eq_u32 s29, 0x80
	s_mov_b32 s11, -1
	s_cbranch_scc0 .LBB2_132
; %bb.131:                              ;   in Loop: Header=BB2_129 Depth=2
	s_mov_b32 s11, 0
.LBB2_132:                              ;   in Loop: Header=BB2_129 Depth=2
	s_brev_b32 s40, 1
	s_branch .LBB2_135
.LBB2_133:                              ;   in Loop: Header=BB2_129 Depth=2
	s_mov_b32 s11, 0
	s_brev_b32 s40, 1
	s_cbranch_execz .LBB2_135
; %bb.134:                              ;   in Loop: Header=BB2_129 Depth=2
	s_cmp_lg_u32 s29, 0
	s_mov_b32 s40, 0
	s_cselect_b32 s11, -1, 0
.LBB2_135:                              ;   in Loop: Header=BB2_129 Depth=2
	s_delay_alu instid0(SALU_CYCLE_1)
	s_and_not1_b32 vcc_lo, exec_lo, s11
	s_cbranch_vccnz .LBB2_137
; %bb.136:                              ;   in Loop: Header=BB2_129 Depth=2
	s_mov_b32 s40, s26
.LBB2_137:                              ;   in Loop: Header=BB2_129 Depth=2
	global_load_b128 v[10:13], v[82:83], off th:TH_LOAD_NT
	s_wait_loadcnt 0x0
	v_and_b32_e32 v30, 0xff, v10
	s_delay_alu instid0(VALU_DEP_1)
	v_cmp_ne_u16_e32 vcc_lo, 0, v30
	v_mov_b32_e32 v30, 0
	s_wait_xcnt 0x0
	s_and_saveexec_b32 s11, vcc_lo
	s_cbranch_execz .LBB2_147
; %bb.138:                              ;   in Loop: Header=BB2_129 Depth=2
	v_bfe_i32 v96, v10, 0, 8
	v_bfrev_b32_e32 v30, 1
	s_mov_b32 s41, exec_lo
	s_delay_alu instid0(VALU_DEP_2)
	v_cmpx_ne_u16_e32 0xff80, v96
	s_cbranch_execz .LBB2_146
; %bb.139:                              ;   in Loop: Header=BB2_129 Depth=2
	v_and_b32_e32 v30, 0x7c, v10
	v_and_b32_e32 v34, 3, v10
	s_delay_alu instid0(VALU_DEP_2) | instskip(SKIP_1) | instid1(SALU_CYCLE_1)
	v_cmp_ne_u32_e32 vcc_lo, 0x7c, v30
                                        ; implicit-def: $vgpr30
	s_and_saveexec_b32 s42, vcc_lo
	s_xor_b32 s42, exec_lo, s42
	s_cbranch_execz .LBB2_143
; %bb.140:                              ;   in Loop: Header=BB2_129 Depth=2
	v_bfe_u32 v30, v10, 2, 5
	s_mov_b32 s43, exec_lo
	s_delay_alu instid0(VALU_DEP_1)
	v_cmpx_eq_u32_e32 0, v30
; %bb.141:                              ;   in Loop: Header=BB2_129 Depth=2
	v_clz_i32_u32_e32 v30, v34
	s_delay_alu instid0(VALU_DEP_1) | instskip(NEXT) | instid1(VALU_DEP_1)
	v_min_u32_e32 v30, 32, v30
	v_subrev_nc_u32_e32 v34, 29, v30
	s_delay_alu instid0(VALU_DEP_1) | instskip(NEXT) | instid1(VALU_DEP_1)
	v_lshlrev_b64_e32 v[96:97], v34, v[10:11]
	v_dual_sub_nc_u32 v30, 30, v30 :: v_dual_bitop2_b32 v34, 3, v96 bitop3:0x40
; %bb.142:                              ;   in Loop: Header=BB2_129 Depth=2
	s_or_b32 exec_lo, exec_lo, s43
	v_lshlrev_b32_e32 v96, 24, v10
	s_delay_alu instid0(VALU_DEP_1) | instskip(NEXT) | instid1(VALU_DEP_1)
	v_and_b32_e32 v96, 0x80000000, v96
	v_lshl_add_u32 v30, v30, 23, v96
                                        ; implicit-def: $vgpr96
	s_delay_alu instid0(VALU_DEP_1) | instskip(NEXT) | instid1(VALU_DEP_1)
	v_lshl_or_b32 v30, v34, 21, v30
                                        ; implicit-def: $vgpr34
	v_add_nc_u32_e32 v30, 0x38000000, v30
.LBB2_143:                              ;   in Loop: Header=BB2_129 Depth=2
	s_and_not1_saveexec_b32 s42, s42
; %bb.144:                              ;   in Loop: Header=BB2_129 Depth=2
	v_cmp_lt_i16_e32 vcc_lo, -1, v96
	v_cndmask_b32_e32 v30, 0xff800000, v62, vcc_lo
	v_cmp_eq_u32_e32 vcc_lo, 0, v34
	s_delay_alu instid0(VALU_DEP_2)
	v_cndmask_b32_e32 v30, 0x7f800001, v30, vcc_lo
; %bb.145:                              ;   in Loop: Header=BB2_129 Depth=2
	s_or_b32 exec_lo, exec_lo, s42
.LBB2_146:                              ;   in Loop: Header=BB2_129 Depth=2
	s_delay_alu instid0(SALU_CYCLE_1)
	s_or_b32 exec_lo, exec_lo, s41
.LBB2_147:                              ;   in Loop: Header=BB2_129 Depth=2
	s_delay_alu instid0(SALU_CYCLE_1) | instskip(NEXT) | instid1(VALU_DEP_1)
	s_or_b32 exec_lo, exec_lo, s11
	v_dual_mul_f32 v96, s40, v30 :: v_dual_mov_b32 v99, v35
                                        ; implicit-def: $vgpr101
	s_mov_b32 s11, exec_lo
	s_delay_alu instid0(VALU_DEP_1) | instskip(SKIP_2) | instid1(VALU_DEP_3)
	v_and_b32_e32 v98, 0x7f800000, v96
	v_and_b32_e32 v34, 0x7fffff, v96
	v_lshrrev_b32_e32 v30, 24, v96
	v_cmpx_ne_u64_e32 0x7f800000, v[98:99]
	s_xor_b32 s41, exec_lo, s11
	s_cbranch_execz .LBB2_161
; %bb.148:                              ;   in Loop: Header=BB2_129 Depth=2
	v_and_b32_e32 v98, 0x7fffffff, v96
	v_mov_b32_e32 v99, v35
	v_and_b32_e32 v30, 0x80, v30
                                        ; implicit-def: $vgpr101
	s_mov_b32 s11, exec_lo
	s_delay_alu instid0(VALU_DEP_2)
	v_cmpx_gt_u64_e32 0x47600001, v[98:99]
	s_xor_b32 s42, exec_lo, s11
	s_cbranch_execz .LBB2_158
; %bb.149:                              ;   in Loop: Header=BB2_129 Depth=2
	v_mov_b32_e32 v101, 0
	s_mov_b32 s43, exec_lo
	v_cmpx_ne_u32_e32 0, v96
	s_cbranch_execz .LBB2_157
; %bb.150:                              ;   in Loop: Header=BB2_129 Depth=2
	v_bfe_u32 v100, v96, 23, 8
	v_or_b32_e32 v98, 0x800000, v34
	s_delay_alu instid0(VALU_DEP_2) | instskip(SKIP_1) | instid1(VALU_DEP_2)
	v_sub_nc_u32_e32 v96, 0x71, v100
	v_cmp_gt_u32_e32 vcc_lo, 0x72, v100
	v_cndmask_b32_e32 v96, 0, v96, vcc_lo
	v_cmp_eq_u32_e32 vcc_lo, 0, v100
	s_delay_alu instid0(VALU_DEP_2) | instskip(NEXT) | instid1(VALU_DEP_1)
	v_cndmask_b32_e64 v101, v96, 0x70, vcc_lo
	v_dual_cndmask_b32 v34, v98, v34, vcc_lo :: v_dual_add_nc_u32 v96, 21, v101
	v_add_nc_u32_e32 v99, 20, v101
	s_delay_alu instid0(VALU_DEP_2) | instskip(NEXT) | instid1(VALU_DEP_2)
	v_lshlrev_b64_e64 v[96:97], v96, -1
	v_lshlrev_b64_e64 v[98:99], v99, 1
	s_delay_alu instid0(VALU_DEP_2) | instskip(NEXT) | instid1(VALU_DEP_3)
	v_bfi_b32 v113, v97, 0, 0
	v_bfi_b32 v112, v96, 0, v34
	v_lshrrev_b64 v[96:97], v101, v[34:35]
	s_delay_alu instid0(VALU_DEP_2) | instskip(NEXT) | instid1(VALU_DEP_2)
	v_cmp_eq_u64_e64 s11, v[112:113], v[98:99]
	v_mov_b64_e32 v[98:99], v[96:97]
	s_and_saveexec_b32 s44, s11
; %bb.151:                              ;   in Loop: Header=BB2_129 Depth=2
	v_bfe_u32 v34, v96, 21, 1
	s_delay_alu instid0(VALU_DEP_1) | instskip(NEXT) | instid1(VALU_DEP_1)
	v_add_nc_u64_e32 v[98:99], v[96:97], v[34:35]
	v_add_nc_u64_e32 v[98:99], -1, v[98:99]
; %bb.152:                              ;   in Loop: Header=BB2_129 Depth=2
	s_or_b32 exec_lo, exec_lo, s44
	v_add_nc_u32_e32 v34, 0xffffff81, v100
	v_lshrrev_b32_e32 v97, 23, v96
	s_mov_b32 s11, exec_lo
	s_delay_alu instid0(VALU_DEP_2) | instskip(NEXT) | instid1(VALU_DEP_1)
	v_cndmask_b32_e64 v34, v34, 0xffffff82, vcc_lo
	v_add3_u32 v99, v101, v34, v97
	v_and_b32_e32 v34, 0x1fffff, v98
                                        ; implicit-def: $vgpr98
	s_delay_alu instid0(VALU_DEP_1) | instskip(NEXT) | instid1(VALU_DEP_1)
	v_dual_add_nc_u32 v100, 14, v99 :: v_dual_add_nc_u32 v34, v34, v96
                                        ; implicit-def: $vgpr96_vgpr97
	v_cmpx_ne_u32_e32 0, v100
	s_xor_b32 s11, exec_lo, s11
; %bb.153:                              ;   in Loop: Header=BB2_129 Depth=2
	s_delay_alu instid0(VALU_DEP_2) | instskip(SKIP_1) | instid1(VALU_DEP_1)
	v_cmp_lt_u64_e32 vcc_lo, 0xffffff, v[34:35]
	v_add_nc_u32_e32 v96, 15, v99
	v_cndmask_b32_e32 v98, v100, v96, vcc_lo
	v_cndmask_b32_e64 v96, 0, 1, vcc_lo
	s_delay_alu instid0(VALU_DEP_1)
	v_lshrrev_b64 v[96:97], v96, v[34:35]
; %bb.154:                              ;   in Loop: Header=BB2_129 Depth=2
	s_and_not1_saveexec_b32 s11, s11
; %bb.155:                              ;   in Loop: Header=BB2_129 Depth=2
	v_mov_b64_e32 v[96:97], v[34:35]
	v_bfe_u32 v98, v34, 23, 1
; %bb.156:                              ;   in Loop: Header=BB2_129 Depth=2
	s_or_b32 exec_lo, exec_lo, s11
	s_delay_alu instid0(VALU_DEP_2) | instskip(NEXT) | instid1(VALU_DEP_2)
	v_lshrrev_b64 v[96:97], 21, v[96:97]
	v_cmp_gt_i32_e32 vcc_lo, 32, v98
	v_min_i32_e32 v34, 31, v98
	v_cmp_eq_u32_e64 s11, 0, v98
	s_delay_alu instid0(VALU_DEP_2) | instskip(SKIP_1) | instid1(VALU_DEP_2)
	v_dual_cndmask_b32 v97, 0, v97 :: v_dual_lshlrev_b32 v34, 2, v34
	v_cndmask_b32_e32 v96, 3, v96, vcc_lo
	v_and_b32_e32 v34, 0xfc, v34
	s_delay_alu instid0(VALU_DEP_2) | instskip(NEXT) | instid1(VALU_DEP_2)
	v_cmp_eq_u64_e32 vcc_lo, 0, v[96:97]
	v_and_or_b32 v34, v96, 3, v34
	s_and_b32 s11, s11, vcc_lo
	s_delay_alu instid0(VALU_DEP_1) | instid1(SALU_CYCLE_1)
	v_cndmask_b32_e64 v34, v34, 0, s11
	s_delay_alu instid0(VALU_DEP_1)
	v_or_b32_e32 v101, v34, v30
.LBB2_157:                              ;   in Loop: Header=BB2_129 Depth=2
	s_or_b32 exec_lo, exec_lo, s43
                                        ; implicit-def: $vgpr30
.LBB2_158:                              ;   in Loop: Header=BB2_129 Depth=2
	s_and_not1_saveexec_b32 s11, s42
; %bb.159:                              ;   in Loop: Header=BB2_129 Depth=2
	v_or_b32_e32 v101, 0x7b, v30
; %bb.160:                              ;   in Loop: Header=BB2_129 Depth=2
	s_or_b32 exec_lo, exec_lo, s11
                                        ; implicit-def: $vgpr96
                                        ; implicit-def: $vgpr30
.LBB2_161:                              ;   in Loop: Header=BB2_129 Depth=2
	s_and_not1_saveexec_b32 s11, s41
	s_cbranch_execz .LBB2_167
; %bb.162:                              ;   in Loop: Header=BB2_129 Depth=2
	s_mov_b32 s41, exec_lo
                                        ; implicit-def: $vgpr101
	v_cmpx_ne_u64_e32 0, v[34:35]
	s_xor_b32 s41, exec_lo, s41
; %bb.163:                              ;   in Loop: Header=BB2_129 Depth=2
	v_or_b32_e32 v101, 0x7f, v30
                                        ; implicit-def: $vgpr96
; %bb.164:                              ;   in Loop: Header=BB2_129 Depth=2
	s_and_not1_saveexec_b32 s41, s41
; %bb.165:                              ;   in Loop: Header=BB2_129 Depth=2
	v_cmp_lt_i32_e32 vcc_lo, -1, v96
	v_cndmask_b32_e32 v101, 0xfc, v63, vcc_lo
; %bb.166:                              ;   in Loop: Header=BB2_129 Depth=2
	s_or_b32 exec_lo, exec_lo, s41
.LBB2_167:                              ;   in Loop: Header=BB2_129 Depth=2
	s_delay_alu instid0(SALU_CYCLE_1) | instskip(SKIP_3) | instid1(VALU_DEP_2)
	s_or_b32 exec_lo, exec_lo, s11
	v_lshrrev_b16 v34, 8, v10
	v_mov_b32_e32 v96, 0
	s_mov_b32 s11, exec_lo
	v_cmpx_ne_u16_e32 0, v34
	s_cbranch_execz .LBB2_177
; %bb.168:                              ;   in Loop: Header=BB2_129 Depth=2
	v_bfrev_b32_e32 v96, 1
	s_mov_b32 s41, exec_lo
	v_cmpx_ne_u16_e32 0x80, v34
	s_cbranch_execz .LBB2_176
; %bb.169:                              ;   in Loop: Header=BB2_129 Depth=2
	v_and_b32_e32 v97, 0xffff, v34
	s_delay_alu instid0(VALU_DEP_1) | instskip(SKIP_1) | instid1(VALU_DEP_2)
	v_and_b32_e32 v96, 0x7c, v97
	v_and_b32_e32 v30, 3, v97
	v_cmp_ne_u32_e32 vcc_lo, 0x7c, v96
                                        ; implicit-def: $vgpr96
	s_and_saveexec_b32 s42, vcc_lo
	s_delay_alu instid0(SALU_CYCLE_1)
	s_xor_b32 s42, exec_lo, s42
	s_cbranch_execz .LBB2_173
; %bb.170:                              ;   in Loop: Header=BB2_129 Depth=2
	v_bfe_u32 v96, v97, 2, 5
	s_mov_b32 s43, exec_lo
	s_delay_alu instid0(VALU_DEP_1)
	v_cmpx_eq_u32_e32 0, v96
; %bb.171:                              ;   in Loop: Header=BB2_129 Depth=2
	v_clz_i32_u32_e32 v30, v30
	s_delay_alu instid0(VALU_DEP_1) | instskip(NEXT) | instid1(VALU_DEP_1)
	v_min_u32_e32 v30, 32, v30
	v_subrev_nc_u32_e32 v96, 29, v30
	s_delay_alu instid0(VALU_DEP_1) | instskip(SKIP_1) | instid1(VALU_DEP_2)
	v_lshlrev_b64_e32 v[98:99], v96, v[34:35]
	v_sub_nc_u32_e32 v96, 30, v30
	v_and_b32_e32 v30, 3, v98
; %bb.172:                              ;   in Loop: Header=BB2_129 Depth=2
	s_or_b32 exec_lo, exec_lo, s43
	v_lshlrev_b32_e32 v34, 16, v10
	s_delay_alu instid0(VALU_DEP_1) | instskip(NEXT) | instid1(VALU_DEP_1)
	v_and_b32_e32 v34, 0x80000000, v34
	v_lshl_add_u32 v34, v96, 23, v34
	s_delay_alu instid0(VALU_DEP_1) | instskip(NEXT) | instid1(VALU_DEP_1)
	v_lshl_or_b32 v30, v30, 21, v34
	v_add_nc_u32_e32 v96, 0x38000000, v30
                                        ; implicit-def: $vgpr30
.LBB2_173:                              ;   in Loop: Header=BB2_129 Depth=2
	s_and_not1_saveexec_b32 s42, s42
; %bb.174:                              ;   in Loop: Header=BB2_129 Depth=2
	v_cmp_lt_i16_e32 vcc_lo, -1, v10
	v_cndmask_b32_e32 v34, 0xff800000, v62, vcc_lo
	v_cmp_eq_u32_e32 vcc_lo, 0, v30
	s_delay_alu instid0(VALU_DEP_2)
	v_cndmask_b32_e32 v96, 0x7f800001, v34, vcc_lo
; %bb.175:                              ;   in Loop: Header=BB2_129 Depth=2
	s_or_b32 exec_lo, exec_lo, s42
.LBB2_176:                              ;   in Loop: Header=BB2_129 Depth=2
	s_delay_alu instid0(SALU_CYCLE_1)
	s_or_b32 exec_lo, exec_lo, s41
.LBB2_177:                              ;   in Loop: Header=BB2_129 Depth=2
	s_delay_alu instid0(SALU_CYCLE_1) | instskip(NEXT) | instid1(VALU_DEP_1)
	s_or_b32 exec_lo, exec_lo, s11
	v_dual_mul_f32 v96, s40, v96 :: v_dual_mov_b32 v99, v35
                                        ; implicit-def: $vgpr112
	s_mov_b32 s11, exec_lo
	s_delay_alu instid0(VALU_DEP_1) | instskip(SKIP_2) | instid1(VALU_DEP_3)
	v_and_b32_e32 v98, 0x7f800000, v96
	v_and_b32_e32 v34, 0x7fffff, v96
	v_lshrrev_b32_e32 v30, 24, v96
	v_cmpx_ne_u64_e32 0x7f800000, v[98:99]
	s_xor_b32 s41, exec_lo, s11
	s_cbranch_execz .LBB2_191
; %bb.178:                              ;   in Loop: Header=BB2_129 Depth=2
	v_and_b32_e32 v98, 0x7fffffff, v96
	v_mov_b32_e32 v99, v35
	v_and_b32_e32 v30, 0x80, v30
                                        ; implicit-def: $vgpr112
	s_mov_b32 s11, exec_lo
	s_delay_alu instid0(VALU_DEP_2)
	v_cmpx_gt_u64_e32 0x47600001, v[98:99]
	s_xor_b32 s42, exec_lo, s11
	s_cbranch_execz .LBB2_188
; %bb.179:                              ;   in Loop: Header=BB2_129 Depth=2
	v_mov_b32_e32 v112, 0
	s_mov_b32 s43, exec_lo
	v_cmpx_ne_u32_e32 0, v96
	s_cbranch_execz .LBB2_187
; %bb.180:                              ;   in Loop: Header=BB2_129 Depth=2
	v_bfe_u32 v100, v96, 23, 8
	v_or_b32_e32 v98, 0x800000, v34
	s_delay_alu instid0(VALU_DEP_2) | instskip(SKIP_1) | instid1(VALU_DEP_2)
	v_sub_nc_u32_e32 v96, 0x71, v100
	v_cmp_gt_u32_e32 vcc_lo, 0x72, v100
	v_cndmask_b32_e32 v96, 0, v96, vcc_lo
	v_cmp_eq_u32_e32 vcc_lo, 0, v100
	v_cndmask_b32_e32 v34, v98, v34, vcc_lo
	s_delay_alu instid0(VALU_DEP_3) | instskip(NEXT) | instid1(VALU_DEP_1)
	v_cndmask_b32_e64 v112, v96, 0x70, vcc_lo
	v_dual_add_nc_u32 v96, 21, v112 :: v_dual_add_nc_u32 v99, 20, v112
	s_delay_alu instid0(VALU_DEP_1) | instskip(NEXT) | instid1(VALU_DEP_2)
	v_lshlrev_b64_e64 v[96:97], v96, -1
	v_lshlrev_b64_e64 v[98:99], v99, 1
	s_delay_alu instid0(VALU_DEP_2) | instskip(NEXT) | instid1(VALU_DEP_3)
	v_bfi_b32 v115, v97, 0, 0
	v_bfi_b32 v114, v96, 0, v34
	v_lshrrev_b64 v[96:97], v112, v[34:35]
	s_delay_alu instid0(VALU_DEP_2) | instskip(NEXT) | instid1(VALU_DEP_2)
	v_cmp_eq_u64_e64 s11, v[114:115], v[98:99]
	v_mov_b64_e32 v[98:99], v[96:97]
	s_and_saveexec_b32 s44, s11
; %bb.181:                              ;   in Loop: Header=BB2_129 Depth=2
	v_bfe_u32 v34, v96, 21, 1
	s_delay_alu instid0(VALU_DEP_1) | instskip(NEXT) | instid1(VALU_DEP_1)
	v_add_nc_u64_e32 v[98:99], v[96:97], v[34:35]
	v_add_nc_u64_e32 v[98:99], -1, v[98:99]
; %bb.182:                              ;   in Loop: Header=BB2_129 Depth=2
	s_or_b32 exec_lo, exec_lo, s44
	v_add_nc_u32_e32 v34, 0xffffff81, v100
	v_lshrrev_b32_e32 v97, 23, v96
	s_mov_b32 s11, exec_lo
	s_delay_alu instid0(VALU_DEP_2) | instskip(NEXT) | instid1(VALU_DEP_1)
	v_cndmask_b32_e64 v34, v34, 0xffffff82, vcc_lo
	v_add3_u32 v99, v112, v34, v97
	v_and_b32_e32 v34, 0x1fffff, v98
                                        ; implicit-def: $vgpr98
	s_delay_alu instid0(VALU_DEP_1) | instskip(NEXT) | instid1(VALU_DEP_1)
	v_dual_add_nc_u32 v100, 14, v99 :: v_dual_add_nc_u32 v34, v34, v96
                                        ; implicit-def: $vgpr96_vgpr97
	v_cmpx_ne_u32_e32 0, v100
	s_xor_b32 s11, exec_lo, s11
; %bb.183:                              ;   in Loop: Header=BB2_129 Depth=2
	s_delay_alu instid0(VALU_DEP_2) | instskip(SKIP_1) | instid1(VALU_DEP_1)
	v_cmp_lt_u64_e32 vcc_lo, 0xffffff, v[34:35]
	v_add_nc_u32_e32 v96, 15, v99
	v_cndmask_b32_e32 v98, v100, v96, vcc_lo
	v_cndmask_b32_e64 v96, 0, 1, vcc_lo
	s_delay_alu instid0(VALU_DEP_1)
	v_lshrrev_b64 v[96:97], v96, v[34:35]
; %bb.184:                              ;   in Loop: Header=BB2_129 Depth=2
	s_and_not1_saveexec_b32 s11, s11
; %bb.185:                              ;   in Loop: Header=BB2_129 Depth=2
	v_mov_b64_e32 v[96:97], v[34:35]
	v_bfe_u32 v98, v34, 23, 1
; %bb.186:                              ;   in Loop: Header=BB2_129 Depth=2
	s_or_b32 exec_lo, exec_lo, s11
	s_delay_alu instid0(VALU_DEP_2) | instskip(NEXT) | instid1(VALU_DEP_2)
	v_lshrrev_b64 v[96:97], 21, v[96:97]
	v_cmp_gt_i32_e32 vcc_lo, 32, v98
	v_min_i32_e32 v34, 31, v98
	v_cmp_eq_u32_e64 s11, 0, v98
	s_delay_alu instid0(VALU_DEP_2) | instskip(SKIP_1) | instid1(VALU_DEP_2)
	v_dual_cndmask_b32 v97, 0, v97 :: v_dual_lshlrev_b32 v34, 2, v34
	v_cndmask_b32_e32 v96, 3, v96, vcc_lo
	v_and_b32_e32 v34, 0xfc, v34
	s_delay_alu instid0(VALU_DEP_2) | instskip(NEXT) | instid1(VALU_DEP_2)
	v_cmp_eq_u64_e32 vcc_lo, 0, v[96:97]
	v_and_or_b32 v34, v96, 3, v34
	s_and_b32 s11, s11, vcc_lo
	s_delay_alu instid0(VALU_DEP_1) | instid1(SALU_CYCLE_1)
	v_cndmask_b32_e64 v34, v34, 0, s11
	s_delay_alu instid0(VALU_DEP_1)
	v_or_b32_e32 v112, v34, v30
.LBB2_187:                              ;   in Loop: Header=BB2_129 Depth=2
	s_or_b32 exec_lo, exec_lo, s43
                                        ; implicit-def: $vgpr30
.LBB2_188:                              ;   in Loop: Header=BB2_129 Depth=2
	s_and_not1_saveexec_b32 s11, s42
; %bb.189:                              ;   in Loop: Header=BB2_129 Depth=2
	v_or_b32_e32 v112, 0x7b, v30
; %bb.190:                              ;   in Loop: Header=BB2_129 Depth=2
	s_or_b32 exec_lo, exec_lo, s11
                                        ; implicit-def: $vgpr96
                                        ; implicit-def: $vgpr30
.LBB2_191:                              ;   in Loop: Header=BB2_129 Depth=2
	s_and_not1_saveexec_b32 s11, s41
	s_cbranch_execz .LBB2_197
; %bb.192:                              ;   in Loop: Header=BB2_129 Depth=2
	s_mov_b32 s41, exec_lo
                                        ; implicit-def: $vgpr112
	v_cmpx_ne_u64_e32 0, v[34:35]
	s_xor_b32 s41, exec_lo, s41
; %bb.193:                              ;   in Loop: Header=BB2_129 Depth=2
	v_or_b32_e32 v112, 0x7f, v30
                                        ; implicit-def: $vgpr96
; %bb.194:                              ;   in Loop: Header=BB2_129 Depth=2
	s_and_not1_saveexec_b32 s41, s41
; %bb.195:                              ;   in Loop: Header=BB2_129 Depth=2
	v_cmp_lt_i32_e32 vcc_lo, -1, v96
	v_cndmask_b32_e32 v112, 0xfc, v63, vcc_lo
; %bb.196:                              ;   in Loop: Header=BB2_129 Depth=2
	s_or_b32 exec_lo, exec_lo, s41
.LBB2_197:                              ;   in Loop: Header=BB2_129 Depth=2
	s_delay_alu instid0(SALU_CYCLE_1) | instskip(SKIP_2) | instid1(VALU_DEP_1)
	s_or_b32 exec_lo, exec_lo, s11
	v_dual_lshrrev_b32 v30, 16, v10 :: v_dual_mov_b32 v34, 0
	s_mov_b32 s11, exec_lo
	v_and_b32_e32 v96, 0xff, v30
	s_delay_alu instid0(VALU_DEP_1)
	v_cmpx_ne_u16_e32 0, v96
	s_cbranch_execz .LBB2_207
; %bb.198:                              ;   in Loop: Header=BB2_129 Depth=2
	v_bfrev_b32_e32 v34, 1
	s_mov_b32 s41, exec_lo
	v_cmpx_ne_u16_e32 0x80, v96
	s_cbranch_execz .LBB2_206
; %bb.199:                              ;   in Loop: Header=BB2_129 Depth=2
	v_and_b32_e32 v34, 0x7c0000, v10
	v_bfe_u32 v96, v10, 16, 2
	s_delay_alu instid0(VALU_DEP_2) | instskip(SKIP_1) | instid1(SALU_CYCLE_1)
	v_cmp_ne_u32_e32 vcc_lo, 0x7c0000, v34
                                        ; implicit-def: $vgpr34
	s_and_saveexec_b32 s42, vcc_lo
	s_xor_b32 s42, exec_lo, s42
	s_cbranch_execz .LBB2_203
; %bb.200:                              ;   in Loop: Header=BB2_129 Depth=2
	v_bfe_u32 v34, v10, 18, 5
	s_mov_b32 s43, exec_lo
	s_delay_alu instid0(VALU_DEP_1)
	v_cmpx_eq_u32_e32 0, v34
; %bb.201:                              ;   in Loop: Header=BB2_129 Depth=2
	v_clz_i32_u32_e32 v34, v96
	s_delay_alu instid0(VALU_DEP_1) | instskip(NEXT) | instid1(VALU_DEP_1)
	v_min_u32_e32 v34, 32, v34
	v_subrev_nc_u32_e32 v96, 29, v34
	s_delay_alu instid0(VALU_DEP_1) | instskip(NEXT) | instid1(VALU_DEP_1)
	v_lshlrev_b64_e32 v[96:97], v96, v[30:31]
	v_dual_sub_nc_u32 v34, 30, v34 :: v_dual_bitop2_b32 v96, 3, v96 bitop3:0x40
; %bb.202:                              ;   in Loop: Header=BB2_129 Depth=2
	s_or_b32 exec_lo, exec_lo, s43
	v_lshlrev_b32_e32 v30, 24, v30
	s_delay_alu instid0(VALU_DEP_1) | instskip(NEXT) | instid1(VALU_DEP_1)
	v_and_b32_e32 v30, 0x80000000, v30
	v_lshl_add_u32 v30, v34, 23, v30
	s_delay_alu instid0(VALU_DEP_1) | instskip(NEXT) | instid1(VALU_DEP_1)
	v_lshl_or_b32 v30, v96, 21, v30
                                        ; implicit-def: $vgpr96
	v_add_nc_u32_e32 v34, 0x38000000, v30
                                        ; implicit-def: $vgpr30
.LBB2_203:                              ;   in Loop: Header=BB2_129 Depth=2
	s_and_not1_saveexec_b32 s42, s42
; %bb.204:                              ;   in Loop: Header=BB2_129 Depth=2
	v_bfe_i32 v30, v30, 0, 8
	s_delay_alu instid0(VALU_DEP_1) | instskip(SKIP_2) | instid1(VALU_DEP_2)
	v_cmp_lt_i16_e32 vcc_lo, -1, v30
	v_cndmask_b32_e32 v30, 0xff800000, v62, vcc_lo
	v_cmp_eq_u32_e32 vcc_lo, 0, v96
	v_cndmask_b32_e32 v34, 0x7f800001, v30, vcc_lo
; %bb.205:                              ;   in Loop: Header=BB2_129 Depth=2
	s_or_b32 exec_lo, exec_lo, s42
.LBB2_206:                              ;   in Loop: Header=BB2_129 Depth=2
	s_delay_alu instid0(SALU_CYCLE_1)
	s_or_b32 exec_lo, exec_lo, s41
.LBB2_207:                              ;   in Loop: Header=BB2_129 Depth=2
	s_delay_alu instid0(SALU_CYCLE_1) | instskip(NEXT) | instid1(VALU_DEP_1)
	s_or_b32 exec_lo, exec_lo, s11
	v_dual_mul_f32 v96, s40, v34 :: v_dual_mov_b32 v99, v35
                                        ; implicit-def: $vgpr114
	s_mov_b32 s11, exec_lo
	s_delay_alu instid0(VALU_DEP_1) | instskip(SKIP_2) | instid1(VALU_DEP_3)
	v_and_b32_e32 v98, 0x7f800000, v96
	v_and_b32_e32 v34, 0x7fffff, v96
	v_lshrrev_b32_e32 v30, 24, v96
	v_cmpx_ne_u64_e32 0x7f800000, v[98:99]
	s_xor_b32 s41, exec_lo, s11
	s_cbranch_execz .LBB2_221
; %bb.208:                              ;   in Loop: Header=BB2_129 Depth=2
	v_and_b32_e32 v98, 0x7fffffff, v96
	v_mov_b32_e32 v99, v35
	v_and_b32_e32 v30, 0x80, v30
                                        ; implicit-def: $vgpr114
	s_mov_b32 s11, exec_lo
	s_delay_alu instid0(VALU_DEP_2)
	v_cmpx_gt_u64_e32 0x47600001, v[98:99]
	s_xor_b32 s42, exec_lo, s11
	s_cbranch_execz .LBB2_218
; %bb.209:                              ;   in Loop: Header=BB2_129 Depth=2
	v_mov_b32_e32 v114, 0
	s_mov_b32 s43, exec_lo
	v_cmpx_ne_u32_e32 0, v96
	s_cbranch_execz .LBB2_217
; %bb.210:                              ;   in Loop: Header=BB2_129 Depth=2
	v_bfe_u32 v100, v96, 23, 8
	v_or_b32_e32 v98, 0x800000, v34
	s_delay_alu instid0(VALU_DEP_2) | instskip(SKIP_1) | instid1(VALU_DEP_2)
	v_sub_nc_u32_e32 v96, 0x71, v100
	v_cmp_gt_u32_e32 vcc_lo, 0x72, v100
	v_cndmask_b32_e32 v96, 0, v96, vcc_lo
	v_cmp_eq_u32_e32 vcc_lo, 0, v100
	s_delay_alu instid0(VALU_DEP_2) | instskip(NEXT) | instid1(VALU_DEP_1)
	v_cndmask_b32_e64 v113, v96, 0x70, vcc_lo
	v_dual_cndmask_b32 v34, v98, v34, vcc_lo :: v_dual_add_nc_u32 v96, 21, v113
	v_add_nc_u32_e32 v99, 20, v113
	s_delay_alu instid0(VALU_DEP_2) | instskip(NEXT) | instid1(VALU_DEP_2)
	v_lshlrev_b64_e64 v[96:97], v96, -1
	v_lshlrev_b64_e64 v[98:99], v99, 1
	s_delay_alu instid0(VALU_DEP_2) | instskip(NEXT) | instid1(VALU_DEP_3)
	v_bfi_b32 v115, v97, 0, 0
	v_bfi_b32 v114, v96, 0, v34
	v_lshrrev_b64 v[96:97], v113, v[34:35]
	s_delay_alu instid0(VALU_DEP_2) | instskip(NEXT) | instid1(VALU_DEP_2)
	v_cmp_eq_u64_e64 s11, v[114:115], v[98:99]
	v_mov_b64_e32 v[98:99], v[96:97]
	s_and_saveexec_b32 s44, s11
; %bb.211:                              ;   in Loop: Header=BB2_129 Depth=2
	v_bfe_u32 v34, v96, 21, 1
	s_delay_alu instid0(VALU_DEP_1) | instskip(NEXT) | instid1(VALU_DEP_1)
	v_add_nc_u64_e32 v[98:99], v[96:97], v[34:35]
	v_add_nc_u64_e32 v[98:99], -1, v[98:99]
; %bb.212:                              ;   in Loop: Header=BB2_129 Depth=2
	s_or_b32 exec_lo, exec_lo, s44
	v_add_nc_u32_e32 v34, 0xffffff81, v100
	v_lshrrev_b32_e32 v97, 23, v96
	s_mov_b32 s11, exec_lo
	s_delay_alu instid0(VALU_DEP_2) | instskip(NEXT) | instid1(VALU_DEP_1)
	v_cndmask_b32_e64 v34, v34, 0xffffff82, vcc_lo
	v_add3_u32 v99, v113, v34, v97
	v_and_b32_e32 v34, 0x1fffff, v98
                                        ; implicit-def: $vgpr98
	s_delay_alu instid0(VALU_DEP_1) | instskip(NEXT) | instid1(VALU_DEP_1)
	v_dual_add_nc_u32 v100, 14, v99 :: v_dual_add_nc_u32 v34, v34, v96
                                        ; implicit-def: $vgpr96_vgpr97
	v_cmpx_ne_u32_e32 0, v100
	s_xor_b32 s11, exec_lo, s11
; %bb.213:                              ;   in Loop: Header=BB2_129 Depth=2
	s_delay_alu instid0(VALU_DEP_2) | instskip(SKIP_1) | instid1(VALU_DEP_1)
	v_cmp_lt_u64_e32 vcc_lo, 0xffffff, v[34:35]
	v_add_nc_u32_e32 v96, 15, v99
	v_cndmask_b32_e32 v98, v100, v96, vcc_lo
	v_cndmask_b32_e64 v96, 0, 1, vcc_lo
	s_delay_alu instid0(VALU_DEP_1)
	v_lshrrev_b64 v[96:97], v96, v[34:35]
; %bb.214:                              ;   in Loop: Header=BB2_129 Depth=2
	s_and_not1_saveexec_b32 s11, s11
; %bb.215:                              ;   in Loop: Header=BB2_129 Depth=2
	v_mov_b64_e32 v[96:97], v[34:35]
	v_bfe_u32 v98, v34, 23, 1
; %bb.216:                              ;   in Loop: Header=BB2_129 Depth=2
	s_or_b32 exec_lo, exec_lo, s11
	s_delay_alu instid0(VALU_DEP_2) | instskip(NEXT) | instid1(VALU_DEP_2)
	v_lshrrev_b64 v[96:97], 21, v[96:97]
	v_cmp_gt_i32_e32 vcc_lo, 32, v98
	v_min_i32_e32 v34, 31, v98
	v_cmp_eq_u32_e64 s11, 0, v98
	s_delay_alu instid0(VALU_DEP_2) | instskip(SKIP_1) | instid1(VALU_DEP_2)
	v_dual_cndmask_b32 v97, 0, v97 :: v_dual_lshlrev_b32 v34, 2, v34
	v_cndmask_b32_e32 v96, 3, v96, vcc_lo
	v_and_b32_e32 v34, 0xfc, v34
	s_delay_alu instid0(VALU_DEP_2) | instskip(NEXT) | instid1(VALU_DEP_2)
	v_cmp_eq_u64_e32 vcc_lo, 0, v[96:97]
	v_and_or_b32 v34, v96, 3, v34
	s_and_b32 s11, s11, vcc_lo
	s_delay_alu instid0(VALU_DEP_1) | instid1(SALU_CYCLE_1)
	v_cndmask_b32_e64 v34, v34, 0, s11
	s_delay_alu instid0(VALU_DEP_1)
	v_or_b32_e32 v114, v34, v30
.LBB2_217:                              ;   in Loop: Header=BB2_129 Depth=2
	s_or_b32 exec_lo, exec_lo, s43
                                        ; implicit-def: $vgpr30
.LBB2_218:                              ;   in Loop: Header=BB2_129 Depth=2
	s_and_not1_saveexec_b32 s11, s42
; %bb.219:                              ;   in Loop: Header=BB2_129 Depth=2
	v_or_b32_e32 v114, 0x7b, v30
; %bb.220:                              ;   in Loop: Header=BB2_129 Depth=2
	s_or_b32 exec_lo, exec_lo, s11
                                        ; implicit-def: $vgpr96
                                        ; implicit-def: $vgpr30
.LBB2_221:                              ;   in Loop: Header=BB2_129 Depth=2
	s_and_not1_saveexec_b32 s11, s41
	s_cbranch_execz .LBB2_227
; %bb.222:                              ;   in Loop: Header=BB2_129 Depth=2
	s_mov_b32 s41, exec_lo
                                        ; implicit-def: $vgpr114
	v_cmpx_ne_u64_e32 0, v[34:35]
	s_xor_b32 s41, exec_lo, s41
; %bb.223:                              ;   in Loop: Header=BB2_129 Depth=2
	v_or_b32_e32 v114, 0x7f, v30
                                        ; implicit-def: $vgpr96
; %bb.224:                              ;   in Loop: Header=BB2_129 Depth=2
	s_and_not1_saveexec_b32 s41, s41
; %bb.225:                              ;   in Loop: Header=BB2_129 Depth=2
	v_cmp_lt_i32_e32 vcc_lo, -1, v96
	v_cndmask_b32_e32 v114, 0xfc, v63, vcc_lo
; %bb.226:                              ;   in Loop: Header=BB2_129 Depth=2
	s_or_b32 exec_lo, exec_lo, s41
.LBB2_227:                              ;   in Loop: Header=BB2_129 Depth=2
	s_delay_alu instid0(SALU_CYCLE_1)
	s_or_b32 exec_lo, exec_lo, s11
	v_mov_b32_e32 v34, 0
	s_mov_b32 s11, exec_lo
	v_cmpx_lt_u32_e32 0xffffff, v10
	s_cbranch_execz .LBB2_237
; %bb.228:                              ;   in Loop: Header=BB2_129 Depth=2
	v_lshrrev_b32_e32 v30, 24, v10
	v_bfrev_b32_e32 v34, 1
	s_mov_b32 s41, exec_lo
	s_delay_alu instid0(VALU_DEP_2)
	v_cmpx_ne_u32_e32 0x80, v30
	s_cbranch_execz .LBB2_236
; %bb.229:                              ;   in Loop: Header=BB2_129 Depth=2
	v_and_b32_e32 v34, 0x7c000000, v10
	v_bfe_u32 v96, v10, 24, 2
	s_delay_alu instid0(VALU_DEP_2) | instskip(SKIP_1) | instid1(SALU_CYCLE_1)
	v_cmp_ne_u32_e32 vcc_lo, 0x7c000000, v34
                                        ; implicit-def: $vgpr34
	s_and_saveexec_b32 s42, vcc_lo
	s_xor_b32 s42, exec_lo, s42
	s_cbranch_execz .LBB2_233
; %bb.230:                              ;   in Loop: Header=BB2_129 Depth=2
	v_bfe_u32 v34, v10, 26, 5
	s_mov_b32 s43, exec_lo
	s_delay_alu instid0(VALU_DEP_1)
	v_cmpx_eq_u32_e32 0, v34
; %bb.231:                              ;   in Loop: Header=BB2_129 Depth=2
	v_clz_i32_u32_e32 v34, v96
	s_delay_alu instid0(VALU_DEP_1) | instskip(NEXT) | instid1(VALU_DEP_1)
	v_min_u32_e32 v34, 32, v34
	v_subrev_nc_u32_e32 v96, 29, v34
	s_delay_alu instid0(VALU_DEP_1) | instskip(NEXT) | instid1(VALU_DEP_1)
	v_lshlrev_b64_e32 v[96:97], v96, v[30:31]
	v_dual_sub_nc_u32 v34, 30, v34 :: v_dual_bitop2_b32 v96, 3, v96 bitop3:0x40
; %bb.232:                              ;   in Loop: Header=BB2_129 Depth=2
	s_or_b32 exec_lo, exec_lo, s43
	v_and_b32_e32 v30, 0x80000000, v10
	s_delay_alu instid0(VALU_DEP_1) | instskip(NEXT) | instid1(VALU_DEP_1)
	v_lshl_add_u32 v30, v34, 23, v30
	v_lshl_or_b32 v30, v96, 21, v30
                                        ; implicit-def: $vgpr96
	s_delay_alu instid0(VALU_DEP_1)
	v_add_nc_u32_e32 v34, 0x38000000, v30
.LBB2_233:                              ;   in Loop: Header=BB2_129 Depth=2
	s_and_not1_saveexec_b32 s42, s42
; %bb.234:                              ;   in Loop: Header=BB2_129 Depth=2
	v_cmp_lt_i32_e32 vcc_lo, -1, v10
	v_cndmask_b32_e32 v30, 0xff800000, v62, vcc_lo
	v_cmp_eq_u32_e32 vcc_lo, 0, v96
	s_delay_alu instid0(VALU_DEP_2)
	v_cndmask_b32_e32 v34, 0x7f800001, v30, vcc_lo
; %bb.235:                              ;   in Loop: Header=BB2_129 Depth=2
	s_or_b32 exec_lo, exec_lo, s42
.LBB2_236:                              ;   in Loop: Header=BB2_129 Depth=2
	s_delay_alu instid0(SALU_CYCLE_1)
	s_or_b32 exec_lo, exec_lo, s41
.LBB2_237:                              ;   in Loop: Header=BB2_129 Depth=2
	s_delay_alu instid0(SALU_CYCLE_1) | instskip(NEXT) | instid1(VALU_DEP_1)
	s_or_b32 exec_lo, exec_lo, s11
	v_dual_mul_f32 v96, s40, v34 :: v_dual_mov_b32 v99, v35
                                        ; implicit-def: $vgpr117
	s_mov_b32 s11, exec_lo
	s_delay_alu instid0(VALU_DEP_1) | instskip(SKIP_2) | instid1(VALU_DEP_3)
	v_and_b32_e32 v98, 0x7f800000, v96
	v_and_b32_e32 v34, 0x7fffff, v96
	v_lshrrev_b32_e32 v30, 24, v96
	v_cmpx_ne_u64_e32 0x7f800000, v[98:99]
	s_xor_b32 s41, exec_lo, s11
	s_cbranch_execz .LBB2_251
; %bb.238:                              ;   in Loop: Header=BB2_129 Depth=2
	v_and_b32_e32 v98, 0x7fffffff, v96
	v_mov_b32_e32 v99, v35
	v_and_b32_e32 v30, 0x80, v30
                                        ; implicit-def: $vgpr117
	s_mov_b32 s11, exec_lo
	s_delay_alu instid0(VALU_DEP_2)
	v_cmpx_gt_u64_e32 0x47600001, v[98:99]
	s_xor_b32 s42, exec_lo, s11
	s_cbranch_execz .LBB2_248
; %bb.239:                              ;   in Loop: Header=BB2_129 Depth=2
	v_mov_b32_e32 v117, 0
	s_mov_b32 s43, exec_lo
	v_cmpx_ne_u32_e32 0, v96
	s_cbranch_execz .LBB2_247
; %bb.240:                              ;   in Loop: Header=BB2_129 Depth=2
	v_bfe_u32 v100, v96, 23, 8
	v_or_b32_e32 v98, 0x800000, v34
	s_delay_alu instid0(VALU_DEP_2) | instskip(SKIP_1) | instid1(VALU_DEP_2)
	v_sub_nc_u32_e32 v96, 0x71, v100
	v_cmp_gt_u32_e32 vcc_lo, 0x72, v100
	v_cndmask_b32_e32 v96, 0, v96, vcc_lo
	v_cmp_eq_u32_e32 vcc_lo, 0, v100
	s_delay_alu instid0(VALU_DEP_2) | instskip(NEXT) | instid1(VALU_DEP_1)
	v_cndmask_b32_e64 v113, v96, 0x70, vcc_lo
	v_dual_cndmask_b32 v34, v98, v34, vcc_lo :: v_dual_add_nc_u32 v96, 21, v113
	v_add_nc_u32_e32 v99, 20, v113
	s_delay_alu instid0(VALU_DEP_2) | instskip(NEXT) | instid1(VALU_DEP_2)
	v_lshlrev_b64_e64 v[96:97], v96, -1
	v_lshlrev_b64_e64 v[98:99], v99, 1
	s_delay_alu instid0(VALU_DEP_2) | instskip(NEXT) | instid1(VALU_DEP_3)
	v_bfi_b32 v117, v97, 0, 0
	v_bfi_b32 v116, v96, 0, v34
	v_lshrrev_b64 v[96:97], v113, v[34:35]
	s_delay_alu instid0(VALU_DEP_2) | instskip(NEXT) | instid1(VALU_DEP_2)
	v_cmp_eq_u64_e64 s11, v[116:117], v[98:99]
	v_mov_b64_e32 v[98:99], v[96:97]
	s_and_saveexec_b32 s44, s11
; %bb.241:                              ;   in Loop: Header=BB2_129 Depth=2
	v_bfe_u32 v34, v96, 21, 1
	s_delay_alu instid0(VALU_DEP_1) | instskip(NEXT) | instid1(VALU_DEP_1)
	v_add_nc_u64_e32 v[98:99], v[96:97], v[34:35]
	v_add_nc_u64_e32 v[98:99], -1, v[98:99]
; %bb.242:                              ;   in Loop: Header=BB2_129 Depth=2
	s_or_b32 exec_lo, exec_lo, s44
	v_add_nc_u32_e32 v34, 0xffffff81, v100
	v_lshrrev_b32_e32 v97, 23, v96
	s_mov_b32 s11, exec_lo
	s_delay_alu instid0(VALU_DEP_2) | instskip(NEXT) | instid1(VALU_DEP_1)
	v_cndmask_b32_e64 v34, v34, 0xffffff82, vcc_lo
	v_add3_u32 v99, v113, v34, v97
	v_and_b32_e32 v34, 0x1fffff, v98
                                        ; implicit-def: $vgpr98
	s_delay_alu instid0(VALU_DEP_1) | instskip(NEXT) | instid1(VALU_DEP_1)
	v_dual_add_nc_u32 v100, 14, v99 :: v_dual_add_nc_u32 v34, v34, v96
                                        ; implicit-def: $vgpr96_vgpr97
	v_cmpx_ne_u32_e32 0, v100
	s_xor_b32 s11, exec_lo, s11
; %bb.243:                              ;   in Loop: Header=BB2_129 Depth=2
	s_delay_alu instid0(VALU_DEP_2) | instskip(SKIP_1) | instid1(VALU_DEP_1)
	v_cmp_lt_u64_e32 vcc_lo, 0xffffff, v[34:35]
	v_add_nc_u32_e32 v96, 15, v99
	v_cndmask_b32_e32 v98, v100, v96, vcc_lo
	v_cndmask_b32_e64 v96, 0, 1, vcc_lo
	s_delay_alu instid0(VALU_DEP_1)
	v_lshrrev_b64 v[96:97], v96, v[34:35]
; %bb.244:                              ;   in Loop: Header=BB2_129 Depth=2
	s_and_not1_saveexec_b32 s11, s11
; %bb.245:                              ;   in Loop: Header=BB2_129 Depth=2
	v_mov_b64_e32 v[96:97], v[34:35]
	v_bfe_u32 v98, v34, 23, 1
; %bb.246:                              ;   in Loop: Header=BB2_129 Depth=2
	s_or_b32 exec_lo, exec_lo, s11
	s_delay_alu instid0(VALU_DEP_2) | instskip(NEXT) | instid1(VALU_DEP_2)
	v_lshrrev_b64 v[96:97], 21, v[96:97]
	v_cmp_gt_i32_e32 vcc_lo, 32, v98
	v_min_i32_e32 v34, 31, v98
	v_cmp_eq_u32_e64 s11, 0, v98
	s_delay_alu instid0(VALU_DEP_2) | instskip(SKIP_1) | instid1(VALU_DEP_2)
	v_dual_cndmask_b32 v97, 0, v97 :: v_dual_lshlrev_b32 v34, 2, v34
	v_cndmask_b32_e32 v96, 3, v96, vcc_lo
	v_and_b32_e32 v34, 0xfc, v34
	s_delay_alu instid0(VALU_DEP_2) | instskip(NEXT) | instid1(VALU_DEP_2)
	v_cmp_eq_u64_e32 vcc_lo, 0, v[96:97]
	v_and_or_b32 v34, v96, 3, v34
	s_and_b32 s11, s11, vcc_lo
	s_delay_alu instid0(VALU_DEP_1) | instid1(SALU_CYCLE_1)
	v_cndmask_b32_e64 v34, v34, 0, s11
	s_delay_alu instid0(VALU_DEP_1)
	v_or_b32_e32 v117, v34, v30
.LBB2_247:                              ;   in Loop: Header=BB2_129 Depth=2
	s_or_b32 exec_lo, exec_lo, s43
                                        ; implicit-def: $vgpr30
.LBB2_248:                              ;   in Loop: Header=BB2_129 Depth=2
	s_and_not1_saveexec_b32 s11, s42
; %bb.249:                              ;   in Loop: Header=BB2_129 Depth=2
	v_or_b32_e32 v117, 0x7b, v30
; %bb.250:                              ;   in Loop: Header=BB2_129 Depth=2
	s_or_b32 exec_lo, exec_lo, s11
                                        ; implicit-def: $vgpr96
                                        ; implicit-def: $vgpr30
.LBB2_251:                              ;   in Loop: Header=BB2_129 Depth=2
	s_and_not1_saveexec_b32 s11, s41
	s_cbranch_execz .LBB2_257
; %bb.252:                              ;   in Loop: Header=BB2_129 Depth=2
	s_mov_b32 s41, exec_lo
                                        ; implicit-def: $vgpr117
	v_cmpx_ne_u64_e32 0, v[34:35]
	s_xor_b32 s41, exec_lo, s41
; %bb.253:                              ;   in Loop: Header=BB2_129 Depth=2
	v_or_b32_e32 v117, 0x7f, v30
                                        ; implicit-def: $vgpr96
; %bb.254:                              ;   in Loop: Header=BB2_129 Depth=2
	s_and_not1_saveexec_b32 s41, s41
; %bb.255:                              ;   in Loop: Header=BB2_129 Depth=2
	v_cmp_lt_i32_e32 vcc_lo, -1, v96
	v_cndmask_b32_e32 v117, 0xfc, v63, vcc_lo
; %bb.256:                              ;   in Loop: Header=BB2_129 Depth=2
	s_or_b32 exec_lo, exec_lo, s41
.LBB2_257:                              ;   in Loop: Header=BB2_129 Depth=2
	s_delay_alu instid0(SALU_CYCLE_1) | instskip(SKIP_3) | instid1(VALU_DEP_2)
	s_or_b32 exec_lo, exec_lo, s11
	v_and_b32_e32 v96, 0xff, v11
	v_dual_mov_b32 v34, v11 :: v_dual_mov_b32 v30, 0
	s_mov_b32 s11, exec_lo
	v_cmpx_ne_u16_e32 0, v96
	s_cbranch_execz .LBB2_267
; %bb.258:                              ;   in Loop: Header=BB2_129 Depth=2
	v_bfrev_b32_e32 v30, 1
	s_mov_b32 s41, exec_lo
	v_cmpx_ne_u16_e32 0x80, v96
	s_cbranch_execz .LBB2_266
; %bb.259:                              ;   in Loop: Header=BB2_129 Depth=2
	v_and_b32_e32 v30, 0x7c, v11
	v_and_b32_e32 v96, 3, v11
	s_delay_alu instid0(VALU_DEP_2) | instskip(SKIP_1) | instid1(SALU_CYCLE_1)
	v_cmp_ne_u32_e32 vcc_lo, 0x7c, v30
                                        ; implicit-def: $vgpr30
	s_and_saveexec_b32 s42, vcc_lo
	s_xor_b32 s42, exec_lo, s42
	s_cbranch_execz .LBB2_263
; %bb.260:                              ;   in Loop: Header=BB2_129 Depth=2
	v_bfe_u32 v30, v11, 2, 5
	s_mov_b32 s43, exec_lo
	s_delay_alu instid0(VALU_DEP_1)
	v_cmpx_eq_u32_e32 0, v30
; %bb.261:                              ;   in Loop: Header=BB2_129 Depth=2
	v_clz_i32_u32_e32 v30, v96
	s_delay_alu instid0(VALU_DEP_1) | instskip(NEXT) | instid1(VALU_DEP_1)
	v_min_u32_e32 v30, 32, v30
	v_subrev_nc_u32_e32 v96, 29, v30
	s_delay_alu instid0(VALU_DEP_1) | instskip(NEXT) | instid1(VALU_DEP_1)
	v_lshlrev_b64_e32 v[96:97], v96, v[34:35]
	v_dual_sub_nc_u32 v30, 30, v30 :: v_dual_bitop2_b32 v96, 3, v96 bitop3:0x40
; %bb.262:                              ;   in Loop: Header=BB2_129 Depth=2
	s_or_b32 exec_lo, exec_lo, s43
	v_lshlrev_b32_e32 v97, 24, v11
	s_delay_alu instid0(VALU_DEP_1) | instskip(NEXT) | instid1(VALU_DEP_1)
	v_and_b32_e32 v97, 0x80000000, v97
	v_lshl_add_u32 v30, v30, 23, v97
	s_delay_alu instid0(VALU_DEP_1) | instskip(NEXT) | instid1(VALU_DEP_1)
	v_lshl_or_b32 v30, v96, 21, v30
                                        ; implicit-def: $vgpr96
	v_add_nc_u32_e32 v30, 0x38000000, v30
.LBB2_263:                              ;   in Loop: Header=BB2_129 Depth=2
	s_and_not1_saveexec_b32 s42, s42
; %bb.264:                              ;   in Loop: Header=BB2_129 Depth=2
	v_bfe_i32 v30, v11, 0, 8
	s_delay_alu instid0(VALU_DEP_1) | instskip(SKIP_2) | instid1(VALU_DEP_2)
	v_cmp_lt_i16_e32 vcc_lo, -1, v30
	v_cndmask_b32_e32 v30, 0xff800000, v62, vcc_lo
	v_cmp_eq_u32_e32 vcc_lo, 0, v96
	v_cndmask_b32_e32 v30, 0x7f800001, v30, vcc_lo
; %bb.265:                              ;   in Loop: Header=BB2_129 Depth=2
	s_or_b32 exec_lo, exec_lo, s42
.LBB2_266:                              ;   in Loop: Header=BB2_129 Depth=2
	s_delay_alu instid0(SALU_CYCLE_1)
	s_or_b32 exec_lo, exec_lo, s41
.LBB2_267:                              ;   in Loop: Header=BB2_129 Depth=2
	s_delay_alu instid0(SALU_CYCLE_1) | instskip(NEXT) | instid1(VALU_DEP_1)
	s_or_b32 exec_lo, exec_lo, s11
	v_dual_mul_f32 v98, s40, v30 :: v_dual_mov_b32 v119, v35
	v_mov_b32_e32 v97, v35
                                        ; implicit-def: $vgpr100
	s_mov_b32 s11, exec_lo
	s_delay_alu instid0(VALU_DEP_2) | instskip(SKIP_2) | instid1(VALU_DEP_3)
	v_and_b32_e32 v118, 0x7f800000, v98
	v_and_b32_e32 v96, 0x7fffff, v98
	v_lshrrev_b32_e32 v30, 24, v98
	v_cmpx_ne_u64_e32 0x7f800000, v[118:119]
	s_xor_b32 s41, exec_lo, s11
	s_cbranch_execz .LBB2_281
; %bb.268:                              ;   in Loop: Header=BB2_129 Depth=2
	v_and_b32_e32 v118, 0x7fffffff, v98
	v_mov_b32_e32 v119, v35
	v_and_b32_e32 v30, 0x80, v30
                                        ; implicit-def: $vgpr100
	s_mov_b32 s11, exec_lo
	s_delay_alu instid0(VALU_DEP_2)
	v_cmpx_gt_u64_e32 0x47600001, v[118:119]
	s_xor_b32 s42, exec_lo, s11
	s_cbranch_execz .LBB2_278
; %bb.269:                              ;   in Loop: Header=BB2_129 Depth=2
	v_mov_b32_e32 v100, 0
	s_mov_b32 s43, exec_lo
	v_cmpx_ne_u32_e32 0, v98
	s_cbranch_execz .LBB2_277
; %bb.270:                              ;   in Loop: Header=BB2_129 Depth=2
	v_bfe_u32 v100, v98, 23, 8
	v_or_b32_e32 v115, 0x800000, v96
	s_delay_alu instid0(VALU_DEP_2) | instskip(SKIP_1) | instid1(VALU_DEP_2)
	v_sub_nc_u32_e32 v98, 0x71, v100
	v_cmp_gt_u32_e32 vcc_lo, 0x72, v100
	v_cndmask_b32_e32 v98, 0, v98, vcc_lo
	v_cmp_eq_u32_e32 vcc_lo, 0, v100
	s_delay_alu instid0(VALU_DEP_2) | instskip(NEXT) | instid1(VALU_DEP_1)
	v_cndmask_b32_e64 v113, v98, 0x70, vcc_lo
	v_dual_cndmask_b32 v96, v115, v96, vcc_lo :: v_dual_add_nc_u32 v98, 21, v113
	v_add_nc_u32_e32 v116, 20, v113
	s_delay_alu instid0(VALU_DEP_2) | instskip(NEXT) | instid1(VALU_DEP_2)
	v_lshlrev_b64_e64 v[98:99], v98, -1
	v_lshlrev_b64_e64 v[118:119], v116, 1
	s_delay_alu instid0(VALU_DEP_2) | instskip(SKIP_1) | instid1(VALU_DEP_4)
	v_bfi_b32 v98, v98, 0, v96
	v_lshrrev_b64 v[96:97], v113, v[96:97]
	v_bfi_b32 v99, v99, 0, 0
	s_delay_alu instid0(VALU_DEP_1) | instskip(NEXT) | instid1(VALU_DEP_3)
	v_cmp_eq_u64_e64 s11, v[98:99], v[118:119]
	v_mov_b64_e32 v[98:99], v[96:97]
	s_and_saveexec_b32 s44, s11
; %bb.271:                              ;   in Loop: Header=BB2_129 Depth=2
	v_bfe_u32 v98, v96, 21, 1
	v_mov_b32_e32 v99, v35
	s_delay_alu instid0(VALU_DEP_1) | instskip(NEXT) | instid1(VALU_DEP_1)
	v_add_nc_u64_e32 v[98:99], v[96:97], v[98:99]
	v_add_nc_u64_e32 v[98:99], -1, v[98:99]
; %bb.272:                              ;   in Loop: Header=BB2_129 Depth=2
	s_or_b32 exec_lo, exec_lo, s44
	v_add_nc_u32_e32 v97, 0xffffff81, v100
	v_lshrrev_b32_e32 v99, 23, v96
	s_mov_b32 s11, exec_lo
	s_delay_alu instid0(VALU_DEP_2) | instskip(NEXT) | instid1(VALU_DEP_1)
	v_cndmask_b32_e64 v97, v97, 0xffffff82, vcc_lo
	v_add3_u32 v99, v113, v97, v99
	v_and_b32_e32 v97, 0x1fffff, v98
                                        ; implicit-def: $vgpr98
	s_delay_alu instid0(VALU_DEP_1) | instskip(SKIP_1) | instid1(VALU_DEP_2)
	v_dual_add_nc_u32 v100, 14, v99 :: v_dual_add_nc_u32 v96, v97, v96
	v_mov_b32_e32 v97, v35
	v_cmpx_ne_u32_e32 0, v100
	s_xor_b32 s11, exec_lo, s11
; %bb.273:                              ;   in Loop: Header=BB2_129 Depth=2
	s_delay_alu instid0(VALU_DEP_2) | instskip(SKIP_2) | instid1(VALU_DEP_2)
	v_cmp_lt_u64_e32 vcc_lo, 0xffffff, v[96:97]
	v_add_nc_u32_e32 v98, 15, v99
	v_cndmask_b32_e64 v99, 0, 1, vcc_lo
	v_cndmask_b32_e32 v98, v100, v98, vcc_lo
	s_delay_alu instid0(VALU_DEP_2)
	v_lshrrev_b64 v[96:97], v99, v[96:97]
; %bb.274:                              ;   in Loop: Header=BB2_129 Depth=2
	s_and_not1_saveexec_b32 s11, s11
; %bb.275:                              ;   in Loop: Header=BB2_129 Depth=2
	s_delay_alu instid0(VALU_DEP_1)
	v_bfe_u32 v98, v96, 23, 1
; %bb.276:                              ;   in Loop: Header=BB2_129 Depth=2
	s_or_b32 exec_lo, exec_lo, s11
	s_delay_alu instid0(VALU_DEP_2) | instskip(NEXT) | instid1(VALU_DEP_2)
	v_lshrrev_b64 v[96:97], 21, v[96:97]
	v_cmp_gt_i32_e32 vcc_lo, 32, v98
	v_min_i32_e32 v99, 31, v98
	v_cmp_eq_u32_e64 s11, 0, v98
	s_delay_alu instid0(VALU_DEP_2) | instskip(SKIP_1) | instid1(VALU_DEP_2)
	v_dual_cndmask_b32 v97, 0, v97, vcc_lo :: v_dual_lshlrev_b32 v99, 2, v99
	v_cndmask_b32_e32 v96, 3, v96, vcc_lo
	v_and_b32_e32 v99, 0xfc, v99
	s_delay_alu instid0(VALU_DEP_2) | instskip(NEXT) | instid1(VALU_DEP_2)
	v_cmp_eq_u64_e32 vcc_lo, 0, v[96:97]
	v_and_or_b32 v96, v96, 3, v99
	s_and_b32 s11, s11, vcc_lo
	s_delay_alu instid0(VALU_DEP_1) | instid1(SALU_CYCLE_1)
	v_cndmask_b32_e64 v96, v96, 0, s11
	s_delay_alu instid0(VALU_DEP_1)
	v_or_b32_e32 v100, v96, v30
.LBB2_277:                              ;   in Loop: Header=BB2_129 Depth=2
	s_or_b32 exec_lo, exec_lo, s43
                                        ; implicit-def: $vgpr30
.LBB2_278:                              ;   in Loop: Header=BB2_129 Depth=2
	s_and_not1_saveexec_b32 s11, s42
; %bb.279:                              ;   in Loop: Header=BB2_129 Depth=2
	v_or_b32_e32 v100, 0x7b, v30
; %bb.280:                              ;   in Loop: Header=BB2_129 Depth=2
	s_or_b32 exec_lo, exec_lo, s11
                                        ; implicit-def: $vgpr98
                                        ; implicit-def: $vgpr96_vgpr97
                                        ; implicit-def: $vgpr30
.LBB2_281:                              ;   in Loop: Header=BB2_129 Depth=2
	s_and_not1_saveexec_b32 s11, s41
	s_cbranch_execz .LBB2_287
; %bb.282:                              ;   in Loop: Header=BB2_129 Depth=2
	s_mov_b32 s41, exec_lo
                                        ; implicit-def: $vgpr100
	v_cmpx_ne_u64_e32 0, v[96:97]
	s_xor_b32 s41, exec_lo, s41
; %bb.283:                              ;   in Loop: Header=BB2_129 Depth=2
	v_or_b32_e32 v100, 0x7f, v30
                                        ; implicit-def: $vgpr98
; %bb.284:                              ;   in Loop: Header=BB2_129 Depth=2
	s_and_not1_saveexec_b32 s41, s41
; %bb.285:                              ;   in Loop: Header=BB2_129 Depth=2
	v_cmp_lt_i32_e32 vcc_lo, -1, v98
	v_cndmask_b32_e32 v100, 0xfc, v63, vcc_lo
; %bb.286:                              ;   in Loop: Header=BB2_129 Depth=2
	s_or_b32 exec_lo, exec_lo, s41
.LBB2_287:                              ;   in Loop: Header=BB2_129 Depth=2
	s_delay_alu instid0(SALU_CYCLE_1) | instskip(SKIP_3) | instid1(VALU_DEP_2)
	s_or_b32 exec_lo, exec_lo, s11
	v_lshrrev_b16 v96, 8, v34
	v_mov_b32_e32 v97, 0
	s_mov_b32 s11, exec_lo
	v_cmpx_ne_u16_e32 0, v96
	s_cbranch_execz .LBB2_297
; %bb.288:                              ;   in Loop: Header=BB2_129 Depth=2
	v_bfrev_b32_e32 v97, 1
	s_mov_b32 s41, exec_lo
	v_cmpx_ne_u16_e32 0x80, v96
	s_cbranch_execz .LBB2_296
; %bb.289:                              ;   in Loop: Header=BB2_129 Depth=2
	v_and_b32_e32 v98, 0xffff, v96
	s_delay_alu instid0(VALU_DEP_1) | instskip(SKIP_1) | instid1(VALU_DEP_2)
	v_and_b32_e32 v97, 0x7c, v98
	v_and_b32_e32 v30, 3, v98
	v_cmp_ne_u32_e32 vcc_lo, 0x7c, v97
                                        ; implicit-def: $vgpr97
	s_and_saveexec_b32 s42, vcc_lo
	s_delay_alu instid0(SALU_CYCLE_1)
	s_xor_b32 s42, exec_lo, s42
	s_cbranch_execz .LBB2_293
; %bb.290:                              ;   in Loop: Header=BB2_129 Depth=2
	v_bfe_u32 v97, v98, 2, 5
	s_mov_b32 s43, exec_lo
	s_delay_alu instid0(VALU_DEP_1)
	v_cmpx_eq_u32_e32 0, v97
; %bb.291:                              ;   in Loop: Header=BB2_129 Depth=2
	v_clz_i32_u32_e32 v30, v30
	v_mov_b32_e32 v97, v35
	s_delay_alu instid0(VALU_DEP_2) | instskip(NEXT) | instid1(VALU_DEP_1)
	v_min_u32_e32 v30, 32, v30
	v_subrev_nc_u32_e32 v98, 29, v30
	s_delay_alu instid0(VALU_DEP_1) | instskip(NEXT) | instid1(VALU_DEP_1)
	v_lshlrev_b64_e32 v[96:97], v98, v[96:97]
	v_dual_sub_nc_u32 v97, 30, v30 :: v_dual_bitop2_b32 v30, 3, v96 bitop3:0x40
; %bb.292:                              ;   in Loop: Header=BB2_129 Depth=2
	s_or_b32 exec_lo, exec_lo, s43
	v_lshlrev_b32_e32 v34, 16, v34
	s_delay_alu instid0(VALU_DEP_1) | instskip(NEXT) | instid1(VALU_DEP_1)
	v_and_b32_e32 v34, 0x80000000, v34
	v_lshl_add_u32 v34, v97, 23, v34
	s_delay_alu instid0(VALU_DEP_1) | instskip(NEXT) | instid1(VALU_DEP_1)
	v_lshl_or_b32 v30, v30, 21, v34
	v_add_nc_u32_e32 v97, 0x38000000, v30
                                        ; implicit-def: $vgpr30
.LBB2_293:                              ;   in Loop: Header=BB2_129 Depth=2
	s_and_not1_saveexec_b32 s42, s42
; %bb.294:                              ;   in Loop: Header=BB2_129 Depth=2
	v_cmp_lt_i16_e32 vcc_lo, -1, v34
	v_cndmask_b32_e32 v34, 0xff800000, v62, vcc_lo
	v_cmp_eq_u32_e32 vcc_lo, 0, v30
	s_delay_alu instid0(VALU_DEP_2)
	v_cndmask_b32_e32 v97, 0x7f800001, v34, vcc_lo
; %bb.295:                              ;   in Loop: Header=BB2_129 Depth=2
	s_or_b32 exec_lo, exec_lo, s42
.LBB2_296:                              ;   in Loop: Header=BB2_129 Depth=2
	s_delay_alu instid0(SALU_CYCLE_1)
	s_or_b32 exec_lo, exec_lo, s41
.LBB2_297:                              ;   in Loop: Header=BB2_129 Depth=2
	s_delay_alu instid0(SALU_CYCLE_1) | instskip(NEXT) | instid1(VALU_DEP_1)
	s_or_b32 exec_lo, exec_lo, s11
	v_dual_mul_f32 v96, s40, v97 :: v_dual_mov_b32 v99, v35
                                        ; implicit-def: $vgpr43
	s_mov_b32 s11, exec_lo
	s_delay_alu instid0(VALU_DEP_1) | instskip(SKIP_2) | instid1(VALU_DEP_3)
	v_and_b32_e32 v98, 0x7f800000, v96
	v_and_b32_e32 v34, 0x7fffff, v96
	v_lshrrev_b32_e32 v30, 24, v96
	v_cmpx_ne_u64_e32 0x7f800000, v[98:99]
	s_xor_b32 s41, exec_lo, s11
	s_cbranch_execz .LBB2_311
; %bb.298:                              ;   in Loop: Header=BB2_129 Depth=2
	v_and_b32_e32 v98, 0x7fffffff, v96
	v_mov_b32_e32 v99, v35
	v_and_b32_e32 v30, 0x80, v30
                                        ; implicit-def: $vgpr43
	s_mov_b32 s11, exec_lo
	s_delay_alu instid0(VALU_DEP_2)
	v_cmpx_gt_u64_e32 0x47600001, v[98:99]
	s_xor_b32 s42, exec_lo, s11
	s_cbranch_execz .LBB2_308
; %bb.299:                              ;   in Loop: Header=BB2_129 Depth=2
	v_mov_b32_e32 v43, 0
	s_mov_b32 s43, exec_lo
	v_cmpx_ne_u32_e32 0, v96
	s_cbranch_execz .LBB2_307
; %bb.300:                              ;   in Loop: Header=BB2_129 Depth=2
	v_bfe_u32 v113, v96, 23, 8
	v_or_b32_e32 v98, 0x800000, v34
	s_delay_alu instid0(VALU_DEP_2) | instskip(SKIP_1) | instid1(VALU_DEP_2)
	v_sub_nc_u32_e32 v96, 0x71, v113
	v_cmp_gt_u32_e32 vcc_lo, 0x72, v113
	v_cndmask_b32_e32 v96, 0, v96, vcc_lo
	v_cmp_eq_u32_e32 vcc_lo, 0, v113
	s_delay_alu instid0(VALU_DEP_2) | instskip(NEXT) | instid1(VALU_DEP_1)
	v_cndmask_b32_e64 v115, v96, 0x70, vcc_lo
	v_dual_cndmask_b32 v34, v98, v34, vcc_lo :: v_dual_add_nc_u32 v96, 21, v115
	v_add_nc_u32_e32 v99, 20, v115
	s_delay_alu instid0(VALU_DEP_2) | instskip(NEXT) | instid1(VALU_DEP_2)
	v_lshlrev_b64_e64 v[96:97], v96, -1
	v_lshlrev_b64_e64 v[98:99], v99, 1
	s_delay_alu instid0(VALU_DEP_2) | instskip(NEXT) | instid1(VALU_DEP_3)
	v_bfi_b32 v119, v97, 0, 0
	v_bfi_b32 v118, v96, 0, v34
	v_lshrrev_b64 v[96:97], v115, v[34:35]
	s_delay_alu instid0(VALU_DEP_2) | instskip(NEXT) | instid1(VALU_DEP_2)
	v_cmp_eq_u64_e64 s11, v[118:119], v[98:99]
	v_mov_b64_e32 v[98:99], v[96:97]
	s_and_saveexec_b32 s44, s11
; %bb.301:                              ;   in Loop: Header=BB2_129 Depth=2
	v_bfe_u32 v34, v96, 21, 1
	s_delay_alu instid0(VALU_DEP_1) | instskip(NEXT) | instid1(VALU_DEP_1)
	v_add_nc_u64_e32 v[98:99], v[96:97], v[34:35]
	v_add_nc_u64_e32 v[98:99], -1, v[98:99]
; %bb.302:                              ;   in Loop: Header=BB2_129 Depth=2
	s_or_b32 exec_lo, exec_lo, s44
	v_add_nc_u32_e32 v34, 0xffffff81, v113
	v_lshrrev_b32_e32 v97, 23, v96
	s_mov_b32 s11, exec_lo
	s_delay_alu instid0(VALU_DEP_2) | instskip(NEXT) | instid1(VALU_DEP_1)
	v_cndmask_b32_e64 v34, v34, 0xffffff82, vcc_lo
	v_add3_u32 v99, v115, v34, v97
	v_and_b32_e32 v34, 0x1fffff, v98
                                        ; implicit-def: $vgpr98
	s_delay_alu instid0(VALU_DEP_1) | instskip(NEXT) | instid1(VALU_DEP_1)
	v_dual_add_nc_u32 v113, 14, v99 :: v_dual_add_nc_u32 v34, v34, v96
                                        ; implicit-def: $vgpr96_vgpr97
	v_cmpx_ne_u32_e32 0, v113
	s_xor_b32 s11, exec_lo, s11
; %bb.303:                              ;   in Loop: Header=BB2_129 Depth=2
	s_delay_alu instid0(VALU_DEP_2) | instskip(SKIP_1) | instid1(VALU_DEP_1)
	v_cmp_lt_u64_e32 vcc_lo, 0xffffff, v[34:35]
	v_add_nc_u32_e32 v96, 15, v99
	v_cndmask_b32_e32 v98, v113, v96, vcc_lo
	v_cndmask_b32_e64 v96, 0, 1, vcc_lo
	s_delay_alu instid0(VALU_DEP_1)
	v_lshrrev_b64 v[96:97], v96, v[34:35]
; %bb.304:                              ;   in Loop: Header=BB2_129 Depth=2
	s_and_not1_saveexec_b32 s11, s11
; %bb.305:                              ;   in Loop: Header=BB2_129 Depth=2
	v_mov_b64_e32 v[96:97], v[34:35]
	v_bfe_u32 v98, v34, 23, 1
; %bb.306:                              ;   in Loop: Header=BB2_129 Depth=2
	s_or_b32 exec_lo, exec_lo, s11
	s_delay_alu instid0(VALU_DEP_2) | instskip(NEXT) | instid1(VALU_DEP_2)
	v_lshrrev_b64 v[96:97], 21, v[96:97]
	v_cmp_gt_i32_e32 vcc_lo, 32, v98
	v_min_i32_e32 v34, 31, v98
	v_cmp_eq_u32_e64 s11, 0, v98
	s_delay_alu instid0(VALU_DEP_2) | instskip(SKIP_1) | instid1(VALU_DEP_2)
	v_dual_cndmask_b32 v97, 0, v97 :: v_dual_lshlrev_b32 v34, 2, v34
	v_cndmask_b32_e32 v96, 3, v96, vcc_lo
	v_and_b32_e32 v34, 0xfc, v34
	s_delay_alu instid0(VALU_DEP_2) | instskip(NEXT) | instid1(VALU_DEP_2)
	v_cmp_eq_u64_e32 vcc_lo, 0, v[96:97]
	v_and_or_b32 v34, v96, 3, v34
	s_and_b32 s11, s11, vcc_lo
	s_delay_alu instid0(VALU_DEP_1) | instid1(SALU_CYCLE_1)
	v_cndmask_b32_e64 v34, v34, 0, s11
	s_delay_alu instid0(VALU_DEP_1)
	v_or_b32_e32 v43, v34, v30
.LBB2_307:                              ;   in Loop: Header=BB2_129 Depth=2
	s_or_b32 exec_lo, exec_lo, s43
                                        ; implicit-def: $vgpr30
.LBB2_308:                              ;   in Loop: Header=BB2_129 Depth=2
	s_and_not1_saveexec_b32 s11, s42
; %bb.309:                              ;   in Loop: Header=BB2_129 Depth=2
	v_or_b32_e32 v43, 0x7b, v30
; %bb.310:                              ;   in Loop: Header=BB2_129 Depth=2
	s_or_b32 exec_lo, exec_lo, s11
                                        ; implicit-def: $vgpr96
                                        ; implicit-def: $vgpr30
.LBB2_311:                              ;   in Loop: Header=BB2_129 Depth=2
	s_and_not1_saveexec_b32 s11, s41
	s_cbranch_execz .LBB2_317
; %bb.312:                              ;   in Loop: Header=BB2_129 Depth=2
	s_mov_b32 s41, exec_lo
                                        ; implicit-def: $vgpr43
	v_cmpx_ne_u64_e32 0, v[34:35]
	s_xor_b32 s41, exec_lo, s41
; %bb.313:                              ;   in Loop: Header=BB2_129 Depth=2
	v_or_b32_e32 v43, 0x7f, v30
                                        ; implicit-def: $vgpr96
; %bb.314:                              ;   in Loop: Header=BB2_129 Depth=2
	s_and_not1_saveexec_b32 s41, s41
; %bb.315:                              ;   in Loop: Header=BB2_129 Depth=2
	v_cmp_lt_i32_e32 vcc_lo, -1, v96
	v_cndmask_b32_e32 v43, 0xfc, v63, vcc_lo
; %bb.316:                              ;   in Loop: Header=BB2_129 Depth=2
	s_or_b32 exec_lo, exec_lo, s41
.LBB2_317:                              ;   in Loop: Header=BB2_129 Depth=2
	s_delay_alu instid0(SALU_CYCLE_1) | instskip(SKIP_2) | instid1(VALU_DEP_1)
	s_or_b32 exec_lo, exec_lo, s11
	v_dual_lshrrev_b32 v30, 16, v11 :: v_dual_mov_b32 v34, 0
	s_mov_b32 s11, exec_lo
	v_and_b32_e32 v96, 0xff, v30
	s_delay_alu instid0(VALU_DEP_1)
	v_cmpx_ne_u16_e32 0, v96
	s_cbranch_execz .LBB2_327
; %bb.318:                              ;   in Loop: Header=BB2_129 Depth=2
	v_bfrev_b32_e32 v34, 1
	s_mov_b32 s41, exec_lo
	v_cmpx_ne_u16_e32 0x80, v96
	s_cbranch_execz .LBB2_326
; %bb.319:                              ;   in Loop: Header=BB2_129 Depth=2
	v_and_b32_e32 v34, 0x7c0000, v11
	v_bfe_u32 v96, v11, 16, 2
	s_delay_alu instid0(VALU_DEP_2) | instskip(SKIP_1) | instid1(SALU_CYCLE_1)
	v_cmp_ne_u32_e32 vcc_lo, 0x7c0000, v34
                                        ; implicit-def: $vgpr34
	s_and_saveexec_b32 s42, vcc_lo
	s_xor_b32 s42, exec_lo, s42
	s_cbranch_execz .LBB2_323
; %bb.320:                              ;   in Loop: Header=BB2_129 Depth=2
	v_bfe_u32 v34, v11, 18, 5
	s_mov_b32 s43, exec_lo
	s_delay_alu instid0(VALU_DEP_1)
	v_cmpx_eq_u32_e32 0, v34
; %bb.321:                              ;   in Loop: Header=BB2_129 Depth=2
	v_clz_i32_u32_e32 v34, v96
	s_delay_alu instid0(VALU_DEP_1) | instskip(NEXT) | instid1(VALU_DEP_1)
	v_min_u32_e32 v34, 32, v34
	v_subrev_nc_u32_e32 v96, 29, v34
	s_delay_alu instid0(VALU_DEP_1) | instskip(NEXT) | instid1(VALU_DEP_1)
	v_lshlrev_b64_e32 v[96:97], v96, v[30:31]
	v_dual_sub_nc_u32 v34, 30, v34 :: v_dual_bitop2_b32 v96, 3, v96 bitop3:0x40
; %bb.322:                              ;   in Loop: Header=BB2_129 Depth=2
	s_or_b32 exec_lo, exec_lo, s43
	v_lshlrev_b32_e32 v30, 24, v30
	s_delay_alu instid0(VALU_DEP_1) | instskip(NEXT) | instid1(VALU_DEP_1)
	v_and_b32_e32 v30, 0x80000000, v30
	v_lshl_add_u32 v30, v34, 23, v30
	s_delay_alu instid0(VALU_DEP_1) | instskip(NEXT) | instid1(VALU_DEP_1)
	v_lshl_or_b32 v30, v96, 21, v30
                                        ; implicit-def: $vgpr96
	v_add_nc_u32_e32 v34, 0x38000000, v30
                                        ; implicit-def: $vgpr30
.LBB2_323:                              ;   in Loop: Header=BB2_129 Depth=2
	s_and_not1_saveexec_b32 s42, s42
; %bb.324:                              ;   in Loop: Header=BB2_129 Depth=2
	v_bfe_i32 v30, v30, 0, 8
	s_delay_alu instid0(VALU_DEP_1) | instskip(SKIP_2) | instid1(VALU_DEP_2)
	v_cmp_lt_i16_e32 vcc_lo, -1, v30
	v_cndmask_b32_e32 v30, 0xff800000, v62, vcc_lo
	v_cmp_eq_u32_e32 vcc_lo, 0, v96
	v_cndmask_b32_e32 v34, 0x7f800001, v30, vcc_lo
; %bb.325:                              ;   in Loop: Header=BB2_129 Depth=2
	s_or_b32 exec_lo, exec_lo, s42
.LBB2_326:                              ;   in Loop: Header=BB2_129 Depth=2
	s_delay_alu instid0(SALU_CYCLE_1)
	s_or_b32 exec_lo, exec_lo, s41
.LBB2_327:                              ;   in Loop: Header=BB2_129 Depth=2
	s_delay_alu instid0(SALU_CYCLE_1) | instskip(NEXT) | instid1(VALU_DEP_1)
	s_or_b32 exec_lo, exec_lo, s11
	v_dual_mul_f32 v96, s40, v34 :: v_dual_mov_b32 v99, v35
                                        ; implicit-def: $vgpr45
	s_mov_b32 s11, exec_lo
	s_delay_alu instid0(VALU_DEP_1) | instskip(SKIP_2) | instid1(VALU_DEP_3)
	v_and_b32_e32 v98, 0x7f800000, v96
	v_and_b32_e32 v34, 0x7fffff, v96
	v_lshrrev_b32_e32 v30, 24, v96
	v_cmpx_ne_u64_e32 0x7f800000, v[98:99]
	s_xor_b32 s41, exec_lo, s11
	s_cbranch_execz .LBB2_341
; %bb.328:                              ;   in Loop: Header=BB2_129 Depth=2
	v_and_b32_e32 v98, 0x7fffffff, v96
	v_mov_b32_e32 v99, v35
	v_and_b32_e32 v30, 0x80, v30
                                        ; implicit-def: $vgpr45
	s_mov_b32 s11, exec_lo
	s_delay_alu instid0(VALU_DEP_2)
	v_cmpx_gt_u64_e32 0x47600001, v[98:99]
	s_xor_b32 s42, exec_lo, s11
	s_cbranch_execz .LBB2_338
; %bb.329:                              ;   in Loop: Header=BB2_129 Depth=2
	v_mov_b32_e32 v45, 0
	s_mov_b32 s43, exec_lo
	v_cmpx_ne_u32_e32 0, v96
	s_cbranch_execz .LBB2_337
; %bb.330:                              ;   in Loop: Header=BB2_129 Depth=2
	v_bfe_u32 v113, v96, 23, 8
	v_or_b32_e32 v98, 0x800000, v34
	s_delay_alu instid0(VALU_DEP_2) | instskip(SKIP_1) | instid1(VALU_DEP_2)
	v_sub_nc_u32_e32 v96, 0x71, v113
	v_cmp_gt_u32_e32 vcc_lo, 0x72, v113
	v_cndmask_b32_e32 v96, 0, v96, vcc_lo
	v_cmp_eq_u32_e32 vcc_lo, 0, v113
	s_delay_alu instid0(VALU_DEP_2) | instskip(NEXT) | instid1(VALU_DEP_1)
	v_cndmask_b32_e64 v115, v96, 0x70, vcc_lo
	v_dual_cndmask_b32 v34, v98, v34, vcc_lo :: v_dual_add_nc_u32 v96, 21, v115
	v_add_nc_u32_e32 v99, 20, v115
	s_delay_alu instid0(VALU_DEP_2) | instskip(NEXT) | instid1(VALU_DEP_2)
	v_lshlrev_b64_e64 v[96:97], v96, -1
	v_lshlrev_b64_e64 v[98:99], v99, 1
	s_delay_alu instid0(VALU_DEP_2) | instskip(NEXT) | instid1(VALU_DEP_3)
	v_bfi_b32 v119, v97, 0, 0
	v_bfi_b32 v118, v96, 0, v34
	v_lshrrev_b64 v[96:97], v115, v[34:35]
	s_delay_alu instid0(VALU_DEP_2) | instskip(NEXT) | instid1(VALU_DEP_2)
	v_cmp_eq_u64_e64 s11, v[118:119], v[98:99]
	v_mov_b64_e32 v[98:99], v[96:97]
	s_and_saveexec_b32 s44, s11
; %bb.331:                              ;   in Loop: Header=BB2_129 Depth=2
	v_bfe_u32 v34, v96, 21, 1
	s_delay_alu instid0(VALU_DEP_1) | instskip(NEXT) | instid1(VALU_DEP_1)
	v_add_nc_u64_e32 v[98:99], v[96:97], v[34:35]
	v_add_nc_u64_e32 v[98:99], -1, v[98:99]
; %bb.332:                              ;   in Loop: Header=BB2_129 Depth=2
	s_or_b32 exec_lo, exec_lo, s44
	v_add_nc_u32_e32 v34, 0xffffff81, v113
	v_lshrrev_b32_e32 v97, 23, v96
	s_mov_b32 s11, exec_lo
	s_delay_alu instid0(VALU_DEP_2) | instskip(NEXT) | instid1(VALU_DEP_1)
	v_cndmask_b32_e64 v34, v34, 0xffffff82, vcc_lo
	v_add3_u32 v99, v115, v34, v97
	v_and_b32_e32 v34, 0x1fffff, v98
                                        ; implicit-def: $vgpr98
	s_delay_alu instid0(VALU_DEP_1) | instskip(NEXT) | instid1(VALU_DEP_1)
	v_dual_add_nc_u32 v113, 14, v99 :: v_dual_add_nc_u32 v34, v34, v96
                                        ; implicit-def: $vgpr96_vgpr97
	v_cmpx_ne_u32_e32 0, v113
	s_xor_b32 s11, exec_lo, s11
; %bb.333:                              ;   in Loop: Header=BB2_129 Depth=2
	s_delay_alu instid0(VALU_DEP_2) | instskip(SKIP_1) | instid1(VALU_DEP_1)
	v_cmp_lt_u64_e32 vcc_lo, 0xffffff, v[34:35]
	v_add_nc_u32_e32 v96, 15, v99
	v_cndmask_b32_e32 v98, v113, v96, vcc_lo
	v_cndmask_b32_e64 v96, 0, 1, vcc_lo
	s_delay_alu instid0(VALU_DEP_1)
	v_lshrrev_b64 v[96:97], v96, v[34:35]
; %bb.334:                              ;   in Loop: Header=BB2_129 Depth=2
	s_and_not1_saveexec_b32 s11, s11
; %bb.335:                              ;   in Loop: Header=BB2_129 Depth=2
	v_mov_b64_e32 v[96:97], v[34:35]
	v_bfe_u32 v98, v34, 23, 1
; %bb.336:                              ;   in Loop: Header=BB2_129 Depth=2
	s_or_b32 exec_lo, exec_lo, s11
	s_delay_alu instid0(VALU_DEP_2) | instskip(NEXT) | instid1(VALU_DEP_2)
	v_lshrrev_b64 v[96:97], 21, v[96:97]
	v_cmp_gt_i32_e32 vcc_lo, 32, v98
	v_min_i32_e32 v34, 31, v98
	v_cmp_eq_u32_e64 s11, 0, v98
	s_delay_alu instid0(VALU_DEP_2) | instskip(SKIP_1) | instid1(VALU_DEP_2)
	v_dual_cndmask_b32 v97, 0, v97 :: v_dual_lshlrev_b32 v34, 2, v34
	v_cndmask_b32_e32 v96, 3, v96, vcc_lo
	v_and_b32_e32 v34, 0xfc, v34
	s_delay_alu instid0(VALU_DEP_2) | instskip(NEXT) | instid1(VALU_DEP_2)
	v_cmp_eq_u64_e32 vcc_lo, 0, v[96:97]
	v_and_or_b32 v34, v96, 3, v34
	s_and_b32 s11, s11, vcc_lo
	s_delay_alu instid0(VALU_DEP_1) | instid1(SALU_CYCLE_1)
	v_cndmask_b32_e64 v34, v34, 0, s11
	s_delay_alu instid0(VALU_DEP_1)
	v_or_b32_e32 v45, v34, v30
.LBB2_337:                              ;   in Loop: Header=BB2_129 Depth=2
	s_or_b32 exec_lo, exec_lo, s43
                                        ; implicit-def: $vgpr30
.LBB2_338:                              ;   in Loop: Header=BB2_129 Depth=2
	s_and_not1_saveexec_b32 s11, s42
; %bb.339:                              ;   in Loop: Header=BB2_129 Depth=2
	v_or_b32_e32 v45, 0x7b, v30
; %bb.340:                              ;   in Loop: Header=BB2_129 Depth=2
	s_or_b32 exec_lo, exec_lo, s11
                                        ; implicit-def: $vgpr96
                                        ; implicit-def: $vgpr30
.LBB2_341:                              ;   in Loop: Header=BB2_129 Depth=2
	s_and_not1_saveexec_b32 s11, s41
	s_cbranch_execz .LBB2_347
; %bb.342:                              ;   in Loop: Header=BB2_129 Depth=2
	s_mov_b32 s41, exec_lo
                                        ; implicit-def: $vgpr45
	v_cmpx_ne_u64_e32 0, v[34:35]
	s_xor_b32 s41, exec_lo, s41
; %bb.343:                              ;   in Loop: Header=BB2_129 Depth=2
	v_or_b32_e32 v45, 0x7f, v30
                                        ; implicit-def: $vgpr96
; %bb.344:                              ;   in Loop: Header=BB2_129 Depth=2
	s_and_not1_saveexec_b32 s41, s41
; %bb.345:                              ;   in Loop: Header=BB2_129 Depth=2
	v_cmp_lt_i32_e32 vcc_lo, -1, v96
	v_cndmask_b32_e32 v45, 0xfc, v63, vcc_lo
; %bb.346:                              ;   in Loop: Header=BB2_129 Depth=2
	s_or_b32 exec_lo, exec_lo, s41
.LBB2_347:                              ;   in Loop: Header=BB2_129 Depth=2
	s_delay_alu instid0(SALU_CYCLE_1)
	s_or_b32 exec_lo, exec_lo, s11
	v_mov_b32_e32 v34, 0
	s_mov_b32 s11, exec_lo
	v_cmpx_lt_u64_e64 s[12:13], v[10:11]
	s_cbranch_execz .LBB2_357
; %bb.348:                              ;   in Loop: Header=BB2_129 Depth=2
	v_lshrrev_b32_e32 v30, 24, v11
	v_bfrev_b32_e32 v34, 1
	s_mov_b32 s41, exec_lo
	s_delay_alu instid0(VALU_DEP_2)
	v_cmpx_ne_u32_e32 0x80, v30
	s_cbranch_execz .LBB2_356
; %bb.349:                              ;   in Loop: Header=BB2_129 Depth=2
	v_and_b32_e32 v34, 0x7c000000, v11
	v_bfe_u32 v96, v11, 24, 2
	s_delay_alu instid0(VALU_DEP_2) | instskip(SKIP_1) | instid1(SALU_CYCLE_1)
	v_cmp_ne_u32_e32 vcc_lo, 0x7c000000, v34
                                        ; implicit-def: $vgpr34
	s_and_saveexec_b32 s42, vcc_lo
	s_xor_b32 s42, exec_lo, s42
	s_cbranch_execz .LBB2_353
; %bb.350:                              ;   in Loop: Header=BB2_129 Depth=2
	v_bfe_u32 v34, v11, 26, 5
	s_mov_b32 s43, exec_lo
	s_delay_alu instid0(VALU_DEP_1)
	v_cmpx_eq_u32_e32 0, v34
; %bb.351:                              ;   in Loop: Header=BB2_129 Depth=2
	v_clz_i32_u32_e32 v34, v96
	s_delay_alu instid0(VALU_DEP_1) | instskip(NEXT) | instid1(VALU_DEP_1)
	v_min_u32_e32 v34, 32, v34
	v_subrev_nc_u32_e32 v96, 29, v34
	s_delay_alu instid0(VALU_DEP_1) | instskip(NEXT) | instid1(VALU_DEP_1)
	v_lshlrev_b64_e32 v[96:97], v96, v[30:31]
	v_dual_sub_nc_u32 v34, 30, v34 :: v_dual_bitop2_b32 v96, 3, v96 bitop3:0x40
; %bb.352:                              ;   in Loop: Header=BB2_129 Depth=2
	s_or_b32 exec_lo, exec_lo, s43
	v_and_b32_e32 v30, 0x80000000, v11
	s_delay_alu instid0(VALU_DEP_1) | instskip(NEXT) | instid1(VALU_DEP_1)
	v_lshl_add_u32 v30, v34, 23, v30
	v_lshl_or_b32 v30, v96, 21, v30
                                        ; implicit-def: $vgpr96
	s_delay_alu instid0(VALU_DEP_1)
	v_add_nc_u32_e32 v34, 0x38000000, v30
.LBB2_353:                              ;   in Loop: Header=BB2_129 Depth=2
	s_and_not1_saveexec_b32 s42, s42
; %bb.354:                              ;   in Loop: Header=BB2_129 Depth=2
	v_cmp_lt_i64_e32 vcc_lo, -1, v[10:11]
	v_cndmask_b32_e32 v10, 0xff800000, v62, vcc_lo
	v_cmp_eq_u32_e32 vcc_lo, 0, v96
	s_delay_alu instid0(VALU_DEP_2)
	v_cndmask_b32_e32 v34, 0x7f800001, v10, vcc_lo
; %bb.355:                              ;   in Loop: Header=BB2_129 Depth=2
	s_or_b32 exec_lo, exec_lo, s42
.LBB2_356:                              ;   in Loop: Header=BB2_129 Depth=2
	s_delay_alu instid0(SALU_CYCLE_1)
	s_or_b32 exec_lo, exec_lo, s41
.LBB2_357:                              ;   in Loop: Header=BB2_129 Depth=2
	s_delay_alu instid0(SALU_CYCLE_1) | instskip(NEXT) | instid1(VALU_DEP_1)
	s_or_b32 exec_lo, exec_lo, s11
	v_dual_mul_f32 v10, s40, v34 :: v_dual_mov_b32 v97, v35
                                        ; implicit-def: $vgpr46
	s_mov_b32 s11, exec_lo
	s_delay_alu instid0(VALU_DEP_1) | instskip(SKIP_2) | instid1(VALU_DEP_3)
	v_and_b32_e32 v96, 0x7f800000, v10
	v_and_b32_e32 v34, 0x7fffff, v10
	v_lshrrev_b32_e32 v11, 24, v10
	v_cmpx_ne_u64_e32 0x7f800000, v[96:97]
	s_xor_b32 s41, exec_lo, s11
	s_cbranch_execz .LBB2_371
; %bb.358:                              ;   in Loop: Header=BB2_129 Depth=2
	v_and_b32_e32 v96, 0x7fffffff, v10
	v_mov_b32_e32 v97, v35
	v_and_b32_e32 v30, 0x80, v11
                                        ; implicit-def: $vgpr46
	s_mov_b32 s11, exec_lo
	s_delay_alu instid0(VALU_DEP_2)
	v_cmpx_gt_u64_e32 0x47600001, v[96:97]
	s_xor_b32 s42, exec_lo, s11
	s_cbranch_execz .LBB2_368
; %bb.359:                              ;   in Loop: Header=BB2_129 Depth=2
	v_mov_b32_e32 v46, 0
	s_mov_b32 s43, exec_lo
	v_cmpx_ne_u32_e32 0, v10
	s_cbranch_execz .LBB2_367
; %bb.360:                              ;   in Loop: Header=BB2_129 Depth=2
	v_bfe_u32 v98, v10, 23, 8
	v_or_b32_e32 v96, 0x800000, v34
	s_delay_alu instid0(VALU_DEP_2) | instskip(SKIP_1) | instid1(VALU_DEP_2)
	v_sub_nc_u32_e32 v10, 0x71, v98
	v_cmp_gt_u32_e32 vcc_lo, 0x72, v98
	v_cndmask_b32_e32 v10, 0, v10, vcc_lo
	v_cmp_eq_u32_e32 vcc_lo, 0, v98
	s_delay_alu instid0(VALU_DEP_2) | instskip(NEXT) | instid1(VALU_DEP_1)
	v_cndmask_b32_e64 v99, v10, 0x70, vcc_lo
	v_dual_cndmask_b32 v34, v96, v34, vcc_lo :: v_dual_add_nc_u32 v10, 21, v99
	v_add_nc_u32_e32 v97, 20, v99
	s_delay_alu instid0(VALU_DEP_2) | instskip(NEXT) | instid1(VALU_DEP_2)
	v_lshlrev_b64_e64 v[10:11], v10, -1
	v_lshlrev_b64_e64 v[96:97], v97, 1
	s_delay_alu instid0(VALU_DEP_2) | instskip(NEXT) | instid1(VALU_DEP_3)
	v_bfi_b32 v119, v11, 0, 0
	v_bfi_b32 v118, v10, 0, v34
	v_lshrrev_b64 v[10:11], v99, v[34:35]
	s_delay_alu instid0(VALU_DEP_2) | instskip(NEXT) | instid1(VALU_DEP_2)
	v_cmp_eq_u64_e64 s11, v[118:119], v[96:97]
	v_mov_b64_e32 v[96:97], v[10:11]
	s_and_saveexec_b32 s44, s11
; %bb.361:                              ;   in Loop: Header=BB2_129 Depth=2
	v_bfe_u32 v34, v10, 21, 1
	s_delay_alu instid0(VALU_DEP_1) | instskip(NEXT) | instid1(VALU_DEP_1)
	v_add_nc_u64_e32 v[96:97], v[10:11], v[34:35]
	v_add_nc_u64_e32 v[96:97], -1, v[96:97]
; %bb.362:                              ;   in Loop: Header=BB2_129 Depth=2
	s_or_b32 exec_lo, exec_lo, s44
	v_add_nc_u32_e32 v11, 0xffffff81, v98
	v_lshrrev_b32_e32 v34, 23, v10
	s_mov_b32 s11, exec_lo
	s_delay_alu instid0(VALU_DEP_2) | instskip(NEXT) | instid1(VALU_DEP_1)
	v_cndmask_b32_e64 v11, v11, 0xffffff82, vcc_lo
	v_add3_u32 v97, v99, v11, v34
	v_and_b32_e32 v11, 0x1fffff, v96
                                        ; implicit-def: $vgpr96
	s_delay_alu instid0(VALU_DEP_1) | instskip(NEXT) | instid1(VALU_DEP_1)
	v_dual_add_nc_u32 v98, 14, v97 :: v_dual_add_nc_u32 v34, v11, v10
                                        ; implicit-def: $vgpr10_vgpr11
	v_cmpx_ne_u32_e32 0, v98
	s_xor_b32 s11, exec_lo, s11
; %bb.363:                              ;   in Loop: Header=BB2_129 Depth=2
	s_delay_alu instid0(VALU_DEP_2) | instskip(SKIP_1) | instid1(VALU_DEP_1)
	v_cmp_lt_u64_e32 vcc_lo, 0xffffff, v[34:35]
	v_add_nc_u32_e32 v10, 15, v97
	v_cndmask_b32_e32 v96, v98, v10, vcc_lo
	v_cndmask_b32_e64 v10, 0, 1, vcc_lo
	s_delay_alu instid0(VALU_DEP_1)
	v_lshrrev_b64 v[10:11], v10, v[34:35]
; %bb.364:                              ;   in Loop: Header=BB2_129 Depth=2
	s_and_not1_saveexec_b32 s11, s11
; %bb.365:                              ;   in Loop: Header=BB2_129 Depth=2
	v_mov_b64_e32 v[10:11], v[34:35]
	v_bfe_u32 v96, v34, 23, 1
; %bb.366:                              ;   in Loop: Header=BB2_129 Depth=2
	s_or_b32 exec_lo, exec_lo, s11
	s_delay_alu instid0(VALU_DEP_2) | instskip(NEXT) | instid1(VALU_DEP_2)
	v_lshrrev_b64 v[10:11], 21, v[10:11]
	v_cmp_gt_i32_e32 vcc_lo, 32, v96
	v_min_i32_e32 v34, 31, v96
	v_cmp_eq_u32_e64 s11, 0, v96
	s_delay_alu instid0(VALU_DEP_2) | instskip(SKIP_1) | instid1(VALU_DEP_2)
	v_dual_cndmask_b32 v11, 0, v11 :: v_dual_lshlrev_b32 v34, 2, v34
	v_cndmask_b32_e32 v10, 3, v10, vcc_lo
	v_and_b32_e32 v34, 0xfc, v34
	s_delay_alu instid0(VALU_DEP_2) | instskip(NEXT) | instid1(VALU_DEP_2)
	v_cmp_eq_u64_e32 vcc_lo, 0, v[10:11]
	v_and_or_b32 v10, v10, 3, v34
	s_and_b32 s11, s11, vcc_lo
	s_delay_alu instid0(VALU_DEP_1) | instid1(SALU_CYCLE_1)
	v_cndmask_b32_e64 v10, v10, 0, s11
	s_delay_alu instid0(VALU_DEP_1)
	v_or_b32_e32 v46, v10, v30
.LBB2_367:                              ;   in Loop: Header=BB2_129 Depth=2
	s_or_b32 exec_lo, exec_lo, s43
                                        ; implicit-def: $vgpr30
.LBB2_368:                              ;   in Loop: Header=BB2_129 Depth=2
	s_and_not1_saveexec_b32 s11, s42
; %bb.369:                              ;   in Loop: Header=BB2_129 Depth=2
	v_or_b32_e32 v46, 0x7b, v30
; %bb.370:                              ;   in Loop: Header=BB2_129 Depth=2
	s_or_b32 exec_lo, exec_lo, s11
                                        ; implicit-def: $vgpr10
                                        ; implicit-def: $vgpr11
.LBB2_371:                              ;   in Loop: Header=BB2_129 Depth=2
	s_and_not1_saveexec_b32 s11, s41
	s_cbranch_execz .LBB2_377
; %bb.372:                              ;   in Loop: Header=BB2_129 Depth=2
	s_mov_b32 s41, exec_lo
                                        ; implicit-def: $vgpr46
	v_cmpx_ne_u64_e32 0, v[34:35]
	s_xor_b32 s41, exec_lo, s41
; %bb.373:                              ;   in Loop: Header=BB2_129 Depth=2
	v_or_b32_e32 v46, 0x7f, v11
                                        ; implicit-def: $vgpr10
; %bb.374:                              ;   in Loop: Header=BB2_129 Depth=2
	s_and_not1_saveexec_b32 s41, s41
; %bb.375:                              ;   in Loop: Header=BB2_129 Depth=2
	v_cmp_lt_i32_e32 vcc_lo, -1, v10
	v_cndmask_b32_e32 v46, 0xfc, v63, vcc_lo
; %bb.376:                              ;   in Loop: Header=BB2_129 Depth=2
	s_or_b32 exec_lo, exec_lo, s41
.LBB2_377:                              ;   in Loop: Header=BB2_129 Depth=2
	s_delay_alu instid0(SALU_CYCLE_1) | instskip(SKIP_1) | instid1(VALU_DEP_1)
	s_or_b32 exec_lo, exec_lo, s11
	v_and_b32_e32 v10, 0xff, v12
	v_cmp_ne_u16_e32 vcc_lo, 0, v10
	v_mov_b32_e32 v10, 0
	s_and_saveexec_b32 s11, vcc_lo
	s_cbranch_execz .LBB2_387
; %bb.378:                              ;   in Loop: Header=BB2_129 Depth=2
	v_bfe_i32 v30, v12, 0, 8
	v_bfrev_b32_e32 v10, 1
	s_mov_b32 s41, exec_lo
	s_delay_alu instid0(VALU_DEP_2)
	v_cmpx_ne_u16_e32 0xff80, v30
	s_cbranch_execz .LBB2_386
; %bb.379:                              ;   in Loop: Header=BB2_129 Depth=2
	v_and_b32_e32 v10, 0x7c, v12
	v_and_b32_e32 v11, 3, v12
	s_delay_alu instid0(VALU_DEP_2) | instskip(SKIP_1) | instid1(SALU_CYCLE_1)
	v_cmp_ne_u32_e32 vcc_lo, 0x7c, v10
                                        ; implicit-def: $vgpr10
	s_and_saveexec_b32 s42, vcc_lo
	s_xor_b32 s42, exec_lo, s42
	s_cbranch_execz .LBB2_383
; %bb.380:                              ;   in Loop: Header=BB2_129 Depth=2
	v_bfe_u32 v10, v12, 2, 5
	s_mov_b32 s43, exec_lo
	s_delay_alu instid0(VALU_DEP_1)
	v_cmpx_eq_u32_e32 0, v10
; %bb.381:                              ;   in Loop: Header=BB2_129 Depth=2
	v_clz_i32_u32_e32 v10, v11
	s_delay_alu instid0(VALU_DEP_1) | instskip(NEXT) | instid1(VALU_DEP_1)
	v_min_u32_e32 v10, 32, v10
	v_subrev_nc_u32_e32 v11, 29, v10
	s_delay_alu instid0(VALU_DEP_1) | instskip(NEXT) | instid1(VALU_DEP_1)
	v_lshlrev_b64_e32 v[96:97], v11, v[12:13]
	v_dual_sub_nc_u32 v10, 30, v10 :: v_dual_bitop2_b32 v11, 3, v96 bitop3:0x40
; %bb.382:                              ;   in Loop: Header=BB2_129 Depth=2
	s_or_b32 exec_lo, exec_lo, s43
	v_lshlrev_b32_e32 v30, 24, v12
	s_delay_alu instid0(VALU_DEP_1) | instskip(NEXT) | instid1(VALU_DEP_1)
	v_and_b32_e32 v30, 0x80000000, v30
	v_lshl_add_u32 v10, v10, 23, v30
                                        ; implicit-def: $vgpr30
	s_delay_alu instid0(VALU_DEP_1) | instskip(NEXT) | instid1(VALU_DEP_1)
	v_lshl_or_b32 v10, v11, 21, v10
                                        ; implicit-def: $vgpr11
	v_add_nc_u32_e32 v10, 0x38000000, v10
.LBB2_383:                              ;   in Loop: Header=BB2_129 Depth=2
	s_and_not1_saveexec_b32 s42, s42
; %bb.384:                              ;   in Loop: Header=BB2_129 Depth=2
	v_cmp_lt_i16_e32 vcc_lo, -1, v30
	v_cndmask_b32_e32 v10, 0xff800000, v62, vcc_lo
	v_cmp_eq_u32_e32 vcc_lo, 0, v11
	s_delay_alu instid0(VALU_DEP_2)
	v_cndmask_b32_e32 v10, 0x7f800001, v10, vcc_lo
; %bb.385:                              ;   in Loop: Header=BB2_129 Depth=2
	s_or_b32 exec_lo, exec_lo, s42
.LBB2_386:                              ;   in Loop: Header=BB2_129 Depth=2
	s_delay_alu instid0(SALU_CYCLE_1)
	s_or_b32 exec_lo, exec_lo, s41
.LBB2_387:                              ;   in Loop: Header=BB2_129 Depth=2
	s_delay_alu instid0(SALU_CYCLE_1) | instskip(NEXT) | instid1(VALU_DEP_1)
	s_or_b32 exec_lo, exec_lo, s11
	v_dual_mul_f32 v10, s40, v10 :: v_dual_mov_b32 v97, v35
                                        ; implicit-def: $vgpr115
	s_mov_b32 s11, exec_lo
	s_delay_alu instid0(VALU_DEP_1) | instskip(SKIP_2) | instid1(VALU_DEP_3)
	v_and_b32_e32 v96, 0x7f800000, v10
	v_and_b32_e32 v34, 0x7fffff, v10
	v_lshrrev_b32_e32 v11, 24, v10
	v_cmpx_ne_u64_e32 0x7f800000, v[96:97]
	s_xor_b32 s41, exec_lo, s11
	s_cbranch_execz .LBB2_401
; %bb.388:                              ;   in Loop: Header=BB2_129 Depth=2
	v_and_b32_e32 v96, 0x7fffffff, v10
	v_mov_b32_e32 v97, v35
	v_and_b32_e32 v30, 0x80, v11
                                        ; implicit-def: $vgpr115
	s_mov_b32 s11, exec_lo
	s_delay_alu instid0(VALU_DEP_2)
	v_cmpx_gt_u64_e32 0x47600001, v[96:97]
	s_xor_b32 s42, exec_lo, s11
	s_cbranch_execz .LBB2_398
; %bb.389:                              ;   in Loop: Header=BB2_129 Depth=2
	v_mov_b32_e32 v115, 0
	s_mov_b32 s43, exec_lo
	v_cmpx_ne_u32_e32 0, v10
	s_cbranch_execz .LBB2_397
; %bb.390:                              ;   in Loop: Header=BB2_129 Depth=2
	v_bfe_u32 v98, v10, 23, 8
	v_or_b32_e32 v96, 0x800000, v34
	s_delay_alu instid0(VALU_DEP_2) | instskip(SKIP_1) | instid1(VALU_DEP_2)
	v_sub_nc_u32_e32 v10, 0x71, v98
	v_cmp_gt_u32_e32 vcc_lo, 0x72, v98
	v_cndmask_b32_e32 v10, 0, v10, vcc_lo
	v_cmp_eq_u32_e32 vcc_lo, 0, v98
	s_delay_alu instid0(VALU_DEP_2) | instskip(NEXT) | instid1(VALU_DEP_1)
	v_cndmask_b32_e64 v99, v10, 0x70, vcc_lo
	v_dual_cndmask_b32 v34, v96, v34, vcc_lo :: v_dual_add_nc_u32 v10, 21, v99
	v_add_nc_u32_e32 v97, 20, v99
	s_delay_alu instid0(VALU_DEP_2) | instskip(NEXT) | instid1(VALU_DEP_2)
	v_lshlrev_b64_e64 v[10:11], v10, -1
	v_lshlrev_b64_e64 v[96:97], v97, 1
	s_delay_alu instid0(VALU_DEP_2) | instskip(NEXT) | instid1(VALU_DEP_3)
	v_bfi_b32 v119, v11, 0, 0
	v_bfi_b32 v118, v10, 0, v34
	v_lshrrev_b64 v[10:11], v99, v[34:35]
	s_delay_alu instid0(VALU_DEP_2) | instskip(NEXT) | instid1(VALU_DEP_2)
	v_cmp_eq_u64_e64 s11, v[118:119], v[96:97]
	v_mov_b64_e32 v[96:97], v[10:11]
	s_and_saveexec_b32 s44, s11
; %bb.391:                              ;   in Loop: Header=BB2_129 Depth=2
	v_bfe_u32 v34, v10, 21, 1
	s_delay_alu instid0(VALU_DEP_1) | instskip(NEXT) | instid1(VALU_DEP_1)
	v_add_nc_u64_e32 v[96:97], v[10:11], v[34:35]
	v_add_nc_u64_e32 v[96:97], -1, v[96:97]
; %bb.392:                              ;   in Loop: Header=BB2_129 Depth=2
	s_or_b32 exec_lo, exec_lo, s44
	v_add_nc_u32_e32 v11, 0xffffff81, v98
	v_lshrrev_b32_e32 v34, 23, v10
	s_mov_b32 s11, exec_lo
	s_delay_alu instid0(VALU_DEP_2) | instskip(NEXT) | instid1(VALU_DEP_1)
	v_cndmask_b32_e64 v11, v11, 0xffffff82, vcc_lo
	v_add3_u32 v97, v99, v11, v34
	v_and_b32_e32 v11, 0x1fffff, v96
                                        ; implicit-def: $vgpr96
	s_delay_alu instid0(VALU_DEP_1) | instskip(NEXT) | instid1(VALU_DEP_1)
	v_dual_add_nc_u32 v98, 14, v97 :: v_dual_add_nc_u32 v34, v11, v10
                                        ; implicit-def: $vgpr10_vgpr11
	v_cmpx_ne_u32_e32 0, v98
	s_xor_b32 s11, exec_lo, s11
; %bb.393:                              ;   in Loop: Header=BB2_129 Depth=2
	s_delay_alu instid0(VALU_DEP_2) | instskip(SKIP_1) | instid1(VALU_DEP_1)
	v_cmp_lt_u64_e32 vcc_lo, 0xffffff, v[34:35]
	v_add_nc_u32_e32 v10, 15, v97
	v_cndmask_b32_e32 v96, v98, v10, vcc_lo
	v_cndmask_b32_e64 v10, 0, 1, vcc_lo
	s_delay_alu instid0(VALU_DEP_1)
	v_lshrrev_b64 v[10:11], v10, v[34:35]
; %bb.394:                              ;   in Loop: Header=BB2_129 Depth=2
	s_and_not1_saveexec_b32 s11, s11
; %bb.395:                              ;   in Loop: Header=BB2_129 Depth=2
	v_mov_b64_e32 v[10:11], v[34:35]
	v_bfe_u32 v96, v34, 23, 1
; %bb.396:                              ;   in Loop: Header=BB2_129 Depth=2
	s_or_b32 exec_lo, exec_lo, s11
	s_delay_alu instid0(VALU_DEP_2) | instskip(NEXT) | instid1(VALU_DEP_2)
	v_lshrrev_b64 v[10:11], 21, v[10:11]
	v_cmp_gt_i32_e32 vcc_lo, 32, v96
	v_min_i32_e32 v34, 31, v96
	v_cmp_eq_u32_e64 s11, 0, v96
	s_delay_alu instid0(VALU_DEP_2) | instskip(SKIP_1) | instid1(VALU_DEP_2)
	v_dual_cndmask_b32 v11, 0, v11 :: v_dual_lshlrev_b32 v34, 2, v34
	v_cndmask_b32_e32 v10, 3, v10, vcc_lo
	v_and_b32_e32 v34, 0xfc, v34
	s_delay_alu instid0(VALU_DEP_2) | instskip(NEXT) | instid1(VALU_DEP_2)
	v_cmp_eq_u64_e32 vcc_lo, 0, v[10:11]
	v_and_or_b32 v10, v10, 3, v34
	s_and_b32 s11, s11, vcc_lo
	s_delay_alu instid0(VALU_DEP_1) | instid1(SALU_CYCLE_1)
	v_cndmask_b32_e64 v10, v10, 0, s11
	s_delay_alu instid0(VALU_DEP_1)
	v_or_b32_e32 v115, v10, v30
.LBB2_397:                              ;   in Loop: Header=BB2_129 Depth=2
	s_or_b32 exec_lo, exec_lo, s43
                                        ; implicit-def: $vgpr30
.LBB2_398:                              ;   in Loop: Header=BB2_129 Depth=2
	s_and_not1_saveexec_b32 s11, s42
; %bb.399:                              ;   in Loop: Header=BB2_129 Depth=2
	v_or_b32_e32 v115, 0x7b, v30
; %bb.400:                              ;   in Loop: Header=BB2_129 Depth=2
	s_or_b32 exec_lo, exec_lo, s11
                                        ; implicit-def: $vgpr10
                                        ; implicit-def: $vgpr11
.LBB2_401:                              ;   in Loop: Header=BB2_129 Depth=2
	s_and_not1_saveexec_b32 s11, s41
	s_cbranch_execz .LBB2_407
; %bb.402:                              ;   in Loop: Header=BB2_129 Depth=2
	s_mov_b32 s41, exec_lo
                                        ; implicit-def: $vgpr115
	v_cmpx_ne_u64_e32 0, v[34:35]
	s_xor_b32 s41, exec_lo, s41
; %bb.403:                              ;   in Loop: Header=BB2_129 Depth=2
	v_or_b32_e32 v115, 0x7f, v11
                                        ; implicit-def: $vgpr10
; %bb.404:                              ;   in Loop: Header=BB2_129 Depth=2
	s_and_not1_saveexec_b32 s41, s41
; %bb.405:                              ;   in Loop: Header=BB2_129 Depth=2
	v_cmp_lt_i32_e32 vcc_lo, -1, v10
	v_cndmask_b32_e32 v115, 0xfc, v63, vcc_lo
; %bb.406:                              ;   in Loop: Header=BB2_129 Depth=2
	s_or_b32 exec_lo, exec_lo, s41
.LBB2_407:                              ;   in Loop: Header=BB2_129 Depth=2
	s_delay_alu instid0(SALU_CYCLE_1) | instskip(SKIP_3) | instid1(VALU_DEP_2)
	s_or_b32 exec_lo, exec_lo, s11
	v_lshrrev_b16 v34, 8, v12
	v_mov_b32_e32 v11, 0
	s_mov_b32 s11, exec_lo
	v_cmpx_ne_u16_e32 0, v34
	s_cbranch_execz .LBB2_417
; %bb.408:                              ;   in Loop: Header=BB2_129 Depth=2
	v_bfrev_b32_e32 v11, 1
	s_mov_b32 s41, exec_lo
	v_cmpx_ne_u16_e32 0x80, v34
	s_cbranch_execz .LBB2_416
; %bb.409:                              ;   in Loop: Header=BB2_129 Depth=2
	v_and_b32_e32 v30, 0xffff, v34
	s_delay_alu instid0(VALU_DEP_1) | instskip(SKIP_1) | instid1(VALU_DEP_2)
	v_and_b32_e32 v11, 0x7c, v30
	v_and_b32_e32 v10, 3, v30
	v_cmp_ne_u32_e32 vcc_lo, 0x7c, v11
                                        ; implicit-def: $vgpr11
	s_and_saveexec_b32 s42, vcc_lo
	s_delay_alu instid0(SALU_CYCLE_1)
	s_xor_b32 s42, exec_lo, s42
	s_cbranch_execz .LBB2_413
; %bb.410:                              ;   in Loop: Header=BB2_129 Depth=2
	v_bfe_u32 v11, v30, 2, 5
	s_mov_b32 s43, exec_lo
	s_delay_alu instid0(VALU_DEP_1)
	v_cmpx_eq_u32_e32 0, v11
; %bb.411:                              ;   in Loop: Header=BB2_129 Depth=2
	v_clz_i32_u32_e32 v10, v10
	s_delay_alu instid0(VALU_DEP_1) | instskip(NEXT) | instid1(VALU_DEP_1)
	v_min_u32_e32 v30, 32, v10
	v_subrev_nc_u32_e32 v10, 29, v30
	s_delay_alu instid0(VALU_DEP_1) | instskip(SKIP_1) | instid1(VALU_DEP_2)
	v_lshlrev_b64_e32 v[10:11], v10, v[34:35]
	v_sub_nc_u32_e32 v11, 30, v30
	v_and_b32_e32 v10, 3, v10
; %bb.412:                              ;   in Loop: Header=BB2_129 Depth=2
	s_or_b32 exec_lo, exec_lo, s43
	v_lshlrev_b32_e32 v30, 16, v12
	s_delay_alu instid0(VALU_DEP_1) | instskip(NEXT) | instid1(VALU_DEP_1)
	v_and_b32_e32 v30, 0x80000000, v30
	v_lshl_add_u32 v11, v11, 23, v30
	s_delay_alu instid0(VALU_DEP_1) | instskip(NEXT) | instid1(VALU_DEP_1)
	v_lshl_or_b32 v10, v10, 21, v11
	v_add_nc_u32_e32 v11, 0x38000000, v10
                                        ; implicit-def: $vgpr10
.LBB2_413:                              ;   in Loop: Header=BB2_129 Depth=2
	s_and_not1_saveexec_b32 s42, s42
; %bb.414:                              ;   in Loop: Header=BB2_129 Depth=2
	v_cmp_lt_i16_e32 vcc_lo, -1, v12
	v_cndmask_b32_e32 v11, 0xff800000, v62, vcc_lo
	v_cmp_eq_u32_e32 vcc_lo, 0, v10
	s_delay_alu instid0(VALU_DEP_2)
	v_cndmask_b32_e32 v11, 0x7f800001, v11, vcc_lo
; %bb.415:                              ;   in Loop: Header=BB2_129 Depth=2
	s_or_b32 exec_lo, exec_lo, s42
.LBB2_416:                              ;   in Loop: Header=BB2_129 Depth=2
	s_delay_alu instid0(SALU_CYCLE_1)
	s_or_b32 exec_lo, exec_lo, s41
.LBB2_417:                              ;   in Loop: Header=BB2_129 Depth=2
	s_delay_alu instid0(SALU_CYCLE_1) | instskip(NEXT) | instid1(VALU_DEP_1)
	s_or_b32 exec_lo, exec_lo, s11
	v_dual_mul_f32 v10, s40, v11 :: v_dual_mov_b32 v97, v35
                                        ; implicit-def: $vgpr119
	s_mov_b32 s11, exec_lo
	s_delay_alu instid0(VALU_DEP_1) | instskip(SKIP_2) | instid1(VALU_DEP_3)
	v_and_b32_e32 v96, 0x7f800000, v10
	v_and_b32_e32 v34, 0x7fffff, v10
	v_lshrrev_b32_e32 v11, 24, v10
	v_cmpx_ne_u64_e32 0x7f800000, v[96:97]
	s_xor_b32 s41, exec_lo, s11
	s_cbranch_execz .LBB2_431
; %bb.418:                              ;   in Loop: Header=BB2_129 Depth=2
	v_and_b32_e32 v96, 0x7fffffff, v10
	v_mov_b32_e32 v97, v35
	v_and_b32_e32 v30, 0x80, v11
                                        ; implicit-def: $vgpr119
	s_mov_b32 s11, exec_lo
	s_delay_alu instid0(VALU_DEP_2)
	v_cmpx_gt_u64_e32 0x47600001, v[96:97]
	s_xor_b32 s42, exec_lo, s11
	s_cbranch_execz .LBB2_428
; %bb.419:                              ;   in Loop: Header=BB2_129 Depth=2
	v_mov_b32_e32 v119, 0
	s_mov_b32 s43, exec_lo
	v_cmpx_ne_u32_e32 0, v10
	s_cbranch_execz .LBB2_427
; %bb.420:                              ;   in Loop: Header=BB2_129 Depth=2
	v_bfe_u32 v98, v10, 23, 8
	v_or_b32_e32 v96, 0x800000, v34
	s_delay_alu instid0(VALU_DEP_2) | instskip(SKIP_1) | instid1(VALU_DEP_2)
	v_sub_nc_u32_e32 v10, 0x71, v98
	v_cmp_gt_u32_e32 vcc_lo, 0x72, v98
	v_cndmask_b32_e32 v10, 0, v10, vcc_lo
	v_cmp_eq_u32_e32 vcc_lo, 0, v98
	s_delay_alu instid0(VALU_DEP_2) | instskip(NEXT) | instid1(VALU_DEP_1)
	v_cndmask_b32_e64 v99, v10, 0x70, vcc_lo
	v_dual_cndmask_b32 v34, v96, v34, vcc_lo :: v_dual_add_nc_u32 v10, 21, v99
	v_add_nc_u32_e32 v97, 20, v99
	s_delay_alu instid0(VALU_DEP_2) | instskip(NEXT) | instid1(VALU_DEP_2)
	v_lshlrev_b64_e64 v[10:11], v10, -1
	v_lshlrev_b64_e64 v[96:97], v97, 1
	s_delay_alu instid0(VALU_DEP_2) | instskip(NEXT) | instid1(VALU_DEP_3)
	v_bfi_b32 v119, v11, 0, 0
	v_bfi_b32 v118, v10, 0, v34
	v_lshrrev_b64 v[10:11], v99, v[34:35]
	s_delay_alu instid0(VALU_DEP_2) | instskip(NEXT) | instid1(VALU_DEP_2)
	v_cmp_eq_u64_e64 s11, v[118:119], v[96:97]
	v_mov_b64_e32 v[96:97], v[10:11]
	s_and_saveexec_b32 s44, s11
; %bb.421:                              ;   in Loop: Header=BB2_129 Depth=2
	v_bfe_u32 v34, v10, 21, 1
	s_delay_alu instid0(VALU_DEP_1) | instskip(NEXT) | instid1(VALU_DEP_1)
	v_add_nc_u64_e32 v[96:97], v[10:11], v[34:35]
	v_add_nc_u64_e32 v[96:97], -1, v[96:97]
; %bb.422:                              ;   in Loop: Header=BB2_129 Depth=2
	s_or_b32 exec_lo, exec_lo, s44
	v_add_nc_u32_e32 v11, 0xffffff81, v98
	v_lshrrev_b32_e32 v34, 23, v10
	s_mov_b32 s11, exec_lo
	s_delay_alu instid0(VALU_DEP_2) | instskip(NEXT) | instid1(VALU_DEP_1)
	v_cndmask_b32_e64 v11, v11, 0xffffff82, vcc_lo
	v_add3_u32 v97, v99, v11, v34
	v_and_b32_e32 v11, 0x1fffff, v96
                                        ; implicit-def: $vgpr96
	s_delay_alu instid0(VALU_DEP_1) | instskip(NEXT) | instid1(VALU_DEP_1)
	v_dual_add_nc_u32 v98, 14, v97 :: v_dual_add_nc_u32 v34, v11, v10
                                        ; implicit-def: $vgpr10_vgpr11
	v_cmpx_ne_u32_e32 0, v98
	s_xor_b32 s11, exec_lo, s11
; %bb.423:                              ;   in Loop: Header=BB2_129 Depth=2
	s_delay_alu instid0(VALU_DEP_2) | instskip(SKIP_1) | instid1(VALU_DEP_1)
	v_cmp_lt_u64_e32 vcc_lo, 0xffffff, v[34:35]
	v_add_nc_u32_e32 v10, 15, v97
	v_cndmask_b32_e32 v96, v98, v10, vcc_lo
	v_cndmask_b32_e64 v10, 0, 1, vcc_lo
	s_delay_alu instid0(VALU_DEP_1)
	v_lshrrev_b64 v[10:11], v10, v[34:35]
; %bb.424:                              ;   in Loop: Header=BB2_129 Depth=2
	s_and_not1_saveexec_b32 s11, s11
; %bb.425:                              ;   in Loop: Header=BB2_129 Depth=2
	v_mov_b64_e32 v[10:11], v[34:35]
	v_bfe_u32 v96, v34, 23, 1
; %bb.426:                              ;   in Loop: Header=BB2_129 Depth=2
	s_or_b32 exec_lo, exec_lo, s11
	s_delay_alu instid0(VALU_DEP_2) | instskip(NEXT) | instid1(VALU_DEP_2)
	v_lshrrev_b64 v[10:11], 21, v[10:11]
	v_cmp_gt_i32_e32 vcc_lo, 32, v96
	v_min_i32_e32 v34, 31, v96
	v_cmp_eq_u32_e64 s11, 0, v96
	s_delay_alu instid0(VALU_DEP_2) | instskip(SKIP_1) | instid1(VALU_DEP_2)
	v_dual_cndmask_b32 v11, 0, v11 :: v_dual_lshlrev_b32 v34, 2, v34
	v_cndmask_b32_e32 v10, 3, v10, vcc_lo
	v_and_b32_e32 v34, 0xfc, v34
	s_delay_alu instid0(VALU_DEP_2) | instskip(NEXT) | instid1(VALU_DEP_2)
	v_cmp_eq_u64_e32 vcc_lo, 0, v[10:11]
	v_and_or_b32 v10, v10, 3, v34
	s_and_b32 s11, s11, vcc_lo
	s_delay_alu instid0(VALU_DEP_1) | instid1(SALU_CYCLE_1)
	v_cndmask_b32_e64 v10, v10, 0, s11
	s_delay_alu instid0(VALU_DEP_1)
	v_or_b32_e32 v119, v10, v30
.LBB2_427:                              ;   in Loop: Header=BB2_129 Depth=2
	s_or_b32 exec_lo, exec_lo, s43
                                        ; implicit-def: $vgpr30
.LBB2_428:                              ;   in Loop: Header=BB2_129 Depth=2
	s_and_not1_saveexec_b32 s11, s42
; %bb.429:                              ;   in Loop: Header=BB2_129 Depth=2
	v_or_b32_e32 v119, 0x7b, v30
; %bb.430:                              ;   in Loop: Header=BB2_129 Depth=2
	s_or_b32 exec_lo, exec_lo, s11
                                        ; implicit-def: $vgpr10
                                        ; implicit-def: $vgpr11
.LBB2_431:                              ;   in Loop: Header=BB2_129 Depth=2
	s_and_not1_saveexec_b32 s11, s41
	s_cbranch_execz .LBB2_437
; %bb.432:                              ;   in Loop: Header=BB2_129 Depth=2
	s_mov_b32 s41, exec_lo
                                        ; implicit-def: $vgpr119
	v_cmpx_ne_u64_e32 0, v[34:35]
	s_xor_b32 s41, exec_lo, s41
; %bb.433:                              ;   in Loop: Header=BB2_129 Depth=2
	v_or_b32_e32 v119, 0x7f, v11
                                        ; implicit-def: $vgpr10
; %bb.434:                              ;   in Loop: Header=BB2_129 Depth=2
	s_and_not1_saveexec_b32 s41, s41
; %bb.435:                              ;   in Loop: Header=BB2_129 Depth=2
	v_cmp_lt_i32_e32 vcc_lo, -1, v10
	v_cndmask_b32_e32 v119, 0xfc, v63, vcc_lo
; %bb.436:                              ;   in Loop: Header=BB2_129 Depth=2
	s_or_b32 exec_lo, exec_lo, s41
.LBB2_437:                              ;   in Loop: Header=BB2_129 Depth=2
	s_delay_alu instid0(SALU_CYCLE_1) | instskip(SKIP_2) | instid1(VALU_DEP_1)
	s_or_b32 exec_lo, exec_lo, s11
	v_dual_mov_b32 v11, 0 :: v_dual_lshrrev_b32 v10, 16, v12
	s_mov_b32 s11, exec_lo
	v_and_b32_e32 v30, 0xff, v10
	s_delay_alu instid0(VALU_DEP_1)
	v_cmpx_ne_u16_e32 0, v30
	s_cbranch_execz .LBB2_447
; %bb.438:                              ;   in Loop: Header=BB2_129 Depth=2
	v_bfrev_b32_e32 v11, 1
	s_mov_b32 s41, exec_lo
	v_cmpx_ne_u16_e32 0x80, v30
	s_cbranch_execz .LBB2_446
; %bb.439:                              ;   in Loop: Header=BB2_129 Depth=2
	v_and_b32_e32 v11, 0x7c0000, v12
	v_bfe_u32 v30, v12, 16, 2
	s_delay_alu instid0(VALU_DEP_2) | instskip(SKIP_1) | instid1(SALU_CYCLE_1)
	v_cmp_ne_u32_e32 vcc_lo, 0x7c0000, v11
                                        ; implicit-def: $vgpr11
	s_and_saveexec_b32 s42, vcc_lo
	s_xor_b32 s42, exec_lo, s42
	s_cbranch_execz .LBB2_443
; %bb.440:                              ;   in Loop: Header=BB2_129 Depth=2
	v_bfe_u32 v11, v12, 18, 5
	s_mov_b32 s43, exec_lo
	s_delay_alu instid0(VALU_DEP_1)
	v_cmpx_eq_u32_e32 0, v11
; %bb.441:                              ;   in Loop: Header=BB2_129 Depth=2
	v_clz_i32_u32_e32 v11, v30
	s_delay_alu instid0(VALU_DEP_1) | instskip(NEXT) | instid1(VALU_DEP_1)
	v_min_u32_e32 v11, 32, v11
	v_subrev_nc_u32_e32 v30, 29, v11
	s_delay_alu instid0(VALU_DEP_1) | instskip(NEXT) | instid1(VALU_DEP_1)
	v_lshlrev_b64_e32 v[96:97], v30, v[10:11]
	v_dual_sub_nc_u32 v11, 30, v11 :: v_dual_bitop2_b32 v30, 3, v96 bitop3:0x40
; %bb.442:                              ;   in Loop: Header=BB2_129 Depth=2
	s_or_b32 exec_lo, exec_lo, s43
	v_lshlrev_b32_e32 v10, 24, v10
	s_delay_alu instid0(VALU_DEP_1) | instskip(NEXT) | instid1(VALU_DEP_1)
	v_and_b32_e32 v10, 0x80000000, v10
	v_lshl_add_u32 v10, v11, 23, v10
	s_delay_alu instid0(VALU_DEP_1) | instskip(NEXT) | instid1(VALU_DEP_1)
	v_lshl_or_b32 v10, v30, 21, v10
                                        ; implicit-def: $vgpr30
	v_add_nc_u32_e32 v11, 0x38000000, v10
                                        ; implicit-def: $vgpr10
.LBB2_443:                              ;   in Loop: Header=BB2_129 Depth=2
	s_and_not1_saveexec_b32 s42, s42
; %bb.444:                              ;   in Loop: Header=BB2_129 Depth=2
	v_bfe_i32 v10, v10, 0, 8
	s_delay_alu instid0(VALU_DEP_1) | instskip(SKIP_2) | instid1(VALU_DEP_2)
	v_cmp_lt_i16_e32 vcc_lo, -1, v10
	v_cndmask_b32_e32 v10, 0xff800000, v62, vcc_lo
	v_cmp_eq_u32_e32 vcc_lo, 0, v30
	v_cndmask_b32_e32 v11, 0x7f800001, v10, vcc_lo
; %bb.445:                              ;   in Loop: Header=BB2_129 Depth=2
	s_or_b32 exec_lo, exec_lo, s42
.LBB2_446:                              ;   in Loop: Header=BB2_129 Depth=2
	s_delay_alu instid0(SALU_CYCLE_1)
	s_or_b32 exec_lo, exec_lo, s41
.LBB2_447:                              ;   in Loop: Header=BB2_129 Depth=2
	s_delay_alu instid0(SALU_CYCLE_1) | instskip(NEXT) | instid1(VALU_DEP_1)
	s_or_b32 exec_lo, exec_lo, s11
	v_dual_mul_f32 v10, s40, v11 :: v_dual_mov_b32 v97, v35
                                        ; implicit-def: $vgpr42
	s_mov_b32 s11, exec_lo
	s_delay_alu instid0(VALU_DEP_1) | instskip(SKIP_2) | instid1(VALU_DEP_3)
	v_and_b32_e32 v96, 0x7f800000, v10
	v_and_b32_e32 v34, 0x7fffff, v10
	v_lshrrev_b32_e32 v11, 24, v10
	v_cmpx_ne_u64_e32 0x7f800000, v[96:97]
	s_xor_b32 s41, exec_lo, s11
	s_cbranch_execz .LBB2_461
; %bb.448:                              ;   in Loop: Header=BB2_129 Depth=2
	v_and_b32_e32 v96, 0x7fffffff, v10
	v_mov_b32_e32 v97, v35
	v_and_b32_e32 v30, 0x80, v11
                                        ; implicit-def: $vgpr42
	s_mov_b32 s11, exec_lo
	s_delay_alu instid0(VALU_DEP_2)
	v_cmpx_gt_u64_e32 0x47600001, v[96:97]
	s_xor_b32 s42, exec_lo, s11
	s_cbranch_execz .LBB2_458
; %bb.449:                              ;   in Loop: Header=BB2_129 Depth=2
	v_mov_b32_e32 v42, 0
	s_mov_b32 s43, exec_lo
	v_cmpx_ne_u32_e32 0, v10
	s_cbranch_execz .LBB2_457
; %bb.450:                              ;   in Loop: Header=BB2_129 Depth=2
	v_bfe_u32 v98, v10, 23, 8
	v_or_b32_e32 v96, 0x800000, v34
	s_delay_alu instid0(VALU_DEP_2) | instskip(SKIP_1) | instid1(VALU_DEP_2)
	v_sub_nc_u32_e32 v10, 0x71, v98
	v_cmp_gt_u32_e32 vcc_lo, 0x72, v98
	v_cndmask_b32_e32 v10, 0, v10, vcc_lo
	v_cmp_eq_u32_e32 vcc_lo, 0, v98
	s_delay_alu instid0(VALU_DEP_2) | instskip(NEXT) | instid1(VALU_DEP_1)
	v_cndmask_b32_e64 v99, v10, 0x70, vcc_lo
	v_dual_cndmask_b32 v34, v96, v34, vcc_lo :: v_dual_add_nc_u32 v10, 21, v99
	v_add_nc_u32_e32 v97, 20, v99
	s_delay_alu instid0(VALU_DEP_2) | instskip(NEXT) | instid1(VALU_DEP_2)
	v_lshlrev_b64_e64 v[10:11], v10, -1
	v_lshlrev_b64_e64 v[96:97], v97, 1
	s_delay_alu instid0(VALU_DEP_2) | instskip(NEXT) | instid1(VALU_DEP_3)
	v_bfi_b32 v41, v11, 0, 0
	v_bfi_b32 v40, v10, 0, v34
	v_lshrrev_b64 v[10:11], v99, v[34:35]
	s_delay_alu instid0(VALU_DEP_2) | instskip(NEXT) | instid1(VALU_DEP_2)
	v_cmp_eq_u64_e64 s11, v[40:41], v[96:97]
	v_mov_b64_e32 v[96:97], v[10:11]
	s_and_saveexec_b32 s44, s11
; %bb.451:                              ;   in Loop: Header=BB2_129 Depth=2
	v_bfe_u32 v34, v10, 21, 1
	s_delay_alu instid0(VALU_DEP_1) | instskip(NEXT) | instid1(VALU_DEP_1)
	v_add_nc_u64_e32 v[96:97], v[10:11], v[34:35]
	v_add_nc_u64_e32 v[96:97], -1, v[96:97]
; %bb.452:                              ;   in Loop: Header=BB2_129 Depth=2
	s_or_b32 exec_lo, exec_lo, s44
	v_add_nc_u32_e32 v11, 0xffffff81, v98
	v_lshrrev_b32_e32 v34, 23, v10
	s_mov_b32 s11, exec_lo
	s_delay_alu instid0(VALU_DEP_2) | instskip(NEXT) | instid1(VALU_DEP_1)
	v_cndmask_b32_e64 v11, v11, 0xffffff82, vcc_lo
	v_add3_u32 v97, v99, v11, v34
	v_and_b32_e32 v11, 0x1fffff, v96
                                        ; implicit-def: $vgpr96
	s_delay_alu instid0(VALU_DEP_1) | instskip(NEXT) | instid1(VALU_DEP_1)
	v_dual_add_nc_u32 v98, 14, v97 :: v_dual_add_nc_u32 v34, v11, v10
                                        ; implicit-def: $vgpr10_vgpr11
	v_cmpx_ne_u32_e32 0, v98
	s_xor_b32 s11, exec_lo, s11
; %bb.453:                              ;   in Loop: Header=BB2_129 Depth=2
	s_delay_alu instid0(VALU_DEP_2) | instskip(SKIP_1) | instid1(VALU_DEP_1)
	v_cmp_lt_u64_e32 vcc_lo, 0xffffff, v[34:35]
	v_add_nc_u32_e32 v10, 15, v97
	v_cndmask_b32_e32 v96, v98, v10, vcc_lo
	v_cndmask_b32_e64 v10, 0, 1, vcc_lo
	s_delay_alu instid0(VALU_DEP_1)
	v_lshrrev_b64 v[10:11], v10, v[34:35]
; %bb.454:                              ;   in Loop: Header=BB2_129 Depth=2
	s_and_not1_saveexec_b32 s11, s11
; %bb.455:                              ;   in Loop: Header=BB2_129 Depth=2
	v_mov_b64_e32 v[10:11], v[34:35]
	v_bfe_u32 v96, v34, 23, 1
; %bb.456:                              ;   in Loop: Header=BB2_129 Depth=2
	s_or_b32 exec_lo, exec_lo, s11
	s_delay_alu instid0(VALU_DEP_2) | instskip(NEXT) | instid1(VALU_DEP_2)
	v_lshrrev_b64 v[10:11], 21, v[10:11]
	v_cmp_gt_i32_e32 vcc_lo, 32, v96
	v_min_i32_e32 v34, 31, v96
	v_cmp_eq_u32_e64 s11, 0, v96
	s_delay_alu instid0(VALU_DEP_2) | instskip(SKIP_1) | instid1(VALU_DEP_2)
	v_dual_cndmask_b32 v11, 0, v11 :: v_dual_lshlrev_b32 v34, 2, v34
	v_cndmask_b32_e32 v10, 3, v10, vcc_lo
	v_and_b32_e32 v34, 0xfc, v34
	s_delay_alu instid0(VALU_DEP_2) | instskip(NEXT) | instid1(VALU_DEP_2)
	v_cmp_eq_u64_e32 vcc_lo, 0, v[10:11]
	v_and_or_b32 v10, v10, 3, v34
	s_and_b32 s11, s11, vcc_lo
	s_delay_alu instid0(VALU_DEP_1) | instid1(SALU_CYCLE_1)
	v_cndmask_b32_e64 v10, v10, 0, s11
	s_delay_alu instid0(VALU_DEP_1)
	v_or_b32_e32 v42, v10, v30
.LBB2_457:                              ;   in Loop: Header=BB2_129 Depth=2
	s_or_b32 exec_lo, exec_lo, s43
                                        ; implicit-def: $vgpr30
.LBB2_458:                              ;   in Loop: Header=BB2_129 Depth=2
	s_and_not1_saveexec_b32 s11, s42
; %bb.459:                              ;   in Loop: Header=BB2_129 Depth=2
	v_or_b32_e32 v42, 0x7b, v30
; %bb.460:                              ;   in Loop: Header=BB2_129 Depth=2
	s_or_b32 exec_lo, exec_lo, s11
                                        ; implicit-def: $vgpr10
                                        ; implicit-def: $vgpr11
.LBB2_461:                              ;   in Loop: Header=BB2_129 Depth=2
	s_and_not1_saveexec_b32 s11, s41
	s_cbranch_execz .LBB2_467
; %bb.462:                              ;   in Loop: Header=BB2_129 Depth=2
	s_mov_b32 s41, exec_lo
                                        ; implicit-def: $vgpr42
	v_cmpx_ne_u64_e32 0, v[34:35]
	s_xor_b32 s41, exec_lo, s41
; %bb.463:                              ;   in Loop: Header=BB2_129 Depth=2
	v_or_b32_e32 v42, 0x7f, v11
                                        ; implicit-def: $vgpr10
; %bb.464:                              ;   in Loop: Header=BB2_129 Depth=2
	s_and_not1_saveexec_b32 s41, s41
; %bb.465:                              ;   in Loop: Header=BB2_129 Depth=2
	v_cmp_lt_i32_e32 vcc_lo, -1, v10
	v_cndmask_b32_e32 v42, 0xfc, v63, vcc_lo
; %bb.466:                              ;   in Loop: Header=BB2_129 Depth=2
	s_or_b32 exec_lo, exec_lo, s41
.LBB2_467:                              ;   in Loop: Header=BB2_129 Depth=2
	s_delay_alu instid0(SALU_CYCLE_1)
	s_or_b32 exec_lo, exec_lo, s11
	v_mov_b32_e32 v11, 0
	s_mov_b32 s11, exec_lo
	v_cmpx_lt_u32_e32 0xffffff, v12
	s_cbranch_execz .LBB2_477
; %bb.468:                              ;   in Loop: Header=BB2_129 Depth=2
	v_lshrrev_b32_e32 v10, 24, v12
	v_bfrev_b32_e32 v11, 1
	s_mov_b32 s41, exec_lo
	s_delay_alu instid0(VALU_DEP_2)
	v_cmpx_ne_u32_e32 0x80, v10
	s_cbranch_execz .LBB2_476
; %bb.469:                              ;   in Loop: Header=BB2_129 Depth=2
	v_and_b32_e32 v11, 0x7c000000, v12
	v_bfe_u32 v30, v12, 24, 2
	s_delay_alu instid0(VALU_DEP_2) | instskip(SKIP_1) | instid1(SALU_CYCLE_1)
	v_cmp_ne_u32_e32 vcc_lo, 0x7c000000, v11
                                        ; implicit-def: $vgpr11
	s_and_saveexec_b32 s42, vcc_lo
	s_xor_b32 s42, exec_lo, s42
	s_cbranch_execz .LBB2_473
; %bb.470:                              ;   in Loop: Header=BB2_129 Depth=2
	v_bfe_u32 v11, v12, 26, 5
	s_mov_b32 s43, exec_lo
	s_delay_alu instid0(VALU_DEP_1)
	v_cmpx_eq_u32_e32 0, v11
; %bb.471:                              ;   in Loop: Header=BB2_129 Depth=2
	v_clz_i32_u32_e32 v11, v30
	s_delay_alu instid0(VALU_DEP_1) | instskip(NEXT) | instid1(VALU_DEP_1)
	v_min_u32_e32 v30, 32, v11
	v_subrev_nc_u32_e32 v11, 29, v30
	s_delay_alu instid0(VALU_DEP_1) | instskip(SKIP_1) | instid1(VALU_DEP_2)
	v_lshlrev_b64_e32 v[10:11], v11, v[10:11]
	v_sub_nc_u32_e32 v11, 30, v30
	v_and_b32_e32 v30, 3, v10
; %bb.472:                              ;   in Loop: Header=BB2_129 Depth=2
	s_or_b32 exec_lo, exec_lo, s43
	v_and_b32_e32 v10, 0x80000000, v12
	s_delay_alu instid0(VALU_DEP_1) | instskip(NEXT) | instid1(VALU_DEP_1)
	v_lshl_add_u32 v10, v11, 23, v10
	v_lshl_or_b32 v10, v30, 21, v10
                                        ; implicit-def: $vgpr30
	s_delay_alu instid0(VALU_DEP_1)
	v_add_nc_u32_e32 v11, 0x38000000, v10
.LBB2_473:                              ;   in Loop: Header=BB2_129 Depth=2
	s_and_not1_saveexec_b32 s42, s42
; %bb.474:                              ;   in Loop: Header=BB2_129 Depth=2
	v_cmp_lt_i32_e32 vcc_lo, -1, v12
	v_cndmask_b32_e32 v10, 0xff800000, v62, vcc_lo
	v_cmp_eq_u32_e32 vcc_lo, 0, v30
	s_delay_alu instid0(VALU_DEP_2)
	v_cndmask_b32_e32 v11, 0x7f800001, v10, vcc_lo
; %bb.475:                              ;   in Loop: Header=BB2_129 Depth=2
	s_or_b32 exec_lo, exec_lo, s42
.LBB2_476:                              ;   in Loop: Header=BB2_129 Depth=2
	s_delay_alu instid0(SALU_CYCLE_1)
	s_or_b32 exec_lo, exec_lo, s41
.LBB2_477:                              ;   in Loop: Header=BB2_129 Depth=2
	s_delay_alu instid0(SALU_CYCLE_1) | instskip(NEXT) | instid1(VALU_DEP_1)
	s_or_b32 exec_lo, exec_lo, s11
	v_dual_mul_f32 v10, s40, v11 :: v_dual_mov_b32 v97, v35
                                        ; implicit-def: $vgpr44
	s_mov_b32 s11, exec_lo
	s_delay_alu instid0(VALU_DEP_1) | instskip(SKIP_2) | instid1(VALU_DEP_3)
	v_and_b32_e32 v96, 0x7f800000, v10
	v_and_b32_e32 v34, 0x7fffff, v10
	v_lshrrev_b32_e32 v11, 24, v10
	v_cmpx_ne_u64_e32 0x7f800000, v[96:97]
	s_xor_b32 s41, exec_lo, s11
	s_cbranch_execz .LBB2_491
; %bb.478:                              ;   in Loop: Header=BB2_129 Depth=2
	v_and_b32_e32 v96, 0x7fffffff, v10
	v_mov_b32_e32 v97, v35
	v_and_b32_e32 v30, 0x80, v11
                                        ; implicit-def: $vgpr44
	s_mov_b32 s11, exec_lo
	s_delay_alu instid0(VALU_DEP_2)
	v_cmpx_gt_u64_e32 0x47600001, v[96:97]
	s_xor_b32 s42, exec_lo, s11
	s_cbranch_execz .LBB2_488
; %bb.479:                              ;   in Loop: Header=BB2_129 Depth=2
	v_mov_b32_e32 v44, 0
	s_mov_b32 s43, exec_lo
	v_cmpx_ne_u32_e32 0, v10
	s_cbranch_execz .LBB2_487
; %bb.480:                              ;   in Loop: Header=BB2_129 Depth=2
	v_bfe_u32 v98, v10, 23, 8
	v_or_b32_e32 v96, 0x800000, v34
	s_delay_alu instid0(VALU_DEP_2) | instskip(SKIP_1) | instid1(VALU_DEP_2)
	v_sub_nc_u32_e32 v10, 0x71, v98
	v_cmp_gt_u32_e32 vcc_lo, 0x72, v98
	v_cndmask_b32_e32 v10, 0, v10, vcc_lo
	v_cmp_eq_u32_e32 vcc_lo, 0, v98
	s_delay_alu instid0(VALU_DEP_2) | instskip(NEXT) | instid1(VALU_DEP_1)
	v_cndmask_b32_e64 v99, v10, 0x70, vcc_lo
	v_dual_cndmask_b32 v34, v96, v34, vcc_lo :: v_dual_add_nc_u32 v10, 21, v99
	v_add_nc_u32_e32 v97, 20, v99
	s_delay_alu instid0(VALU_DEP_2) | instskip(NEXT) | instid1(VALU_DEP_2)
	v_lshlrev_b64_e64 v[10:11], v10, -1
	v_lshlrev_b64_e64 v[96:97], v97, 1
	s_delay_alu instid0(VALU_DEP_2) | instskip(NEXT) | instid1(VALU_DEP_3)
	v_bfi_b32 v41, v11, 0, 0
	v_bfi_b32 v40, v10, 0, v34
	v_lshrrev_b64 v[10:11], v99, v[34:35]
	s_delay_alu instid0(VALU_DEP_2) | instskip(NEXT) | instid1(VALU_DEP_2)
	v_cmp_eq_u64_e64 s11, v[40:41], v[96:97]
	v_mov_b64_e32 v[96:97], v[10:11]
	s_and_saveexec_b32 s44, s11
; %bb.481:                              ;   in Loop: Header=BB2_129 Depth=2
	v_bfe_u32 v34, v10, 21, 1
	s_delay_alu instid0(VALU_DEP_1) | instskip(NEXT) | instid1(VALU_DEP_1)
	v_add_nc_u64_e32 v[96:97], v[10:11], v[34:35]
	v_add_nc_u64_e32 v[96:97], -1, v[96:97]
; %bb.482:                              ;   in Loop: Header=BB2_129 Depth=2
	s_or_b32 exec_lo, exec_lo, s44
	v_add_nc_u32_e32 v11, 0xffffff81, v98
	v_lshrrev_b32_e32 v34, 23, v10
	s_mov_b32 s11, exec_lo
	s_delay_alu instid0(VALU_DEP_2) | instskip(NEXT) | instid1(VALU_DEP_1)
	v_cndmask_b32_e64 v11, v11, 0xffffff82, vcc_lo
	v_add3_u32 v97, v99, v11, v34
	v_and_b32_e32 v11, 0x1fffff, v96
                                        ; implicit-def: $vgpr96
	s_delay_alu instid0(VALU_DEP_1) | instskip(NEXT) | instid1(VALU_DEP_1)
	v_dual_add_nc_u32 v98, 14, v97 :: v_dual_add_nc_u32 v34, v11, v10
                                        ; implicit-def: $vgpr10_vgpr11
	v_cmpx_ne_u32_e32 0, v98
	s_xor_b32 s11, exec_lo, s11
; %bb.483:                              ;   in Loop: Header=BB2_129 Depth=2
	s_delay_alu instid0(VALU_DEP_2) | instskip(SKIP_1) | instid1(VALU_DEP_1)
	v_cmp_lt_u64_e32 vcc_lo, 0xffffff, v[34:35]
	v_add_nc_u32_e32 v10, 15, v97
	v_cndmask_b32_e32 v96, v98, v10, vcc_lo
	v_cndmask_b32_e64 v10, 0, 1, vcc_lo
	s_delay_alu instid0(VALU_DEP_1)
	v_lshrrev_b64 v[10:11], v10, v[34:35]
; %bb.484:                              ;   in Loop: Header=BB2_129 Depth=2
	s_and_not1_saveexec_b32 s11, s11
; %bb.485:                              ;   in Loop: Header=BB2_129 Depth=2
	v_mov_b64_e32 v[10:11], v[34:35]
	v_bfe_u32 v96, v34, 23, 1
; %bb.486:                              ;   in Loop: Header=BB2_129 Depth=2
	s_or_b32 exec_lo, exec_lo, s11
	s_delay_alu instid0(VALU_DEP_2) | instskip(NEXT) | instid1(VALU_DEP_2)
	v_lshrrev_b64 v[10:11], 21, v[10:11]
	v_cmp_gt_i32_e32 vcc_lo, 32, v96
	v_min_i32_e32 v34, 31, v96
	v_cmp_eq_u32_e64 s11, 0, v96
	s_delay_alu instid0(VALU_DEP_2) | instskip(SKIP_1) | instid1(VALU_DEP_2)
	v_dual_cndmask_b32 v11, 0, v11 :: v_dual_lshlrev_b32 v34, 2, v34
	v_cndmask_b32_e32 v10, 3, v10, vcc_lo
	v_and_b32_e32 v34, 0xfc, v34
	s_delay_alu instid0(VALU_DEP_2) | instskip(NEXT) | instid1(VALU_DEP_2)
	v_cmp_eq_u64_e32 vcc_lo, 0, v[10:11]
	v_and_or_b32 v10, v10, 3, v34
	s_and_b32 s11, s11, vcc_lo
	s_delay_alu instid0(VALU_DEP_1) | instid1(SALU_CYCLE_1)
	v_cndmask_b32_e64 v10, v10, 0, s11
	s_delay_alu instid0(VALU_DEP_1)
	v_or_b32_e32 v44, v10, v30
.LBB2_487:                              ;   in Loop: Header=BB2_129 Depth=2
	s_or_b32 exec_lo, exec_lo, s43
                                        ; implicit-def: $vgpr30
.LBB2_488:                              ;   in Loop: Header=BB2_129 Depth=2
	s_and_not1_saveexec_b32 s11, s42
; %bb.489:                              ;   in Loop: Header=BB2_129 Depth=2
	v_or_b32_e32 v44, 0x7b, v30
; %bb.490:                              ;   in Loop: Header=BB2_129 Depth=2
	s_or_b32 exec_lo, exec_lo, s11
                                        ; implicit-def: $vgpr10
                                        ; implicit-def: $vgpr11
.LBB2_491:                              ;   in Loop: Header=BB2_129 Depth=2
	s_and_not1_saveexec_b32 s11, s41
	s_cbranch_execz .LBB2_497
; %bb.492:                              ;   in Loop: Header=BB2_129 Depth=2
	s_mov_b32 s41, exec_lo
                                        ; implicit-def: $vgpr44
	v_cmpx_ne_u64_e32 0, v[34:35]
	s_xor_b32 s41, exec_lo, s41
; %bb.493:                              ;   in Loop: Header=BB2_129 Depth=2
	v_or_b32_e32 v44, 0x7f, v11
                                        ; implicit-def: $vgpr10
; %bb.494:                              ;   in Loop: Header=BB2_129 Depth=2
	s_and_not1_saveexec_b32 s41, s41
; %bb.495:                              ;   in Loop: Header=BB2_129 Depth=2
	v_cmp_lt_i32_e32 vcc_lo, -1, v10
	v_cndmask_b32_e32 v44, 0xfc, v63, vcc_lo
; %bb.496:                              ;   in Loop: Header=BB2_129 Depth=2
	s_or_b32 exec_lo, exec_lo, s41
.LBB2_497:                              ;   in Loop: Header=BB2_129 Depth=2
	s_delay_alu instid0(SALU_CYCLE_1) | instskip(SKIP_3) | instid1(VALU_DEP_2)
	s_or_b32 exec_lo, exec_lo, s11
	v_and_b32_e32 v11, 0xff, v13
	v_dual_mov_b32 v34, v13 :: v_dual_mov_b32 v10, 0
	s_mov_b32 s11, exec_lo
	v_cmpx_ne_u16_e32 0, v11
	s_cbranch_execz .LBB2_507
; %bb.498:                              ;   in Loop: Header=BB2_129 Depth=2
	v_bfrev_b32_e32 v10, 1
	s_mov_b32 s41, exec_lo
	v_cmpx_ne_u16_e32 0x80, v11
	s_cbranch_execz .LBB2_506
; %bb.499:                              ;   in Loop: Header=BB2_129 Depth=2
	v_and_b32_e32 v10, 0x7c, v13
	v_and_b32_e32 v11, 3, v13
	s_delay_alu instid0(VALU_DEP_2) | instskip(SKIP_1) | instid1(SALU_CYCLE_1)
	v_cmp_ne_u32_e32 vcc_lo, 0x7c, v10
                                        ; implicit-def: $vgpr10
	s_and_saveexec_b32 s42, vcc_lo
	s_xor_b32 s42, exec_lo, s42
	s_cbranch_execz .LBB2_503
; %bb.500:                              ;   in Loop: Header=BB2_129 Depth=2
	v_bfe_u32 v10, v13, 2, 5
	s_mov_b32 s43, exec_lo
	s_delay_alu instid0(VALU_DEP_1)
	v_cmpx_eq_u32_e32 0, v10
; %bb.501:                              ;   in Loop: Header=BB2_129 Depth=2
	v_clz_i32_u32_e32 v10, v11
	s_delay_alu instid0(VALU_DEP_1) | instskip(NEXT) | instid1(VALU_DEP_1)
	v_min_u32_e32 v10, 32, v10
	v_subrev_nc_u32_e32 v11, 29, v10
	s_delay_alu instid0(VALU_DEP_1) | instskip(NEXT) | instid1(VALU_DEP_1)
	v_lshlrev_b64_e32 v[96:97], v11, v[34:35]
	v_dual_sub_nc_u32 v10, 30, v10 :: v_dual_bitop2_b32 v11, 3, v96 bitop3:0x40
; %bb.502:                              ;   in Loop: Header=BB2_129 Depth=2
	s_or_b32 exec_lo, exec_lo, s43
	v_lshlrev_b32_e32 v30, 24, v13
	s_delay_alu instid0(VALU_DEP_1) | instskip(NEXT) | instid1(VALU_DEP_1)
	v_and_b32_e32 v30, 0x80000000, v30
	v_lshl_add_u32 v10, v10, 23, v30
	s_delay_alu instid0(VALU_DEP_1) | instskip(NEXT) | instid1(VALU_DEP_1)
	v_lshl_or_b32 v10, v11, 21, v10
                                        ; implicit-def: $vgpr11
	v_add_nc_u32_e32 v10, 0x38000000, v10
.LBB2_503:                              ;   in Loop: Header=BB2_129 Depth=2
	s_and_not1_saveexec_b32 s42, s42
; %bb.504:                              ;   in Loop: Header=BB2_129 Depth=2
	v_bfe_i32 v10, v13, 0, 8
	s_delay_alu instid0(VALU_DEP_1) | instskip(SKIP_2) | instid1(VALU_DEP_2)
	v_cmp_lt_i16_e32 vcc_lo, -1, v10
	v_cndmask_b32_e32 v10, 0xff800000, v62, vcc_lo
	v_cmp_eq_u32_e32 vcc_lo, 0, v11
	v_cndmask_b32_e32 v10, 0x7f800001, v10, vcc_lo
; %bb.505:                              ;   in Loop: Header=BB2_129 Depth=2
	s_or_b32 exec_lo, exec_lo, s42
.LBB2_506:                              ;   in Loop: Header=BB2_129 Depth=2
	s_delay_alu instid0(SALU_CYCLE_1)
	s_or_b32 exec_lo, exec_lo, s41
.LBB2_507:                              ;   in Loop: Header=BB2_129 Depth=2
	s_delay_alu instid0(SALU_CYCLE_1) | instskip(NEXT) | instid1(VALU_DEP_1)
	s_or_b32 exec_lo, exec_lo, s11
	v_dual_mul_f32 v96, s40, v10 :: v_dual_mov_b32 v99, v35
	v_mov_b32_e32 v11, v35
                                        ; implicit-def: $vgpr113
	s_mov_b32 s11, exec_lo
	s_delay_alu instid0(VALU_DEP_2) | instskip(SKIP_2) | instid1(VALU_DEP_3)
	v_and_b32_e32 v98, 0x7f800000, v96
	v_and_b32_e32 v10, 0x7fffff, v96
	v_lshrrev_b32_e32 v30, 24, v96
	v_cmpx_ne_u64_e32 0x7f800000, v[98:99]
	s_xor_b32 s41, exec_lo, s11
	s_cbranch_execz .LBB2_521
; %bb.508:                              ;   in Loop: Header=BB2_129 Depth=2
	v_and_b32_e32 v98, 0x7fffffff, v96
	v_mov_b32_e32 v99, v35
	v_and_b32_e32 v30, 0x80, v30
                                        ; implicit-def: $vgpr113
	s_mov_b32 s11, exec_lo
	s_delay_alu instid0(VALU_DEP_2)
	v_cmpx_gt_u64_e32 0x47600001, v[98:99]
	s_xor_b32 s42, exec_lo, s11
	s_cbranch_execz .LBB2_518
; %bb.509:                              ;   in Loop: Header=BB2_129 Depth=2
	v_mov_b32_e32 v113, 0
	s_mov_b32 s43, exec_lo
	v_cmpx_ne_u32_e32 0, v96
	s_cbranch_execz .LBB2_517
; %bb.510:                              ;   in Loop: Header=BB2_129 Depth=2
	v_bfe_u32 v98, v96, 23, 8
	v_or_b32_e32 v113, 0x800000, v10
	s_delay_alu instid0(VALU_DEP_2) | instskip(SKIP_1) | instid1(VALU_DEP_2)
	v_sub_nc_u32_e32 v96, 0x71, v98
	v_cmp_gt_u32_e32 vcc_lo, 0x72, v98
	v_cndmask_b32_e32 v96, 0, v96, vcc_lo
	v_cmp_eq_u32_e32 vcc_lo, 0, v98
	s_delay_alu instid0(VALU_DEP_2) | instskip(NEXT) | instid1(VALU_DEP_1)
	v_cndmask_b32_e64 v99, v96, 0x70, vcc_lo
	v_dual_cndmask_b32 v10, v113, v10, vcc_lo :: v_dual_add_nc_u32 v96, 21, v99
	v_add_nc_u32_e32 v116, 20, v99
	s_delay_alu instid0(VALU_DEP_2) | instskip(NEXT) | instid1(VALU_DEP_2)
	v_lshlrev_b64_e64 v[96:97], v96, -1
	v_lshlrev_b64_e64 v[40:41], v116, 1
	s_delay_alu instid0(VALU_DEP_2) | instskip(SKIP_1) | instid1(VALU_DEP_4)
	v_bfi_b32 v96, v96, 0, v10
	v_lshrrev_b64 v[10:11], v99, v[10:11]
	v_bfi_b32 v97, v97, 0, 0
	s_delay_alu instid0(VALU_DEP_1) | instskip(NEXT) | instid1(VALU_DEP_3)
	v_cmp_eq_u64_e64 s11, v[96:97], v[40:41]
	v_mov_b64_e32 v[96:97], v[10:11]
	s_and_saveexec_b32 s44, s11
; %bb.511:                              ;   in Loop: Header=BB2_129 Depth=2
	v_bfe_u32 v96, v10, 21, 1
	v_mov_b32_e32 v97, v35
	s_delay_alu instid0(VALU_DEP_1) | instskip(NEXT) | instid1(VALU_DEP_1)
	v_add_nc_u64_e32 v[96:97], v[10:11], v[96:97]
	v_add_nc_u64_e32 v[96:97], -1, v[96:97]
; %bb.512:                              ;   in Loop: Header=BB2_129 Depth=2
	s_or_b32 exec_lo, exec_lo, s44
	v_add_nc_u32_e32 v11, 0xffffff81, v98
	v_lshrrev_b32_e32 v97, 23, v10
	s_mov_b32 s11, exec_lo
	s_delay_alu instid0(VALU_DEP_2) | instskip(NEXT) | instid1(VALU_DEP_1)
	v_cndmask_b32_e64 v11, v11, 0xffffff82, vcc_lo
	v_add3_u32 v97, v99, v11, v97
	v_and_b32_e32 v11, 0x1fffff, v96
                                        ; implicit-def: $vgpr96
	s_delay_alu instid0(VALU_DEP_1) | instskip(SKIP_1) | instid1(VALU_DEP_2)
	v_dual_add_nc_u32 v98, 14, v97 :: v_dual_add_nc_u32 v10, v11, v10
	v_mov_b32_e32 v11, v35
	v_cmpx_ne_u32_e32 0, v98
	s_xor_b32 s11, exec_lo, s11
; %bb.513:                              ;   in Loop: Header=BB2_129 Depth=2
	s_delay_alu instid0(VALU_DEP_2) | instskip(SKIP_2) | instid1(VALU_DEP_2)
	v_cmp_lt_u64_e32 vcc_lo, 0xffffff, v[10:11]
	v_add_nc_u32_e32 v96, 15, v97
	v_cndmask_b32_e64 v97, 0, 1, vcc_lo
	v_cndmask_b32_e32 v96, v98, v96, vcc_lo
	s_delay_alu instid0(VALU_DEP_2)
	v_lshrrev_b64 v[10:11], v97, v[10:11]
; %bb.514:                              ;   in Loop: Header=BB2_129 Depth=2
	s_and_not1_saveexec_b32 s11, s11
; %bb.515:                              ;   in Loop: Header=BB2_129 Depth=2
	s_delay_alu instid0(VALU_DEP_1)
	v_bfe_u32 v96, v10, 23, 1
; %bb.516:                              ;   in Loop: Header=BB2_129 Depth=2
	s_or_b32 exec_lo, exec_lo, s11
	s_delay_alu instid0(VALU_DEP_2) | instskip(NEXT) | instid1(VALU_DEP_2)
	v_lshrrev_b64 v[10:11], 21, v[10:11]
	v_cmp_gt_i32_e32 vcc_lo, 32, v96
	v_min_i32_e32 v97, 31, v96
	v_cmp_eq_u32_e64 s11, 0, v96
	s_delay_alu instid0(VALU_DEP_2) | instskip(SKIP_1) | instid1(VALU_DEP_2)
	v_dual_cndmask_b32 v11, 0, v11, vcc_lo :: v_dual_lshlrev_b32 v97, 2, v97
	v_cndmask_b32_e32 v10, 3, v10, vcc_lo
	v_and_b32_e32 v97, 0xfc, v97
	s_delay_alu instid0(VALU_DEP_2) | instskip(NEXT) | instid1(VALU_DEP_2)
	v_cmp_eq_u64_e32 vcc_lo, 0, v[10:11]
	v_and_or_b32 v10, v10, 3, v97
	s_and_b32 s11, s11, vcc_lo
	s_delay_alu instid0(VALU_DEP_1) | instid1(SALU_CYCLE_1)
	v_cndmask_b32_e64 v10, v10, 0, s11
	s_delay_alu instid0(VALU_DEP_1)
	v_or_b32_e32 v113, v10, v30
.LBB2_517:                              ;   in Loop: Header=BB2_129 Depth=2
	s_or_b32 exec_lo, exec_lo, s43
                                        ; implicit-def: $vgpr30
.LBB2_518:                              ;   in Loop: Header=BB2_129 Depth=2
	s_and_not1_saveexec_b32 s11, s42
; %bb.519:                              ;   in Loop: Header=BB2_129 Depth=2
	v_or_b32_e32 v113, 0x7b, v30
; %bb.520:                              ;   in Loop: Header=BB2_129 Depth=2
	s_or_b32 exec_lo, exec_lo, s11
                                        ; implicit-def: $vgpr96
                                        ; implicit-def: $vgpr10_vgpr11
                                        ; implicit-def: $vgpr30
.LBB2_521:                              ;   in Loop: Header=BB2_129 Depth=2
	s_and_not1_saveexec_b32 s11, s41
	s_cbranch_execz .LBB2_527
; %bb.522:                              ;   in Loop: Header=BB2_129 Depth=2
	s_mov_b32 s41, exec_lo
                                        ; implicit-def: $vgpr113
	v_cmpx_ne_u64_e32 0, v[10:11]
	s_xor_b32 s41, exec_lo, s41
; %bb.523:                              ;   in Loop: Header=BB2_129 Depth=2
	v_or_b32_e32 v113, 0x7f, v30
                                        ; implicit-def: $vgpr96
; %bb.524:                              ;   in Loop: Header=BB2_129 Depth=2
	s_and_not1_saveexec_b32 s41, s41
; %bb.525:                              ;   in Loop: Header=BB2_129 Depth=2
	v_cmp_lt_i32_e32 vcc_lo, -1, v96
	v_cndmask_b32_e32 v113, 0xfc, v63, vcc_lo
; %bb.526:                              ;   in Loop: Header=BB2_129 Depth=2
	s_or_b32 exec_lo, exec_lo, s41
.LBB2_527:                              ;   in Loop: Header=BB2_129 Depth=2
	s_delay_alu instid0(SALU_CYCLE_1) | instskip(SKIP_3) | instid1(VALU_DEP_2)
	s_or_b32 exec_lo, exec_lo, s11
	v_lshrrev_b16 v10, 8, v34
	v_mov_b32_e32 v30, 0
	s_mov_b32 s11, exec_lo
	v_cmpx_ne_u16_e32 0, v10
	s_cbranch_execz .LBB2_537
; %bb.528:                              ;   in Loop: Header=BB2_129 Depth=2
	v_bfrev_b32_e32 v30, 1
	s_mov_b32 s41, exec_lo
	v_cmpx_ne_u16_e32 0x80, v10
	s_cbranch_execz .LBB2_536
; %bb.529:                              ;   in Loop: Header=BB2_129 Depth=2
	v_and_b32_e32 v96, 0xffff, v10
	s_delay_alu instid0(VALU_DEP_1) | instskip(SKIP_1) | instid1(VALU_DEP_2)
	v_and_b32_e32 v30, 0x7c, v96
	v_and_b32_e32 v11, 3, v96
	v_cmp_ne_u32_e32 vcc_lo, 0x7c, v30
                                        ; implicit-def: $vgpr30
	s_and_saveexec_b32 s42, vcc_lo
	s_delay_alu instid0(SALU_CYCLE_1)
	s_xor_b32 s42, exec_lo, s42
	s_cbranch_execz .LBB2_533
; %bb.530:                              ;   in Loop: Header=BB2_129 Depth=2
	v_bfe_u32 v30, v96, 2, 5
	s_mov_b32 s43, exec_lo
	s_delay_alu instid0(VALU_DEP_1)
	v_cmpx_eq_u32_e32 0, v30
	s_cbranch_execz .LBB2_532
; %bb.531:                              ;   in Loop: Header=BB2_129 Depth=2
	v_clz_i32_u32_e32 v11, v11
	s_delay_alu instid0(VALU_DEP_1) | instskip(SKIP_1) | instid1(VALU_DEP_2)
	v_min_u32_e32 v30, 32, v11
	v_mov_b32_e32 v11, v35
	v_subrev_nc_u32_e32 v96, 29, v30
	v_sub_nc_u32_e32 v30, 30, v30
	s_delay_alu instid0(VALU_DEP_2) | instskip(NEXT) | instid1(VALU_DEP_1)
	v_lshlrev_b64_e32 v[10:11], v96, v[10:11]
	v_and_b32_e32 v11, 3, v10
.LBB2_532:                              ;   in Loop: Header=BB2_129 Depth=2
	s_or_b32 exec_lo, exec_lo, s43
	v_lshlrev_b32_e32 v10, 16, v34
	s_delay_alu instid0(VALU_DEP_1) | instskip(NEXT) | instid1(VALU_DEP_1)
	v_and_b32_e32 v10, 0x80000000, v10
	v_lshl_add_u32 v10, v30, 23, v10
	s_delay_alu instid0(VALU_DEP_1) | instskip(NEXT) | instid1(VALU_DEP_1)
	v_lshl_or_b32 v10, v11, 21, v10
                                        ; implicit-def: $vgpr11
	v_add_nc_u32_e32 v30, 0x38000000, v10
.LBB2_533:                              ;   in Loop: Header=BB2_129 Depth=2
	s_and_not1_saveexec_b32 s42, s42
; %bb.534:                              ;   in Loop: Header=BB2_129 Depth=2
	v_cmp_lt_i16_e32 vcc_lo, -1, v34
	v_cndmask_b32_e32 v10, 0xff800000, v62, vcc_lo
	v_cmp_eq_u32_e32 vcc_lo, 0, v11
	s_delay_alu instid0(VALU_DEP_2)
	v_cndmask_b32_e32 v30, 0x7f800001, v10, vcc_lo
; %bb.535:                              ;   in Loop: Header=BB2_129 Depth=2
	s_or_b32 exec_lo, exec_lo, s42
.LBB2_536:                              ;   in Loop: Header=BB2_129 Depth=2
	s_delay_alu instid0(SALU_CYCLE_1)
	s_or_b32 exec_lo, exec_lo, s41
.LBB2_537:                              ;   in Loop: Header=BB2_129 Depth=2
	s_delay_alu instid0(SALU_CYCLE_1) | instskip(NEXT) | instid1(VALU_DEP_1)
	s_or_b32 exec_lo, exec_lo, s11
	v_dual_mul_f32 v10, s40, v30 :: v_dual_mov_b32 v97, v35
                                        ; implicit-def: $vgpr116
	s_mov_b32 s11, exec_lo
	s_delay_alu instid0(VALU_DEP_1) | instskip(SKIP_2) | instid1(VALU_DEP_3)
	v_and_b32_e32 v96, 0x7f800000, v10
	v_and_b32_e32 v34, 0x7fffff, v10
	v_lshrrev_b32_e32 v11, 24, v10
	v_cmpx_ne_u64_e32 0x7f800000, v[96:97]
	s_xor_b32 s41, exec_lo, s11
	s_cbranch_execz .LBB2_551
; %bb.538:                              ;   in Loop: Header=BB2_129 Depth=2
	v_and_b32_e32 v96, 0x7fffffff, v10
	v_mov_b32_e32 v97, v35
	v_and_b32_e32 v30, 0x80, v11
                                        ; implicit-def: $vgpr116
	s_mov_b32 s11, exec_lo
	s_delay_alu instid0(VALU_DEP_2)
	v_cmpx_gt_u64_e32 0x47600001, v[96:97]
	s_xor_b32 s42, exec_lo, s11
	s_cbranch_execz .LBB2_548
; %bb.539:                              ;   in Loop: Header=BB2_129 Depth=2
	v_mov_b32_e32 v116, 0
	s_mov_b32 s43, exec_lo
	v_cmpx_ne_u32_e32 0, v10
	s_cbranch_execz .LBB2_547
; %bb.540:                              ;   in Loop: Header=BB2_129 Depth=2
	v_bfe_u32 v98, v10, 23, 8
	v_or_b32_e32 v96, 0x800000, v34
	s_delay_alu instid0(VALU_DEP_2) | instskip(SKIP_1) | instid1(VALU_DEP_2)
	v_sub_nc_u32_e32 v10, 0x71, v98
	v_cmp_gt_u32_e32 vcc_lo, 0x72, v98
	v_cndmask_b32_e32 v10, 0, v10, vcc_lo
	v_cmp_eq_u32_e32 vcc_lo, 0, v98
	s_delay_alu instid0(VALU_DEP_2) | instskip(NEXT) | instid1(VALU_DEP_1)
	v_cndmask_b32_e64 v99, v10, 0x70, vcc_lo
	v_dual_cndmask_b32 v34, v96, v34, vcc_lo :: v_dual_add_nc_u32 v10, 21, v99
	v_add_nc_u32_e32 v97, 20, v99
	s_delay_alu instid0(VALU_DEP_2) | instskip(NEXT) | instid1(VALU_DEP_2)
	v_lshlrev_b64_e64 v[10:11], v10, -1
	v_lshlrev_b64_e64 v[96:97], v97, 1
	s_delay_alu instid0(VALU_DEP_2) | instskip(NEXT) | instid1(VALU_DEP_3)
	v_bfi_b32 v41, v11, 0, 0
	v_bfi_b32 v40, v10, 0, v34
	v_lshrrev_b64 v[10:11], v99, v[34:35]
	s_delay_alu instid0(VALU_DEP_2) | instskip(NEXT) | instid1(VALU_DEP_2)
	v_cmp_eq_u64_e64 s11, v[40:41], v[96:97]
	v_mov_b64_e32 v[96:97], v[10:11]
	s_and_saveexec_b32 s44, s11
; %bb.541:                              ;   in Loop: Header=BB2_129 Depth=2
	v_bfe_u32 v34, v10, 21, 1
	s_delay_alu instid0(VALU_DEP_1) | instskip(NEXT) | instid1(VALU_DEP_1)
	v_add_nc_u64_e32 v[96:97], v[10:11], v[34:35]
	v_add_nc_u64_e32 v[96:97], -1, v[96:97]
; %bb.542:                              ;   in Loop: Header=BB2_129 Depth=2
	s_or_b32 exec_lo, exec_lo, s44
	v_add_nc_u32_e32 v11, 0xffffff81, v98
	v_lshrrev_b32_e32 v34, 23, v10
	s_mov_b32 s11, exec_lo
	s_delay_alu instid0(VALU_DEP_2) | instskip(NEXT) | instid1(VALU_DEP_1)
	v_cndmask_b32_e64 v11, v11, 0xffffff82, vcc_lo
	v_add3_u32 v97, v99, v11, v34
	v_and_b32_e32 v11, 0x1fffff, v96
                                        ; implicit-def: $vgpr96
	s_delay_alu instid0(VALU_DEP_1) | instskip(NEXT) | instid1(VALU_DEP_1)
	v_dual_add_nc_u32 v98, 14, v97 :: v_dual_add_nc_u32 v34, v11, v10
                                        ; implicit-def: $vgpr10_vgpr11
	v_cmpx_ne_u32_e32 0, v98
	s_xor_b32 s11, exec_lo, s11
; %bb.543:                              ;   in Loop: Header=BB2_129 Depth=2
	s_delay_alu instid0(VALU_DEP_2) | instskip(SKIP_1) | instid1(VALU_DEP_1)
	v_cmp_lt_u64_e32 vcc_lo, 0xffffff, v[34:35]
	v_add_nc_u32_e32 v10, 15, v97
	v_cndmask_b32_e32 v96, v98, v10, vcc_lo
	v_cndmask_b32_e64 v10, 0, 1, vcc_lo
	s_delay_alu instid0(VALU_DEP_1)
	v_lshrrev_b64 v[10:11], v10, v[34:35]
; %bb.544:                              ;   in Loop: Header=BB2_129 Depth=2
	s_and_not1_saveexec_b32 s11, s11
; %bb.545:                              ;   in Loop: Header=BB2_129 Depth=2
	v_mov_b64_e32 v[10:11], v[34:35]
	v_bfe_u32 v96, v34, 23, 1
; %bb.546:                              ;   in Loop: Header=BB2_129 Depth=2
	s_or_b32 exec_lo, exec_lo, s11
	s_delay_alu instid0(VALU_DEP_2) | instskip(NEXT) | instid1(VALU_DEP_2)
	v_lshrrev_b64 v[10:11], 21, v[10:11]
	v_cmp_gt_i32_e32 vcc_lo, 32, v96
	v_min_i32_e32 v34, 31, v96
	v_cmp_eq_u32_e64 s11, 0, v96
	s_delay_alu instid0(VALU_DEP_2) | instskip(SKIP_1) | instid1(VALU_DEP_2)
	v_dual_cndmask_b32 v11, 0, v11 :: v_dual_lshlrev_b32 v34, 2, v34
	v_cndmask_b32_e32 v10, 3, v10, vcc_lo
	v_and_b32_e32 v34, 0xfc, v34
	s_delay_alu instid0(VALU_DEP_2) | instskip(NEXT) | instid1(VALU_DEP_2)
	v_cmp_eq_u64_e32 vcc_lo, 0, v[10:11]
	v_and_or_b32 v10, v10, 3, v34
	s_and_b32 s11, s11, vcc_lo
	s_delay_alu instid0(VALU_DEP_1) | instid1(SALU_CYCLE_1)
	v_cndmask_b32_e64 v10, v10, 0, s11
	s_delay_alu instid0(VALU_DEP_1)
	v_or_b32_e32 v116, v10, v30
.LBB2_547:                              ;   in Loop: Header=BB2_129 Depth=2
	s_or_b32 exec_lo, exec_lo, s43
                                        ; implicit-def: $vgpr30
.LBB2_548:                              ;   in Loop: Header=BB2_129 Depth=2
	s_and_not1_saveexec_b32 s11, s42
; %bb.549:                              ;   in Loop: Header=BB2_129 Depth=2
	v_or_b32_e32 v116, 0x7b, v30
; %bb.550:                              ;   in Loop: Header=BB2_129 Depth=2
	s_or_b32 exec_lo, exec_lo, s11
                                        ; implicit-def: $vgpr10
                                        ; implicit-def: $vgpr11
.LBB2_551:                              ;   in Loop: Header=BB2_129 Depth=2
	s_and_not1_saveexec_b32 s11, s41
	s_cbranch_execz .LBB2_557
; %bb.552:                              ;   in Loop: Header=BB2_129 Depth=2
	s_mov_b32 s41, exec_lo
                                        ; implicit-def: $vgpr116
	v_cmpx_ne_u64_e32 0, v[34:35]
	s_xor_b32 s41, exec_lo, s41
; %bb.553:                              ;   in Loop: Header=BB2_129 Depth=2
	v_or_b32_e32 v116, 0x7f, v11
                                        ; implicit-def: $vgpr10
; %bb.554:                              ;   in Loop: Header=BB2_129 Depth=2
	s_and_not1_saveexec_b32 s41, s41
; %bb.555:                              ;   in Loop: Header=BB2_129 Depth=2
	v_cmp_lt_i32_e32 vcc_lo, -1, v10
	v_cndmask_b32_e32 v116, 0xfc, v63, vcc_lo
; %bb.556:                              ;   in Loop: Header=BB2_129 Depth=2
	s_or_b32 exec_lo, exec_lo, s41
.LBB2_557:                              ;   in Loop: Header=BB2_129 Depth=2
	s_delay_alu instid0(SALU_CYCLE_1) | instskip(SKIP_2) | instid1(VALU_DEP_1)
	s_or_b32 exec_lo, exec_lo, s11
	v_dual_mov_b32 v11, 0 :: v_dual_lshrrev_b32 v10, 16, v13
	s_mov_b32 s11, exec_lo
	v_and_b32_e32 v30, 0xff, v10
	s_delay_alu instid0(VALU_DEP_1)
	v_cmpx_ne_u16_e32 0, v30
	s_cbranch_execz .LBB2_567
; %bb.558:                              ;   in Loop: Header=BB2_129 Depth=2
	v_bfrev_b32_e32 v11, 1
	s_mov_b32 s41, exec_lo
	v_cmpx_ne_u16_e32 0x80, v30
	s_cbranch_execz .LBB2_566
; %bb.559:                              ;   in Loop: Header=BB2_129 Depth=2
	v_and_b32_e32 v11, 0x7c0000, v13
	v_bfe_u32 v30, v13, 16, 2
	s_delay_alu instid0(VALU_DEP_2) | instskip(SKIP_1) | instid1(SALU_CYCLE_1)
	v_cmp_ne_u32_e32 vcc_lo, 0x7c0000, v11
                                        ; implicit-def: $vgpr11
	s_and_saveexec_b32 s42, vcc_lo
	s_xor_b32 s42, exec_lo, s42
	s_cbranch_execz .LBB2_563
; %bb.560:                              ;   in Loop: Header=BB2_129 Depth=2
	v_bfe_u32 v11, v13, 18, 5
	s_mov_b32 s43, exec_lo
	s_delay_alu instid0(VALU_DEP_1)
	v_cmpx_eq_u32_e32 0, v11
; %bb.561:                              ;   in Loop: Header=BB2_129 Depth=2
	v_clz_i32_u32_e32 v11, v30
	s_delay_alu instid0(VALU_DEP_1) | instskip(NEXT) | instid1(VALU_DEP_1)
	v_min_u32_e32 v11, 32, v11
	v_subrev_nc_u32_e32 v30, 29, v11
	s_delay_alu instid0(VALU_DEP_1) | instskip(NEXT) | instid1(VALU_DEP_1)
	v_lshlrev_b64_e32 v[96:97], v30, v[10:11]
	v_dual_sub_nc_u32 v11, 30, v11 :: v_dual_bitop2_b32 v30, 3, v96 bitop3:0x40
; %bb.562:                              ;   in Loop: Header=BB2_129 Depth=2
	s_or_b32 exec_lo, exec_lo, s43
	v_lshlrev_b32_e32 v10, 24, v10
	s_delay_alu instid0(VALU_DEP_1) | instskip(NEXT) | instid1(VALU_DEP_1)
	v_and_b32_e32 v10, 0x80000000, v10
	v_lshl_add_u32 v10, v11, 23, v10
	s_delay_alu instid0(VALU_DEP_1) | instskip(NEXT) | instid1(VALU_DEP_1)
	v_lshl_or_b32 v10, v30, 21, v10
                                        ; implicit-def: $vgpr30
	v_add_nc_u32_e32 v11, 0x38000000, v10
                                        ; implicit-def: $vgpr10
.LBB2_563:                              ;   in Loop: Header=BB2_129 Depth=2
	s_and_not1_saveexec_b32 s42, s42
; %bb.564:                              ;   in Loop: Header=BB2_129 Depth=2
	v_bfe_i32 v10, v10, 0, 8
	s_delay_alu instid0(VALU_DEP_1) | instskip(SKIP_2) | instid1(VALU_DEP_2)
	v_cmp_lt_i16_e32 vcc_lo, -1, v10
	v_cndmask_b32_e32 v10, 0xff800000, v62, vcc_lo
	v_cmp_eq_u32_e32 vcc_lo, 0, v30
	v_cndmask_b32_e32 v11, 0x7f800001, v10, vcc_lo
; %bb.565:                              ;   in Loop: Header=BB2_129 Depth=2
	s_or_b32 exec_lo, exec_lo, s42
.LBB2_566:                              ;   in Loop: Header=BB2_129 Depth=2
	s_delay_alu instid0(SALU_CYCLE_1)
	s_or_b32 exec_lo, exec_lo, s41
.LBB2_567:                              ;   in Loop: Header=BB2_129 Depth=2
	s_delay_alu instid0(SALU_CYCLE_1) | instskip(NEXT) | instid1(VALU_DEP_1)
	s_or_b32 exec_lo, exec_lo, s11
	v_dual_mul_f32 v10, s40, v11 :: v_dual_mov_b32 v97, v35
                                        ; implicit-def: $vgpr118
	s_mov_b32 s11, exec_lo
	s_delay_alu instid0(VALU_DEP_1) | instskip(SKIP_2) | instid1(VALU_DEP_3)
	v_and_b32_e32 v96, 0x7f800000, v10
	v_and_b32_e32 v34, 0x7fffff, v10
	v_lshrrev_b32_e32 v11, 24, v10
	v_cmpx_ne_u64_e32 0x7f800000, v[96:97]
	s_xor_b32 s41, exec_lo, s11
	s_cbranch_execz .LBB2_581
; %bb.568:                              ;   in Loop: Header=BB2_129 Depth=2
	v_and_b32_e32 v96, 0x7fffffff, v10
	v_mov_b32_e32 v97, v35
	v_and_b32_e32 v30, 0x80, v11
                                        ; implicit-def: $vgpr118
	s_mov_b32 s11, exec_lo
	s_delay_alu instid0(VALU_DEP_2)
	v_cmpx_gt_u64_e32 0x47600001, v[96:97]
	s_xor_b32 s42, exec_lo, s11
	s_cbranch_execz .LBB2_578
; %bb.569:                              ;   in Loop: Header=BB2_129 Depth=2
	v_mov_b32_e32 v118, 0
	s_mov_b32 s43, exec_lo
	v_cmpx_ne_u32_e32 0, v10
	s_cbranch_execz .LBB2_577
; %bb.570:                              ;   in Loop: Header=BB2_129 Depth=2
	v_bfe_u32 v98, v10, 23, 8
	v_or_b32_e32 v96, 0x800000, v34
	s_delay_alu instid0(VALU_DEP_2) | instskip(SKIP_1) | instid1(VALU_DEP_2)
	v_sub_nc_u32_e32 v10, 0x71, v98
	v_cmp_gt_u32_e32 vcc_lo, 0x72, v98
	v_cndmask_b32_e32 v10, 0, v10, vcc_lo
	v_cmp_eq_u32_e32 vcc_lo, 0, v98
	s_delay_alu instid0(VALU_DEP_2) | instskip(NEXT) | instid1(VALU_DEP_1)
	v_cndmask_b32_e64 v99, v10, 0x70, vcc_lo
	v_dual_cndmask_b32 v34, v96, v34, vcc_lo :: v_dual_add_nc_u32 v10, 21, v99
	v_add_nc_u32_e32 v97, 20, v99
	s_delay_alu instid0(VALU_DEP_2) | instskip(NEXT) | instid1(VALU_DEP_2)
	v_lshlrev_b64_e64 v[10:11], v10, -1
	v_lshlrev_b64_e64 v[96:97], v97, 1
	s_delay_alu instid0(VALU_DEP_2) | instskip(NEXT) | instid1(VALU_DEP_3)
	v_bfi_b32 v41, v11, 0, 0
	v_bfi_b32 v40, v10, 0, v34
	v_lshrrev_b64 v[10:11], v99, v[34:35]
	s_delay_alu instid0(VALU_DEP_2) | instskip(NEXT) | instid1(VALU_DEP_2)
	v_cmp_eq_u64_e64 s11, v[40:41], v[96:97]
	v_mov_b64_e32 v[96:97], v[10:11]
	s_and_saveexec_b32 s44, s11
; %bb.571:                              ;   in Loop: Header=BB2_129 Depth=2
	v_bfe_u32 v34, v10, 21, 1
	s_delay_alu instid0(VALU_DEP_1) | instskip(NEXT) | instid1(VALU_DEP_1)
	v_add_nc_u64_e32 v[96:97], v[10:11], v[34:35]
	v_add_nc_u64_e32 v[96:97], -1, v[96:97]
; %bb.572:                              ;   in Loop: Header=BB2_129 Depth=2
	s_or_b32 exec_lo, exec_lo, s44
	v_add_nc_u32_e32 v11, 0xffffff81, v98
	v_lshrrev_b32_e32 v34, 23, v10
	s_mov_b32 s11, exec_lo
	s_delay_alu instid0(VALU_DEP_2) | instskip(NEXT) | instid1(VALU_DEP_1)
	v_cndmask_b32_e64 v11, v11, 0xffffff82, vcc_lo
	v_add3_u32 v97, v99, v11, v34
	v_and_b32_e32 v11, 0x1fffff, v96
                                        ; implicit-def: $vgpr96
	s_delay_alu instid0(VALU_DEP_1) | instskip(NEXT) | instid1(VALU_DEP_1)
	v_dual_add_nc_u32 v98, 14, v97 :: v_dual_add_nc_u32 v34, v11, v10
                                        ; implicit-def: $vgpr10_vgpr11
	v_cmpx_ne_u32_e32 0, v98
	s_xor_b32 s11, exec_lo, s11
; %bb.573:                              ;   in Loop: Header=BB2_129 Depth=2
	s_delay_alu instid0(VALU_DEP_2) | instskip(SKIP_1) | instid1(VALU_DEP_1)
	v_cmp_lt_u64_e32 vcc_lo, 0xffffff, v[34:35]
	v_add_nc_u32_e32 v10, 15, v97
	v_cndmask_b32_e32 v96, v98, v10, vcc_lo
	v_cndmask_b32_e64 v10, 0, 1, vcc_lo
	s_delay_alu instid0(VALU_DEP_1)
	v_lshrrev_b64 v[10:11], v10, v[34:35]
; %bb.574:                              ;   in Loop: Header=BB2_129 Depth=2
	s_and_not1_saveexec_b32 s11, s11
; %bb.575:                              ;   in Loop: Header=BB2_129 Depth=2
	v_mov_b64_e32 v[10:11], v[34:35]
	v_bfe_u32 v96, v34, 23, 1
; %bb.576:                              ;   in Loop: Header=BB2_129 Depth=2
	s_or_b32 exec_lo, exec_lo, s11
	s_delay_alu instid0(VALU_DEP_2) | instskip(NEXT) | instid1(VALU_DEP_2)
	v_lshrrev_b64 v[10:11], 21, v[10:11]
	v_cmp_gt_i32_e32 vcc_lo, 32, v96
	v_min_i32_e32 v34, 31, v96
	v_cmp_eq_u32_e64 s11, 0, v96
	s_delay_alu instid0(VALU_DEP_2) | instskip(SKIP_1) | instid1(VALU_DEP_2)
	v_dual_cndmask_b32 v11, 0, v11 :: v_dual_lshlrev_b32 v34, 2, v34
	v_cndmask_b32_e32 v10, 3, v10, vcc_lo
	v_and_b32_e32 v34, 0xfc, v34
	s_delay_alu instid0(VALU_DEP_2) | instskip(NEXT) | instid1(VALU_DEP_2)
	v_cmp_eq_u64_e32 vcc_lo, 0, v[10:11]
	v_and_or_b32 v10, v10, 3, v34
	s_and_b32 s11, s11, vcc_lo
	s_delay_alu instid0(VALU_DEP_1) | instid1(SALU_CYCLE_1)
	v_cndmask_b32_e64 v10, v10, 0, s11
	s_delay_alu instid0(VALU_DEP_1)
	v_or_b32_e32 v118, v10, v30
.LBB2_577:                              ;   in Loop: Header=BB2_129 Depth=2
	s_or_b32 exec_lo, exec_lo, s43
                                        ; implicit-def: $vgpr30
.LBB2_578:                              ;   in Loop: Header=BB2_129 Depth=2
	s_and_not1_saveexec_b32 s11, s42
; %bb.579:                              ;   in Loop: Header=BB2_129 Depth=2
	v_or_b32_e32 v118, 0x7b, v30
; %bb.580:                              ;   in Loop: Header=BB2_129 Depth=2
	s_or_b32 exec_lo, exec_lo, s11
                                        ; implicit-def: $vgpr10
                                        ; implicit-def: $vgpr11
.LBB2_581:                              ;   in Loop: Header=BB2_129 Depth=2
	s_and_not1_saveexec_b32 s11, s41
	s_cbranch_execz .LBB2_587
; %bb.582:                              ;   in Loop: Header=BB2_129 Depth=2
	s_mov_b32 s41, exec_lo
                                        ; implicit-def: $vgpr118
	v_cmpx_ne_u64_e32 0, v[34:35]
	s_xor_b32 s41, exec_lo, s41
; %bb.583:                              ;   in Loop: Header=BB2_129 Depth=2
	v_or_b32_e32 v118, 0x7f, v11
                                        ; implicit-def: $vgpr10
; %bb.584:                              ;   in Loop: Header=BB2_129 Depth=2
	s_and_not1_saveexec_b32 s41, s41
; %bb.585:                              ;   in Loop: Header=BB2_129 Depth=2
	v_cmp_lt_i32_e32 vcc_lo, -1, v10
	v_cndmask_b32_e32 v118, 0xfc, v63, vcc_lo
; %bb.586:                              ;   in Loop: Header=BB2_129 Depth=2
	s_or_b32 exec_lo, exec_lo, s41
.LBB2_587:                              ;   in Loop: Header=BB2_129 Depth=2
	s_delay_alu instid0(SALU_CYCLE_1)
	s_or_b32 exec_lo, exec_lo, s11
	v_mov_b32_e32 v11, 0
	s_mov_b32 s11, exec_lo
	v_cmpx_lt_u64_e64 s[12:13], v[12:13]
	s_cbranch_execz .LBB2_597
; %bb.588:                              ;   in Loop: Header=BB2_129 Depth=2
	v_lshrrev_b32_e32 v10, 24, v13
	v_bfrev_b32_e32 v11, 1
	s_mov_b32 s41, exec_lo
	s_delay_alu instid0(VALU_DEP_2)
	v_cmpx_ne_u32_e32 0x80, v10
	s_cbranch_execz .LBB2_596
; %bb.589:                              ;   in Loop: Header=BB2_129 Depth=2
	v_and_b32_e32 v11, 0x7c000000, v13
	v_bfe_u32 v30, v13, 24, 2
	s_delay_alu instid0(VALU_DEP_2) | instskip(SKIP_1) | instid1(SALU_CYCLE_1)
	v_cmp_ne_u32_e32 vcc_lo, 0x7c000000, v11
                                        ; implicit-def: $vgpr11
	s_and_saveexec_b32 s42, vcc_lo
	s_xor_b32 s42, exec_lo, s42
	s_cbranch_execz .LBB2_593
; %bb.590:                              ;   in Loop: Header=BB2_129 Depth=2
	v_bfe_u32 v11, v13, 26, 5
	s_mov_b32 s43, exec_lo
	s_delay_alu instid0(VALU_DEP_1)
	v_cmpx_eq_u32_e32 0, v11
; %bb.591:                              ;   in Loop: Header=BB2_129 Depth=2
	v_clz_i32_u32_e32 v11, v30
	s_delay_alu instid0(VALU_DEP_1) | instskip(NEXT) | instid1(VALU_DEP_1)
	v_min_u32_e32 v12, 32, v11
	v_subrev_nc_u32_e32 v11, 29, v12
	s_delay_alu instid0(VALU_DEP_1) | instskip(NEXT) | instid1(VALU_DEP_1)
	v_lshlrev_b64_e32 v[10:11], v11, v[10:11]
	v_dual_sub_nc_u32 v11, 30, v12 :: v_dual_bitop2_b32 v30, 3, v10 bitop3:0x40
; %bb.592:                              ;   in Loop: Header=BB2_129 Depth=2
	s_or_b32 exec_lo, exec_lo, s43
	v_and_b32_e32 v10, 0x80000000, v13
                                        ; implicit-def: $vgpr12_vgpr13
	s_delay_alu instid0(VALU_DEP_1) | instskip(NEXT) | instid1(VALU_DEP_1)
	v_lshl_add_u32 v10, v11, 23, v10
	v_lshl_or_b32 v10, v30, 21, v10
                                        ; implicit-def: $vgpr30
	s_delay_alu instid0(VALU_DEP_1)
	v_add_nc_u32_e32 v11, 0x38000000, v10
.LBB2_593:                              ;   in Loop: Header=BB2_129 Depth=2
	s_and_not1_saveexec_b32 s42, s42
; %bb.594:                              ;   in Loop: Header=BB2_129 Depth=2
	v_cmp_lt_i64_e32 vcc_lo, -1, v[12:13]
	v_cndmask_b32_e32 v10, 0xff800000, v62, vcc_lo
	v_cmp_eq_u32_e32 vcc_lo, 0, v30
	s_delay_alu instid0(VALU_DEP_2)
	v_cndmask_b32_e32 v11, 0x7f800001, v10, vcc_lo
; %bb.595:                              ;   in Loop: Header=BB2_129 Depth=2
	s_or_b32 exec_lo, exec_lo, s42
.LBB2_596:                              ;   in Loop: Header=BB2_129 Depth=2
	s_delay_alu instid0(SALU_CYCLE_1)
	s_or_b32 exec_lo, exec_lo, s41
.LBB2_597:                              ;   in Loop: Header=BB2_129 Depth=2
	s_delay_alu instid0(SALU_CYCLE_1) | instskip(NEXT) | instid1(VALU_DEP_1)
	s_or_b32 exec_lo, exec_lo, s11
	v_dual_mul_f32 v10, s40, v11 :: v_dual_mov_b32 v13, v35
                                        ; implicit-def: $vgpr41
	s_mov_b32 s11, exec_lo
	s_delay_alu instid0(VALU_DEP_1) | instskip(SKIP_2) | instid1(VALU_DEP_3)
	v_and_b32_e32 v12, 0x7f800000, v10
	v_and_b32_e32 v34, 0x7fffff, v10
	v_lshrrev_b32_e32 v11, 24, v10
	v_cmpx_ne_u64_e32 0x7f800000, v[12:13]
	s_xor_b32 s40, exec_lo, s11
	s_cbranch_execz .LBB2_611
; %bb.598:                              ;   in Loop: Header=BB2_129 Depth=2
	v_and_b32_e32 v12, 0x7fffffff, v10
	v_mov_b32_e32 v13, v35
	v_and_b32_e32 v30, 0x80, v11
                                        ; implicit-def: $vgpr41
	s_mov_b32 s11, exec_lo
	s_delay_alu instid0(VALU_DEP_2)
	v_cmpx_gt_u64_e32 0x47600001, v[12:13]
	s_xor_b32 s41, exec_lo, s11
	s_cbranch_execz .LBB2_608
; %bb.599:                              ;   in Loop: Header=BB2_129 Depth=2
	v_mov_b32_e32 v41, 0
	s_mov_b32 s42, exec_lo
	v_cmpx_ne_u32_e32 0, v10
	s_cbranch_execz .LBB2_607
; %bb.600:                              ;   in Loop: Header=BB2_129 Depth=2
	v_bfe_u32 v96, v10, 23, 8
	v_or_b32_e32 v12, 0x800000, v34
	s_delay_alu instid0(VALU_DEP_2) | instskip(SKIP_1) | instid1(VALU_DEP_2)
	v_sub_nc_u32_e32 v10, 0x71, v96
	v_cmp_gt_u32_e32 vcc_lo, 0x72, v96
	v_cndmask_b32_e32 v10, 0, v10, vcc_lo
	v_cmp_eq_u32_e32 vcc_lo, 0, v96
	s_delay_alu instid0(VALU_DEP_2) | instskip(NEXT) | instid1(VALU_DEP_1)
	v_cndmask_b32_e64 v97, v10, 0x70, vcc_lo
	v_dual_cndmask_b32 v34, v12, v34, vcc_lo :: v_dual_add_nc_u32 v10, 21, v97
	v_add_nc_u32_e32 v13, 20, v97
	s_delay_alu instid0(VALU_DEP_2) | instskip(NEXT) | instid1(VALU_DEP_2)
	v_lshlrev_b64_e64 v[10:11], v10, -1
	v_lshlrev_b64_e64 v[12:13], v13, 1
	s_delay_alu instid0(VALU_DEP_2) | instskip(NEXT) | instid1(VALU_DEP_3)
	v_bfi_b32 v99, v11, 0, 0
	v_bfi_b32 v98, v10, 0, v34
	v_lshrrev_b64 v[10:11], v97, v[34:35]
	s_delay_alu instid0(VALU_DEP_2) | instskip(NEXT) | instid1(VALU_DEP_2)
	v_cmp_eq_u64_e64 s11, v[98:99], v[12:13]
	v_mov_b64_e32 v[12:13], v[10:11]
	s_and_saveexec_b32 s43, s11
; %bb.601:                              ;   in Loop: Header=BB2_129 Depth=2
	v_bfe_u32 v34, v10, 21, 1
	s_delay_alu instid0(VALU_DEP_1) | instskip(NEXT) | instid1(VALU_DEP_1)
	v_add_nc_u64_e32 v[12:13], v[10:11], v[34:35]
	v_add_nc_u64_e32 v[12:13], -1, v[12:13]
; %bb.602:                              ;   in Loop: Header=BB2_129 Depth=2
	s_or_b32 exec_lo, exec_lo, s43
	v_add_nc_u32_e32 v11, 0xffffff81, v96
	v_lshrrev_b32_e32 v13, 23, v10
	s_mov_b32 s11, exec_lo
	s_delay_alu instid0(VALU_DEP_2) | instskip(NEXT) | instid1(VALU_DEP_1)
	v_cndmask_b32_e64 v11, v11, 0xffffff82, vcc_lo
	v_add3_u32 v13, v97, v11, v13
	v_and_b32_e32 v11, 0x1fffff, v12
                                        ; implicit-def: $vgpr12
	s_delay_alu instid0(VALU_DEP_1) | instskip(NEXT) | instid1(VALU_DEP_1)
	v_dual_add_nc_u32 v96, 14, v13 :: v_dual_add_nc_u32 v34, v11, v10
                                        ; implicit-def: $vgpr10_vgpr11
	v_cmpx_ne_u32_e32 0, v96
	s_xor_b32 s11, exec_lo, s11
; %bb.603:                              ;   in Loop: Header=BB2_129 Depth=2
	s_delay_alu instid0(VALU_DEP_2) | instskip(SKIP_1) | instid1(VALU_DEP_1)
	v_cmp_lt_u64_e32 vcc_lo, 0xffffff, v[34:35]
	v_add_nc_u32_e32 v10, 15, v13
	v_cndmask_b32_e32 v12, v96, v10, vcc_lo
	v_cndmask_b32_e64 v10, 0, 1, vcc_lo
	s_delay_alu instid0(VALU_DEP_1)
	v_lshrrev_b64 v[10:11], v10, v[34:35]
; %bb.604:                              ;   in Loop: Header=BB2_129 Depth=2
	s_and_not1_saveexec_b32 s11, s11
; %bb.605:                              ;   in Loop: Header=BB2_129 Depth=2
	v_mov_b64_e32 v[10:11], v[34:35]
	v_bfe_u32 v12, v34, 23, 1
; %bb.606:                              ;   in Loop: Header=BB2_129 Depth=2
	s_or_b32 exec_lo, exec_lo, s11
	s_delay_alu instid0(VALU_DEP_2) | instskip(NEXT) | instid1(VALU_DEP_2)
	v_lshrrev_b64 v[10:11], 21, v[10:11]
	v_cmp_gt_i32_e32 vcc_lo, 32, v12
	v_min_i32_e32 v13, 31, v12
	v_cmp_eq_u32_e64 s11, 0, v12
	s_delay_alu instid0(VALU_DEP_2) | instskip(SKIP_1) | instid1(VALU_DEP_2)
	v_dual_cndmask_b32 v11, 0, v11, vcc_lo :: v_dual_lshlrev_b32 v13, 2, v13
	v_cndmask_b32_e32 v10, 3, v10, vcc_lo
	v_and_b32_e32 v13, 0xfc, v13
	s_delay_alu instid0(VALU_DEP_2) | instskip(NEXT) | instid1(VALU_DEP_2)
	v_cmp_eq_u64_e32 vcc_lo, 0, v[10:11]
	v_and_or_b32 v10, v10, 3, v13
	s_and_b32 s11, s11, vcc_lo
	s_delay_alu instid0(VALU_DEP_1) | instid1(SALU_CYCLE_1)
	v_cndmask_b32_e64 v10, v10, 0, s11
	s_delay_alu instid0(VALU_DEP_1)
	v_or_b32_e32 v41, v10, v30
.LBB2_607:                              ;   in Loop: Header=BB2_129 Depth=2
	s_or_b32 exec_lo, exec_lo, s42
                                        ; implicit-def: $vgpr30
.LBB2_608:                              ;   in Loop: Header=BB2_129 Depth=2
	s_and_not1_saveexec_b32 s11, s41
; %bb.609:                              ;   in Loop: Header=BB2_129 Depth=2
	v_or_b32_e32 v41, 0x7b, v30
; %bb.610:                              ;   in Loop: Header=BB2_129 Depth=2
	s_or_b32 exec_lo, exec_lo, s11
                                        ; implicit-def: $vgpr10
                                        ; implicit-def: $vgpr11
.LBB2_611:                              ;   in Loop: Header=BB2_129 Depth=2
	s_and_not1_saveexec_b32 s11, s40
	s_cbranch_execz .LBB2_617
; %bb.612:                              ;   in Loop: Header=BB2_129 Depth=2
	s_mov_b32 s40, exec_lo
                                        ; implicit-def: $vgpr41
	v_cmpx_ne_u64_e32 0, v[34:35]
	s_xor_b32 s40, exec_lo, s40
; %bb.613:                              ;   in Loop: Header=BB2_129 Depth=2
	v_or_b32_e32 v41, 0x7f, v11
                                        ; implicit-def: $vgpr10
; %bb.614:                              ;   in Loop: Header=BB2_129 Depth=2
	s_and_not1_saveexec_b32 s40, s40
; %bb.615:                              ;   in Loop: Header=BB2_129 Depth=2
	v_cmp_lt_i32_e32 vcc_lo, -1, v10
	v_cndmask_b32_e32 v41, 0xfc, v63, vcc_lo
; %bb.616:                              ;   in Loop: Header=BB2_129 Depth=2
	s_or_b32 exec_lo, exec_lo, s40
.LBB2_617:                              ;   in Loop: Header=BB2_129 Depth=2
	s_delay_alu instid0(SALU_CYCLE_1) | instskip(SKIP_4) | instid1(VALU_DEP_1)
	s_or_b32 exec_lo, exec_lo, s11
	global_load_b128 v[10:13], v[86:87], off th:TH_LOAD_NT
	v_lshl_or_b32 v30, v112, 8, v101
	v_dual_lshlrev_b32 v34, 16, v114 :: v_dual_lshlrev_b32 v96, 24, v117
	s_mov_b32 s11, exec_lo
	v_or3_b32 v34, v34, v96, v30
	v_mov_b32_e32 v96, 0
	s_wait_xcnt 0x0
	v_cmpx_ne_u32_e32 0, v101
	s_cbranch_execz .LBB2_627
; %bb.618:                              ;   in Loop: Header=BB2_129 Depth=2
	v_bfrev_b32_e32 v96, 1
	s_mov_b32 s40, exec_lo
	v_cmpx_ne_u32_e32 0x80, v101
	s_cbranch_execz .LBB2_626
; %bb.619:                              ;   in Loop: Header=BB2_129 Depth=2
	v_and_b32_e32 v96, 0x7c, v101
	v_and_b32_e32 v97, 3, v101
	s_delay_alu instid0(VALU_DEP_2) | instskip(SKIP_1) | instid1(SALU_CYCLE_1)
	v_cmp_ne_u32_e32 vcc_lo, 0x7c, v96
                                        ; implicit-def: $vgpr96
	s_and_saveexec_b32 s41, vcc_lo
	s_xor_b32 s41, exec_lo, s41
	s_cbranch_execz .LBB2_623
; %bb.620:                              ;   in Loop: Header=BB2_129 Depth=2
	v_bfe_u32 v96, v101, 2, 5
	s_mov_b32 s42, exec_lo
	s_delay_alu instid0(VALU_DEP_1)
	v_cmpx_eq_u32_e32 0, v96
; %bb.621:                              ;   in Loop: Header=BB2_129 Depth=2
	v_clz_i32_u32_e32 v96, v97
	s_delay_alu instid0(VALU_DEP_1) | instskip(NEXT) | instid1(VALU_DEP_1)
	v_min_u32_e32 v96, 32, v96
	v_subrev_nc_u32_e32 v97, 29, v96
	s_delay_alu instid0(VALU_DEP_1) | instskip(NEXT) | instid1(VALU_DEP_1)
	v_lshlrev_b64_e32 v[98:99], v97, v[34:35]
	v_dual_sub_nc_u32 v96, 30, v96 :: v_dual_bitop2_b32 v97, 3, v98 bitop3:0x40
; %bb.622:                              ;   in Loop: Header=BB2_129 Depth=2
	s_or_b32 exec_lo, exec_lo, s42
	v_lshlrev_b32_e32 v98, 24, v101
                                        ; implicit-def: $vgpr101
	s_delay_alu instid0(VALU_DEP_1) | instskip(NEXT) | instid1(VALU_DEP_1)
	v_and_b32_e32 v98, 0x80000000, v98
	v_lshl_add_u32 v96, v96, 23, v98
	s_delay_alu instid0(VALU_DEP_1) | instskip(NEXT) | instid1(VALU_DEP_1)
	v_lshl_or_b32 v96, v97, 21, v96
                                        ; implicit-def: $vgpr97
	v_add_nc_u32_e32 v96, 0x38000000, v96
.LBB2_623:                              ;   in Loop: Header=BB2_129 Depth=2
	s_and_not1_saveexec_b32 s41, s41
; %bb.624:                              ;   in Loop: Header=BB2_129 Depth=2
	v_and_b32_e32 v96, 0x80, v101
	s_delay_alu instid0(VALU_DEP_1) | instskip(SKIP_2) | instid1(VALU_DEP_2)
	v_cmp_eq_u32_e32 vcc_lo, 0, v96
	v_cndmask_b32_e32 v96, 0xff800000, v62, vcc_lo
	v_cmp_eq_u32_e32 vcc_lo, 0, v97
	v_cndmask_b32_e32 v96, 0x7f800001, v96, vcc_lo
; %bb.625:                              ;   in Loop: Header=BB2_129 Depth=2
	s_or_b32 exec_lo, exec_lo, s41
.LBB2_626:                              ;   in Loop: Header=BB2_129 Depth=2
	s_delay_alu instid0(SALU_CYCLE_1)
	s_or_b32 exec_lo, exec_lo, s40
.LBB2_627:                              ;   in Loop: Header=BB2_129 Depth=2
	s_delay_alu instid0(SALU_CYCLE_1) | instskip(SKIP_4) | instid1(VALU_DEP_1)
	s_or_b32 exec_lo, exec_lo, s11
	s_wait_loadcnt 0x0
	v_and_b32_e32 v98, 0xff, v10
	s_mov_b32 s40, 0
	s_mov_b32 s11, exec_lo
	v_cmpx_lt_i16_e32 0x7f, v98
	s_xor_b32 s11, exec_lo, s11
	s_cbranch_execnz .LBB2_1144
; %bb.628:                              ;   in Loop: Header=BB2_129 Depth=2
	s_or_saveexec_b32 s11, s11
	v_bfrev_b32_e32 v97, 1
	s_xor_b32 exec_lo, exec_lo, s11
	s_cbranch_execnz .LBB2_1147
.LBB2_629:                              ;   in Loop: Header=BB2_129 Depth=2
	s_or_b32 exec_lo, exec_lo, s11
	s_and_saveexec_b32 s11, s40
	s_cbranch_execz .LBB2_631
.LBB2_630:                              ;   in Loop: Header=BB2_129 Depth=2
	v_and_b32_e32 v97, 3, v10
	v_bfe_u32 v112, v10, 2, 5
	s_delay_alu instid0(VALU_DEP_2) | instskip(NEXT) | instid1(VALU_DEP_2)
	v_clz_i32_u32_e32 v98, v97
	v_cmp_eq_u32_e32 vcc_lo, 0, v112
	s_delay_alu instid0(VALU_DEP_2) | instskip(NEXT) | instid1(VALU_DEP_1)
	v_min_u32_e32 v101, 32, v98
	v_subrev_nc_u32_e32 v98, 29, v101
	s_delay_alu instid0(VALU_DEP_1) | instskip(SKIP_1) | instid1(VALU_DEP_1)
	v_lshlrev_b64_e32 v[98:99], v98, v[10:11]
	v_dual_lshlrev_b32 v99, 24, v10 :: v_dual_sub_nc_u32 v101, 30, v101
	v_and_b32_e32 v99, 0x80000000, v99
	s_delay_alu instid0(VALU_DEP_2) | instskip(SKIP_1) | instid1(VALU_DEP_2)
	v_dual_cndmask_b32 v101, v112, v101, vcc_lo :: v_dual_bitop2_b32 v98, 3, v98 bitop3:0x40
	v_bfe_i32 v112, v10, 0, 8
	v_cndmask_b32_e32 v98, v97, v98, vcc_lo
	s_delay_alu instid0(VALU_DEP_3) | instskip(NEXT) | instid1(VALU_DEP_3)
	v_lshl_add_u32 v99, v101, 23, v99
	v_cmp_lt_i16_e32 vcc_lo, -1, v112
	s_delay_alu instid0(VALU_DEP_2) | instskip(SKIP_3) | instid1(VALU_DEP_4)
	v_lshl_or_b32 v98, v98, 21, v99
	v_cndmask_b32_e32 v101, 0xff800000, v62, vcc_lo
	v_and_b32_e32 v99, 0x7c, v10
	v_cmp_eq_u32_e32 vcc_lo, 0, v97
	v_add_nc_u32_e32 v98, 0x38000000, v98
	s_delay_alu instid0(VALU_DEP_4) | instskip(NEXT) | instid1(VALU_DEP_4)
	v_cndmask_b32_e32 v97, 0x7f800001, v101, vcc_lo
	v_cmp_eq_u32_e32 vcc_lo, 0x7c, v99
	s_delay_alu instid0(VALU_DEP_2)
	v_cndmask_b32_e32 v97, v98, v97, vcc_lo
.LBB2_631:                              ;   in Loop: Header=BB2_129 Depth=2
	s_or_b32 exec_lo, exec_lo, s11
	s_delay_alu instid0(VALU_DEP_1) | instskip(SKIP_2) | instid1(VALU_DEP_2)
	v_dual_add_f32 v98, v96, v97 :: v_dual_mov_b32 v73, v35
	v_mov_b32_e32 v97, v35
                                        ; implicit-def: $vgpr112
	s_mov_b32 s11, exec_lo
	v_and_b32_e32 v72, 0x7f800000, v98
	v_and_b32_e32 v96, 0x7fffff, v98
	v_lshrrev_b32_e32 v99, 24, v98
	s_delay_alu instid0(VALU_DEP_3)
	v_cmpx_ne_u64_e32 0x7f800000, v[72:73]
	s_xor_b32 s40, exec_lo, s11
	s_cbranch_execz .LBB2_645
; %bb.632:                              ;   in Loop: Header=BB2_129 Depth=2
	v_and_b32_e32 v72, 0x7fffffff, v98
	v_mov_b32_e32 v73, v35
	v_and_b32_e32 v101, 0x80, v99
                                        ; implicit-def: $vgpr112
	s_mov_b32 s11, exec_lo
	s_delay_alu instid0(VALU_DEP_2)
	v_cmpx_gt_u64_e32 0x47600001, v[72:73]
	s_xor_b32 s41, exec_lo, s11
	s_cbranch_execz .LBB2_642
; %bb.633:                              ;   in Loop: Header=BB2_129 Depth=2
	v_mov_b32_e32 v112, 0
	s_mov_b32 s42, exec_lo
	v_cmpx_ne_u32_e32 0, v98
	s_cbranch_execz .LBB2_641
; %bb.634:                              ;   in Loop: Header=BB2_129 Depth=2
	v_bfe_u32 v112, v98, 23, 8
	v_or_b32_e32 v117, 0x800000, v96
	s_delay_alu instid0(VALU_DEP_2) | instskip(SKIP_1) | instid1(VALU_DEP_2)
	v_sub_nc_u32_e32 v98, 0x71, v112
	v_cmp_gt_u32_e32 vcc_lo, 0x72, v112
	v_cndmask_b32_e32 v98, 0, v98, vcc_lo
	v_cmp_eq_u32_e32 vcc_lo, 0, v112
	v_cndmask_b32_e32 v96, v117, v96, vcc_lo
	s_delay_alu instid0(VALU_DEP_3) | instskip(NEXT) | instid1(VALU_DEP_1)
	v_cndmask_b32_e64 v114, v98, 0x70, vcc_lo
	v_dual_add_nc_u32 v98, 21, v114 :: v_dual_add_nc_u32 v40, 20, v114
	s_delay_alu instid0(VALU_DEP_1) | instskip(NEXT) | instid1(VALU_DEP_2)
	v_lshlrev_b64_e64 v[98:99], v98, -1
	v_lshlrev_b64_e64 v[72:73], v40, 1
	s_delay_alu instid0(VALU_DEP_2) | instskip(SKIP_1) | instid1(VALU_DEP_4)
	v_bfi_b32 v98, v98, 0, v96
	v_lshrrev_b64 v[96:97], v114, v[96:97]
	v_bfi_b32 v99, v99, 0, 0
	s_delay_alu instid0(VALU_DEP_1) | instskip(NEXT) | instid1(VALU_DEP_3)
	v_cmp_eq_u64_e64 s11, v[98:99], v[72:73]
	v_mov_b64_e32 v[98:99], v[96:97]
	s_and_saveexec_b32 s43, s11
; %bb.635:                              ;   in Loop: Header=BB2_129 Depth=2
	v_bfe_u32 v98, v96, 21, 1
	v_mov_b32_e32 v99, v35
	s_delay_alu instid0(VALU_DEP_1) | instskip(NEXT) | instid1(VALU_DEP_1)
	v_add_nc_u64_e32 v[98:99], v[96:97], v[98:99]
	v_add_nc_u64_e32 v[98:99], -1, v[98:99]
; %bb.636:                              ;   in Loop: Header=BB2_129 Depth=2
	s_or_b32 exec_lo, exec_lo, s43
	v_add_nc_u32_e32 v97, 0xffffff81, v112
	v_lshrrev_b32_e32 v99, 23, v96
	s_mov_b32 s11, exec_lo
	s_delay_alu instid0(VALU_DEP_2) | instskip(NEXT) | instid1(VALU_DEP_1)
	v_cndmask_b32_e64 v97, v97, 0xffffff82, vcc_lo
	v_add3_u32 v99, v114, v97, v99
	v_and_b32_e32 v97, 0x1fffff, v98
                                        ; implicit-def: $vgpr98
	s_delay_alu instid0(VALU_DEP_1) | instskip(SKIP_1) | instid1(VALU_DEP_2)
	v_dual_add_nc_u32 v112, 14, v99 :: v_dual_add_nc_u32 v96, v97, v96
	v_mov_b32_e32 v97, v35
	v_cmpx_ne_u32_e32 0, v112
	s_xor_b32 s11, exec_lo, s11
; %bb.637:                              ;   in Loop: Header=BB2_129 Depth=2
	s_delay_alu instid0(VALU_DEP_2) | instskip(SKIP_2) | instid1(VALU_DEP_2)
	v_cmp_lt_u64_e32 vcc_lo, 0xffffff, v[96:97]
	v_add_nc_u32_e32 v98, 15, v99
	v_cndmask_b32_e64 v99, 0, 1, vcc_lo
	v_cndmask_b32_e32 v98, v112, v98, vcc_lo
	s_delay_alu instid0(VALU_DEP_2)
	v_lshrrev_b64 v[96:97], v99, v[96:97]
; %bb.638:                              ;   in Loop: Header=BB2_129 Depth=2
	s_and_not1_saveexec_b32 s11, s11
; %bb.639:                              ;   in Loop: Header=BB2_129 Depth=2
	s_delay_alu instid0(VALU_DEP_1)
	v_bfe_u32 v98, v96, 23, 1
; %bb.640:                              ;   in Loop: Header=BB2_129 Depth=2
	s_or_b32 exec_lo, exec_lo, s11
	s_delay_alu instid0(VALU_DEP_2) | instskip(NEXT) | instid1(VALU_DEP_2)
	v_lshrrev_b64 v[96:97], 21, v[96:97]
	v_cmp_gt_i32_e32 vcc_lo, 32, v98
	v_min_i32_e32 v99, 31, v98
	v_cmp_eq_u32_e64 s11, 0, v98
	s_delay_alu instid0(VALU_DEP_2) | instskip(SKIP_1) | instid1(VALU_DEP_2)
	v_dual_cndmask_b32 v97, 0, v97, vcc_lo :: v_dual_lshlrev_b32 v99, 2, v99
	v_cndmask_b32_e32 v96, 3, v96, vcc_lo
	v_and_b32_e32 v99, 0xfc, v99
	s_delay_alu instid0(VALU_DEP_2) | instskip(NEXT) | instid1(VALU_DEP_2)
	v_cmp_eq_u64_e32 vcc_lo, 0, v[96:97]
	v_and_or_b32 v96, v96, 3, v99
	s_and_b32 s11, s11, vcc_lo
	s_delay_alu instid0(VALU_DEP_1) | instid1(SALU_CYCLE_1)
	v_cndmask_b32_e64 v96, v96, 0, s11
	s_delay_alu instid0(VALU_DEP_1)
	v_or_b32_e32 v112, v96, v101
.LBB2_641:                              ;   in Loop: Header=BB2_129 Depth=2
	s_or_b32 exec_lo, exec_lo, s42
                                        ; implicit-def: $vgpr101
.LBB2_642:                              ;   in Loop: Header=BB2_129 Depth=2
	s_and_not1_saveexec_b32 s11, s41
; %bb.643:                              ;   in Loop: Header=BB2_129 Depth=2
	v_or_b32_e32 v112, 0x7b, v101
; %bb.644:                              ;   in Loop: Header=BB2_129 Depth=2
	s_or_b32 exec_lo, exec_lo, s11
                                        ; implicit-def: $vgpr98
                                        ; implicit-def: $vgpr96_vgpr97
                                        ; implicit-def: $vgpr99
.LBB2_645:                              ;   in Loop: Header=BB2_129 Depth=2
	s_and_not1_saveexec_b32 s11, s40
	s_cbranch_execz .LBB2_651
; %bb.646:                              ;   in Loop: Header=BB2_129 Depth=2
	s_mov_b32 s40, exec_lo
                                        ; implicit-def: $vgpr112
	v_cmpx_ne_u64_e32 0, v[96:97]
	s_xor_b32 s40, exec_lo, s40
; %bb.647:                              ;   in Loop: Header=BB2_129 Depth=2
	v_or_b32_e32 v112, 0x7f, v99
                                        ; implicit-def: $vgpr98
; %bb.648:                              ;   in Loop: Header=BB2_129 Depth=2
	s_and_not1_saveexec_b32 s40, s40
; %bb.649:                              ;   in Loop: Header=BB2_129 Depth=2
	v_cmp_lt_i32_e32 vcc_lo, -1, v98
	v_cndmask_b32_e32 v112, 0xfc, v63, vcc_lo
; %bb.650:                              ;   in Loop: Header=BB2_129 Depth=2
	s_or_b32 exec_lo, exec_lo, s40
.LBB2_651:                              ;   in Loop: Header=BB2_129 Depth=2
	s_delay_alu instid0(SALU_CYCLE_1) | instskip(SKIP_3) | instid1(VALU_DEP_2)
	s_or_b32 exec_lo, exec_lo, s11
	v_lshrrev_b16 v96, 8, v30
	v_mov_b32_e32 v98, 0
	s_mov_b32 s11, exec_lo
	v_cmpx_ne_u16_e32 0, v96
	s_cbranch_execz .LBB2_661
; %bb.652:                              ;   in Loop: Header=BB2_129 Depth=2
	v_bfrev_b32_e32 v98, 1
	s_mov_b32 s40, exec_lo
	v_cmpx_ne_u16_e32 0x80, v96
	s_cbranch_execz .LBB2_660
; %bb.653:                              ;   in Loop: Header=BB2_129 Depth=2
	v_and_b32_e32 v99, 0xffff, v96
	s_delay_alu instid0(VALU_DEP_1) | instskip(SKIP_1) | instid1(VALU_DEP_2)
	v_and_b32_e32 v98, 0x7c, v99
	v_and_b32_e32 v97, 3, v99
	v_cmp_ne_u32_e32 vcc_lo, 0x7c, v98
                                        ; implicit-def: $vgpr98
	s_and_saveexec_b32 s41, vcc_lo
	s_delay_alu instid0(SALU_CYCLE_1)
	s_xor_b32 s41, exec_lo, s41
	s_cbranch_execz .LBB2_657
; %bb.654:                              ;   in Loop: Header=BB2_129 Depth=2
	v_bfe_u32 v98, v99, 2, 5
	s_mov_b32 s42, exec_lo
	s_delay_alu instid0(VALU_DEP_1)
	v_cmpx_eq_u32_e32 0, v98
	s_cbranch_execz .LBB2_656
; %bb.655:                              ;   in Loop: Header=BB2_129 Depth=2
	v_clz_i32_u32_e32 v97, v97
	s_delay_alu instid0(VALU_DEP_1) | instskip(SKIP_1) | instid1(VALU_DEP_2)
	v_min_u32_e32 v98, 32, v97
	v_mov_b32_e32 v97, v35
	v_subrev_nc_u32_e32 v99, 29, v98
	v_sub_nc_u32_e32 v98, 30, v98
	s_delay_alu instid0(VALU_DEP_2) | instskip(NEXT) | instid1(VALU_DEP_1)
	v_lshlrev_b64_e32 v[96:97], v99, v[96:97]
	v_and_b32_e32 v97, 3, v96
.LBB2_656:                              ;   in Loop: Header=BB2_129 Depth=2
	s_or_b32 exec_lo, exec_lo, s42
	v_lshlrev_b32_e32 v30, 16, v30
	s_delay_alu instid0(VALU_DEP_1) | instskip(NEXT) | instid1(VALU_DEP_1)
	v_and_b32_e32 v30, 0x80000000, v30
	v_lshl_add_u32 v30, v98, 23, v30
	s_delay_alu instid0(VALU_DEP_1) | instskip(NEXT) | instid1(VALU_DEP_1)
	v_lshl_or_b32 v30, v97, 21, v30
                                        ; implicit-def: $vgpr97
	v_add_nc_u32_e32 v98, 0x38000000, v30
                                        ; implicit-def: $vgpr30
.LBB2_657:                              ;   in Loop: Header=BB2_129 Depth=2
	s_and_not1_saveexec_b32 s41, s41
; %bb.658:                              ;   in Loop: Header=BB2_129 Depth=2
	v_cmp_lt_i16_e32 vcc_lo, -1, v30
	v_cndmask_b32_e32 v30, 0xff800000, v62, vcc_lo
	v_cmp_eq_u32_e32 vcc_lo, 0, v97
	s_delay_alu instid0(VALU_DEP_2)
	v_cndmask_b32_e32 v98, 0x7f800001, v30, vcc_lo
; %bb.659:                              ;   in Loop: Header=BB2_129 Depth=2
	s_or_b32 exec_lo, exec_lo, s41
.LBB2_660:                              ;   in Loop: Header=BB2_129 Depth=2
	s_delay_alu instid0(SALU_CYCLE_1)
	s_or_b32 exec_lo, exec_lo, s40
.LBB2_661:                              ;   in Loop: Header=BB2_129 Depth=2
	s_delay_alu instid0(SALU_CYCLE_1) | instskip(SKIP_3) | instid1(VALU_DEP_1)
	s_or_b32 exec_lo, exec_lo, s11
	v_lshrrev_b16 v96, 8, v10
	s_mov_b32 s40, 0
	s_mov_b32 s11, exec_lo
	v_cmpx_lt_i16_e32 0x7f, v96
	s_xor_b32 s11, exec_lo, s11
	s_cbranch_execnz .LBB2_1148
; %bb.662:                              ;   in Loop: Header=BB2_129 Depth=2
	s_or_saveexec_b32 s11, s11
	v_bfrev_b32_e32 v30, 1
	s_xor_b32 exec_lo, exec_lo, s11
	s_cbranch_execnz .LBB2_1151
.LBB2_663:                              ;   in Loop: Header=BB2_129 Depth=2
	s_or_b32 exec_lo, exec_lo, s11
	s_and_saveexec_b32 s11, s40
	s_cbranch_execz .LBB2_665
.LBB2_664:                              ;   in Loop: Header=BB2_129 Depth=2
	v_and_b32_e32 v30, 0xffff, v96
	s_delay_alu instid0(VALU_DEP_1) | instskip(NEXT) | instid1(VALU_DEP_1)
	v_and_b32_e32 v99, 3, v30
	v_clz_i32_u32_e32 v97, v99
	s_delay_alu instid0(VALU_DEP_1) | instskip(SKIP_1) | instid1(VALU_DEP_2)
	v_min_u32_e32 v101, 32, v97
	v_mov_b32_e32 v97, v35
	v_subrev_nc_u32_e32 v114, 29, v101
	v_sub_nc_u32_e32 v101, 30, v101
	s_delay_alu instid0(VALU_DEP_2) | instskip(SKIP_3) | instid1(VALU_DEP_3)
	v_lshlrev_b64_e32 v[72:73], v114, v[96:97]
	v_bfe_u32 v97, v30, 2, 5
	v_lshlrev_b32_e32 v96, 24, v96
	v_and_b32_e32 v30, 0x7c, v30
	v_cmp_eq_u32_e32 vcc_lo, 0, v97
	s_delay_alu instid0(VALU_DEP_3) | instskip(SKIP_1) | instid1(VALU_DEP_1)
	v_and_b32_e32 v96, 0x80000000, v96
	v_dual_cndmask_b32 v97, v97, v101, vcc_lo :: v_dual_bitop2_b32 v114, 3, v72 bitop3:0x40
	v_cndmask_b32_e32 v101, v99, v114, vcc_lo
	v_cmp_lt_i16_e32 vcc_lo, -1, v10
	s_delay_alu instid0(VALU_DEP_3) | instskip(SKIP_2) | instid1(VALU_DEP_3)
	v_lshl_add_u32 v96, v97, 23, v96
	v_cndmask_b32_e32 v97, 0xff800000, v62, vcc_lo
	v_cmp_eq_u32_e32 vcc_lo, 0, v99
	v_lshl_or_b32 v96, v101, 21, v96
	s_delay_alu instid0(VALU_DEP_3) | instskip(NEXT) | instid1(VALU_DEP_2)
	v_cndmask_b32_e32 v97, 0x7f800001, v97, vcc_lo
	v_add_nc_u32_e32 v96, 0x38000000, v96
	v_cmp_eq_u32_e32 vcc_lo, 0x7c, v30
	s_delay_alu instid0(VALU_DEP_2)
	v_cndmask_b32_e32 v30, v96, v97, vcc_lo
.LBB2_665:                              ;   in Loop: Header=BB2_129 Depth=2
	s_or_b32 exec_lo, exec_lo, s11
	s_delay_alu instid0(VALU_DEP_1) | instskip(SKIP_2) | instid1(VALU_DEP_2)
	v_dual_add_f32 v98, v98, v30 :: v_dual_mov_b32 v73, v35
	v_mov_b32_e32 v97, v35
                                        ; implicit-def: $vgpr114
	s_mov_b32 s11, exec_lo
	v_and_b32_e32 v72, 0x7f800000, v98
	v_and_b32_e32 v96, 0x7fffff, v98
	v_lshrrev_b32_e32 v30, 24, v98
	s_delay_alu instid0(VALU_DEP_3)
	v_cmpx_ne_u64_e32 0x7f800000, v[72:73]
	s_xor_b32 s40, exec_lo, s11
	s_cbranch_execz .LBB2_679
; %bb.666:                              ;   in Loop: Header=BB2_129 Depth=2
	v_and_b32_e32 v72, 0x7fffffff, v98
	v_mov_b32_e32 v73, v35
	v_and_b32_e32 v30, 0x80, v30
                                        ; implicit-def: $vgpr114
	s_mov_b32 s11, exec_lo
	s_delay_alu instid0(VALU_DEP_2)
	v_cmpx_gt_u64_e32 0x47600001, v[72:73]
	s_xor_b32 s41, exec_lo, s11
	s_cbranch_execz .LBB2_676
; %bb.667:                              ;   in Loop: Header=BB2_129 Depth=2
	v_mov_b32_e32 v114, 0
	s_mov_b32 s42, exec_lo
	v_cmpx_ne_u32_e32 0, v98
	s_cbranch_execz .LBB2_675
; %bb.668:                              ;   in Loop: Header=BB2_129 Depth=2
	v_bfe_u32 v101, v98, 23, 8
	v_or_b32_e32 v117, 0x800000, v96
	s_delay_alu instid0(VALU_DEP_2) | instskip(SKIP_1) | instid1(VALU_DEP_2)
	v_sub_nc_u32_e32 v98, 0x71, v101
	v_cmp_gt_u32_e32 vcc_lo, 0x72, v101
	v_cndmask_b32_e32 v98, 0, v98, vcc_lo
	v_cmp_eq_u32_e32 vcc_lo, 0, v101
	v_cndmask_b32_e32 v96, v117, v96, vcc_lo
	s_delay_alu instid0(VALU_DEP_3) | instskip(NEXT) | instid1(VALU_DEP_1)
	v_cndmask_b32_e64 v114, v98, 0x70, vcc_lo
	v_dual_add_nc_u32 v98, 21, v114 :: v_dual_add_nc_u32 v40, 20, v114
	s_delay_alu instid0(VALU_DEP_1) | instskip(NEXT) | instid1(VALU_DEP_2)
	v_lshlrev_b64_e64 v[98:99], v98, -1
	v_lshlrev_b64_e64 v[72:73], v40, 1
	s_delay_alu instid0(VALU_DEP_2) | instskip(SKIP_1) | instid1(VALU_DEP_4)
	v_bfi_b32 v98, v98, 0, v96
	v_lshrrev_b64 v[96:97], v114, v[96:97]
	v_bfi_b32 v99, v99, 0, 0
	s_delay_alu instid0(VALU_DEP_1) | instskip(NEXT) | instid1(VALU_DEP_3)
	v_cmp_eq_u64_e64 s11, v[98:99], v[72:73]
	v_mov_b64_e32 v[98:99], v[96:97]
	s_and_saveexec_b32 s43, s11
; %bb.669:                              ;   in Loop: Header=BB2_129 Depth=2
	v_bfe_u32 v98, v96, 21, 1
	v_mov_b32_e32 v99, v35
	s_delay_alu instid0(VALU_DEP_1) | instskip(NEXT) | instid1(VALU_DEP_1)
	v_add_nc_u64_e32 v[98:99], v[96:97], v[98:99]
	v_add_nc_u64_e32 v[98:99], -1, v[98:99]
; %bb.670:                              ;   in Loop: Header=BB2_129 Depth=2
	s_or_b32 exec_lo, exec_lo, s43
	v_add_nc_u32_e32 v97, 0xffffff81, v101
	v_lshrrev_b32_e32 v99, 23, v96
	s_mov_b32 s11, exec_lo
	s_delay_alu instid0(VALU_DEP_2) | instskip(NEXT) | instid1(VALU_DEP_1)
	v_cndmask_b32_e64 v97, v97, 0xffffff82, vcc_lo
	v_add3_u32 v99, v114, v97, v99
	v_and_b32_e32 v97, 0x1fffff, v98
                                        ; implicit-def: $vgpr98
	s_delay_alu instid0(VALU_DEP_1) | instskip(SKIP_1) | instid1(VALU_DEP_2)
	v_dual_add_nc_u32 v101, 14, v99 :: v_dual_add_nc_u32 v96, v97, v96
	v_mov_b32_e32 v97, v35
	v_cmpx_ne_u32_e32 0, v101
	s_xor_b32 s11, exec_lo, s11
; %bb.671:                              ;   in Loop: Header=BB2_129 Depth=2
	s_delay_alu instid0(VALU_DEP_2) | instskip(SKIP_2) | instid1(VALU_DEP_2)
	v_cmp_lt_u64_e32 vcc_lo, 0xffffff, v[96:97]
	v_add_nc_u32_e32 v98, 15, v99
	v_cndmask_b32_e64 v99, 0, 1, vcc_lo
	v_cndmask_b32_e32 v98, v101, v98, vcc_lo
	s_delay_alu instid0(VALU_DEP_2)
	v_lshrrev_b64 v[96:97], v99, v[96:97]
; %bb.672:                              ;   in Loop: Header=BB2_129 Depth=2
	s_and_not1_saveexec_b32 s11, s11
; %bb.673:                              ;   in Loop: Header=BB2_129 Depth=2
	s_delay_alu instid0(VALU_DEP_1)
	v_bfe_u32 v98, v96, 23, 1
; %bb.674:                              ;   in Loop: Header=BB2_129 Depth=2
	s_or_b32 exec_lo, exec_lo, s11
	s_delay_alu instid0(VALU_DEP_2) | instskip(NEXT) | instid1(VALU_DEP_2)
	v_lshrrev_b64 v[96:97], 21, v[96:97]
	v_cmp_gt_i32_e32 vcc_lo, 32, v98
	v_min_i32_e32 v99, 31, v98
	v_cmp_eq_u32_e64 s11, 0, v98
	s_delay_alu instid0(VALU_DEP_2) | instskip(SKIP_1) | instid1(VALU_DEP_2)
	v_dual_cndmask_b32 v97, 0, v97, vcc_lo :: v_dual_lshlrev_b32 v99, 2, v99
	v_cndmask_b32_e32 v96, 3, v96, vcc_lo
	v_and_b32_e32 v99, 0xfc, v99
	s_delay_alu instid0(VALU_DEP_2) | instskip(NEXT) | instid1(VALU_DEP_2)
	v_cmp_eq_u64_e32 vcc_lo, 0, v[96:97]
	v_and_or_b32 v96, v96, 3, v99
	s_and_b32 s11, s11, vcc_lo
	s_delay_alu instid0(VALU_DEP_1) | instid1(SALU_CYCLE_1)
	v_cndmask_b32_e64 v96, v96, 0, s11
	s_delay_alu instid0(VALU_DEP_1)
	v_or_b32_e32 v114, v96, v30
.LBB2_675:                              ;   in Loop: Header=BB2_129 Depth=2
	s_or_b32 exec_lo, exec_lo, s42
                                        ; implicit-def: $vgpr30
.LBB2_676:                              ;   in Loop: Header=BB2_129 Depth=2
	s_and_not1_saveexec_b32 s11, s41
; %bb.677:                              ;   in Loop: Header=BB2_129 Depth=2
	v_or_b32_e32 v114, 0x7b, v30
; %bb.678:                              ;   in Loop: Header=BB2_129 Depth=2
	s_or_b32 exec_lo, exec_lo, s11
                                        ; implicit-def: $vgpr98
                                        ; implicit-def: $vgpr96_vgpr97
                                        ; implicit-def: $vgpr30
.LBB2_679:                              ;   in Loop: Header=BB2_129 Depth=2
	s_and_not1_saveexec_b32 s11, s40
	s_cbranch_execz .LBB2_685
; %bb.680:                              ;   in Loop: Header=BB2_129 Depth=2
	s_mov_b32 s40, exec_lo
                                        ; implicit-def: $vgpr114
	v_cmpx_ne_u64_e32 0, v[96:97]
	s_xor_b32 s40, exec_lo, s40
; %bb.681:                              ;   in Loop: Header=BB2_129 Depth=2
	v_or_b32_e32 v114, 0x7f, v30
                                        ; implicit-def: $vgpr98
; %bb.682:                              ;   in Loop: Header=BB2_129 Depth=2
	s_and_not1_saveexec_b32 s40, s40
; %bb.683:                              ;   in Loop: Header=BB2_129 Depth=2
	v_cmp_lt_i32_e32 vcc_lo, -1, v98
	v_cndmask_b32_e32 v114, 0xfc, v63, vcc_lo
; %bb.684:                              ;   in Loop: Header=BB2_129 Depth=2
	s_or_b32 exec_lo, exec_lo, s40
.LBB2_685:                              ;   in Loop: Header=BB2_129 Depth=2
	s_delay_alu instid0(SALU_CYCLE_1) | instskip(SKIP_2) | instid1(VALU_DEP_1)
	s_or_b32 exec_lo, exec_lo, s11
	v_dual_lshrrev_b32 v30, 16, v34 :: v_dual_mov_b32 v96, 0
	s_mov_b32 s11, exec_lo
	v_and_b32_e32 v97, 0xff, v30
	s_delay_alu instid0(VALU_DEP_1)
	v_cmpx_ne_u16_e32 0, v97
	s_cbranch_execz .LBB2_695
; %bb.686:                              ;   in Loop: Header=BB2_129 Depth=2
	v_bfrev_b32_e32 v96, 1
	s_mov_b32 s40, exec_lo
	v_cmpx_ne_u16_e32 0x80, v97
	s_cbranch_execz .LBB2_694
; %bb.687:                              ;   in Loop: Header=BB2_129 Depth=2
	v_and_b32_e32 v96, 0x7c0000, v34
	v_bfe_u32 v97, v34, 16, 2
	s_delay_alu instid0(VALU_DEP_2) | instskip(SKIP_1) | instid1(SALU_CYCLE_1)
	v_cmp_ne_u32_e32 vcc_lo, 0x7c0000, v96
                                        ; implicit-def: $vgpr96
	s_and_saveexec_b32 s41, vcc_lo
	s_xor_b32 s41, exec_lo, s41
	s_cbranch_execz .LBB2_691
; %bb.688:                              ;   in Loop: Header=BB2_129 Depth=2
	v_bfe_u32 v96, v34, 18, 5
	v_lshrrev_b32_e32 v30, 16, v34
	s_mov_b32 s42, exec_lo
	s_delay_alu instid0(VALU_DEP_2)
	v_cmpx_eq_u32_e32 0, v96
; %bb.689:                              ;   in Loop: Header=BB2_129 Depth=2
	v_clz_i32_u32_e32 v96, v97
	s_delay_alu instid0(VALU_DEP_1) | instskip(NEXT) | instid1(VALU_DEP_1)
	v_min_u32_e32 v96, 32, v96
	v_subrev_nc_u32_e32 v97, 29, v96
	s_delay_alu instid0(VALU_DEP_1) | instskip(NEXT) | instid1(VALU_DEP_1)
	v_lshlrev_b64_e32 v[98:99], v97, v[30:31]
	v_dual_sub_nc_u32 v96, 30, v96 :: v_dual_bitop2_b32 v97, 3, v98 bitop3:0x40
; %bb.690:                              ;   in Loop: Header=BB2_129 Depth=2
	s_or_b32 exec_lo, exec_lo, s42
	v_lshlrev_b32_e32 v30, 24, v30
	s_delay_alu instid0(VALU_DEP_1) | instskip(NEXT) | instid1(VALU_DEP_1)
	v_and_b32_e32 v30, 0x80000000, v30
	v_lshl_add_u32 v30, v96, 23, v30
	s_delay_alu instid0(VALU_DEP_1) | instskip(NEXT) | instid1(VALU_DEP_1)
	v_lshl_or_b32 v30, v97, 21, v30
                                        ; implicit-def: $vgpr97
	v_add_nc_u32_e32 v96, 0x38000000, v30
                                        ; implicit-def: $vgpr30
.LBB2_691:                              ;   in Loop: Header=BB2_129 Depth=2
	s_and_not1_saveexec_b32 s41, s41
; %bb.692:                              ;   in Loop: Header=BB2_129 Depth=2
	v_bfe_i32 v30, v30, 0, 8
	s_delay_alu instid0(VALU_DEP_1) | instskip(SKIP_2) | instid1(VALU_DEP_2)
	v_cmp_lt_i16_e32 vcc_lo, -1, v30
	v_cndmask_b32_e32 v30, 0xff800000, v62, vcc_lo
	v_cmp_eq_u32_e32 vcc_lo, 0, v97
	v_cndmask_b32_e32 v96, 0x7f800001, v30, vcc_lo
; %bb.693:                              ;   in Loop: Header=BB2_129 Depth=2
	s_or_b32 exec_lo, exec_lo, s41
.LBB2_694:                              ;   in Loop: Header=BB2_129 Depth=2
	s_delay_alu instid0(SALU_CYCLE_1)
	s_or_b32 exec_lo, exec_lo, s40
.LBB2_695:                              ;   in Loop: Header=BB2_129 Depth=2
	s_delay_alu instid0(SALU_CYCLE_1) | instskip(SKIP_3) | instid1(VALU_DEP_1)
	s_or_b32 exec_lo, exec_lo, s11
	v_lshrrev_b32_e32 v30, 16, v10
	s_mov_b32 s40, 0
	s_mov_b32 s11, exec_lo
	v_and_b32_e32 v98, 0xff, v30
	s_delay_alu instid0(VALU_DEP_1)
	v_cmpx_lt_i16_e32 0x7f, v98
	s_xor_b32 s11, exec_lo, s11
	s_cbranch_execnz .LBB2_1152
; %bb.696:                              ;   in Loop: Header=BB2_129 Depth=2
	s_or_saveexec_b32 s11, s11
	v_bfrev_b32_e32 v97, 1
	s_xor_b32 exec_lo, exec_lo, s11
	s_cbranch_execnz .LBB2_1155
.LBB2_697:                              ;   in Loop: Header=BB2_129 Depth=2
	s_or_b32 exec_lo, exec_lo, s11
	s_and_saveexec_b32 s11, s40
	s_cbranch_execz .LBB2_699
.LBB2_698:                              ;   in Loop: Header=BB2_129 Depth=2
	v_and_b32_e32 v97, 3, v30
	v_bfe_u32 v117, v10, 18, 5
	s_delay_alu instid0(VALU_DEP_2) | instskip(NEXT) | instid1(VALU_DEP_2)
	v_clz_i32_u32_e32 v98, v97
	v_cmp_eq_u32_e32 vcc_lo, 0, v117
	s_delay_alu instid0(VALU_DEP_2) | instskip(NEXT) | instid1(VALU_DEP_1)
	v_min_u32_e32 v101, 32, v98
	v_subrev_nc_u32_e32 v98, 29, v101
	s_delay_alu instid0(VALU_DEP_1) | instskip(SKIP_2) | instid1(VALU_DEP_2)
	v_lshlrev_b64_e32 v[98:99], v98, v[30:31]
	v_dual_lshlrev_b32 v99, 24, v30 :: v_dual_sub_nc_u32 v101, 30, v101
	v_bfe_i32 v30, v30, 0, 8
	v_and_b32_e32 v99, 0x80000000, v99
	s_delay_alu instid0(VALU_DEP_3) | instskip(NEXT) | instid1(VALU_DEP_1)
	v_dual_cndmask_b32 v101, v117, v101, vcc_lo :: v_dual_bitop2_b32 v98, 3, v98 bitop3:0x40
	v_cndmask_b32_e32 v98, v97, v98, vcc_lo
	s_delay_alu instid0(VALU_DEP_2) | instskip(SKIP_1) | instid1(VALU_DEP_2)
	v_lshl_add_u32 v99, v101, 23, v99
	v_cmp_lt_i16_e32 vcc_lo, -1, v30
	v_lshl_or_b32 v98, v98, 21, v99
	v_cndmask_b32_e32 v30, 0xff800000, v62, vcc_lo
	v_and_b32_e32 v99, 0x7c0000, v10
	v_cmp_eq_u32_e32 vcc_lo, 0, v97
	s_delay_alu instid0(VALU_DEP_4) | instskip(NEXT) | instid1(VALU_DEP_4)
	v_add_nc_u32_e32 v97, 0x38000000, v98
	v_cndmask_b32_e32 v30, 0x7f800001, v30, vcc_lo
	s_delay_alu instid0(VALU_DEP_4) | instskip(NEXT) | instid1(VALU_DEP_2)
	v_cmp_eq_u32_e32 vcc_lo, 0x7c0000, v99
	v_cndmask_b32_e32 v97, v97, v30, vcc_lo
.LBB2_699:                              ;   in Loop: Header=BB2_129 Depth=2
	s_or_b32 exec_lo, exec_lo, s11
	s_delay_alu instid0(VALU_DEP_1) | instskip(SKIP_2) | instid1(VALU_DEP_2)
	v_dual_add_f32 v98, v96, v97 :: v_dual_mov_b32 v73, v35
	v_mov_b32_e32 v97, v35
                                        ; implicit-def: $vgpr117
	s_mov_b32 s11, exec_lo
	v_and_b32_e32 v72, 0x7f800000, v98
	v_and_b32_e32 v96, 0x7fffff, v98
	v_lshrrev_b32_e32 v30, 24, v98
	s_delay_alu instid0(VALU_DEP_3)
	v_cmpx_ne_u64_e32 0x7f800000, v[72:73]
	s_xor_b32 s40, exec_lo, s11
	s_cbranch_execz .LBB2_713
; %bb.700:                              ;   in Loop: Header=BB2_129 Depth=2
	v_and_b32_e32 v72, 0x7fffffff, v98
	v_mov_b32_e32 v73, v35
	v_and_b32_e32 v30, 0x80, v30
                                        ; implicit-def: $vgpr117
	s_mov_b32 s11, exec_lo
	s_delay_alu instid0(VALU_DEP_2)
	v_cmpx_gt_u64_e32 0x47600001, v[72:73]
	s_xor_b32 s41, exec_lo, s11
	s_cbranch_execz .LBB2_710
; %bb.701:                              ;   in Loop: Header=BB2_129 Depth=2
	v_mov_b32_e32 v117, 0
	s_mov_b32 s42, exec_lo
	v_cmpx_ne_u32_e32 0, v98
	s_cbranch_execz .LBB2_709
; %bb.702:                              ;   in Loop: Header=BB2_129 Depth=2
	v_bfe_u32 v101, v98, 23, 8
	v_or_b32_e32 v40, 0x800000, v96
	s_delay_alu instid0(VALU_DEP_2) | instskip(SKIP_1) | instid1(VALU_DEP_2)
	v_sub_nc_u32_e32 v98, 0x71, v101
	v_cmp_gt_u32_e32 vcc_lo, 0x72, v101
	v_cndmask_b32_e32 v98, 0, v98, vcc_lo
	v_cmp_eq_u32_e32 vcc_lo, 0, v101
	s_delay_alu instid0(VALU_DEP_2) | instskip(NEXT) | instid1(VALU_DEP_1)
	v_cndmask_b32_e64 v117, v98, 0x70, vcc_lo
	v_dual_cndmask_b32 v96, v40, v96, vcc_lo :: v_dual_add_nc_u32 v98, 21, v117
	v_add_nc_u32_e32 v47, 20, v117
	s_delay_alu instid0(VALU_DEP_2) | instskip(NEXT) | instid1(VALU_DEP_2)
	v_lshlrev_b64_e64 v[98:99], v98, -1
	v_lshlrev_b64_e64 v[72:73], v47, 1
	s_delay_alu instid0(VALU_DEP_2) | instskip(SKIP_1) | instid1(VALU_DEP_4)
	v_bfi_b32 v98, v98, 0, v96
	v_lshrrev_b64 v[96:97], v117, v[96:97]
	v_bfi_b32 v99, v99, 0, 0
	s_delay_alu instid0(VALU_DEP_1) | instskip(NEXT) | instid1(VALU_DEP_3)
	v_cmp_eq_u64_e64 s11, v[98:99], v[72:73]
	v_mov_b64_e32 v[98:99], v[96:97]
	s_and_saveexec_b32 s43, s11
; %bb.703:                              ;   in Loop: Header=BB2_129 Depth=2
	v_bfe_u32 v98, v96, 21, 1
	v_mov_b32_e32 v99, v35
	s_delay_alu instid0(VALU_DEP_1) | instskip(NEXT) | instid1(VALU_DEP_1)
	v_add_nc_u64_e32 v[98:99], v[96:97], v[98:99]
	v_add_nc_u64_e32 v[98:99], -1, v[98:99]
; %bb.704:                              ;   in Loop: Header=BB2_129 Depth=2
	s_or_b32 exec_lo, exec_lo, s43
	v_add_nc_u32_e32 v97, 0xffffff81, v101
	v_lshrrev_b32_e32 v99, 23, v96
	s_mov_b32 s11, exec_lo
	s_delay_alu instid0(VALU_DEP_2) | instskip(NEXT) | instid1(VALU_DEP_1)
	v_cndmask_b32_e64 v97, v97, 0xffffff82, vcc_lo
	v_add3_u32 v99, v117, v97, v99
	v_and_b32_e32 v97, 0x1fffff, v98
                                        ; implicit-def: $vgpr98
	s_delay_alu instid0(VALU_DEP_1) | instskip(SKIP_1) | instid1(VALU_DEP_2)
	v_dual_add_nc_u32 v101, 14, v99 :: v_dual_add_nc_u32 v96, v97, v96
	v_mov_b32_e32 v97, v35
	v_cmpx_ne_u32_e32 0, v101
	s_xor_b32 s11, exec_lo, s11
; %bb.705:                              ;   in Loop: Header=BB2_129 Depth=2
	s_delay_alu instid0(VALU_DEP_2) | instskip(SKIP_2) | instid1(VALU_DEP_2)
	v_cmp_lt_u64_e32 vcc_lo, 0xffffff, v[96:97]
	v_add_nc_u32_e32 v98, 15, v99
	v_cndmask_b32_e64 v99, 0, 1, vcc_lo
	v_cndmask_b32_e32 v98, v101, v98, vcc_lo
	s_delay_alu instid0(VALU_DEP_2)
	v_lshrrev_b64 v[96:97], v99, v[96:97]
; %bb.706:                              ;   in Loop: Header=BB2_129 Depth=2
	s_and_not1_saveexec_b32 s11, s11
; %bb.707:                              ;   in Loop: Header=BB2_129 Depth=2
	s_delay_alu instid0(VALU_DEP_1)
	v_bfe_u32 v98, v96, 23, 1
; %bb.708:                              ;   in Loop: Header=BB2_129 Depth=2
	s_or_b32 exec_lo, exec_lo, s11
	s_delay_alu instid0(VALU_DEP_2) | instskip(NEXT) | instid1(VALU_DEP_2)
	v_lshrrev_b64 v[96:97], 21, v[96:97]
	v_cmp_gt_i32_e32 vcc_lo, 32, v98
	v_min_i32_e32 v99, 31, v98
	v_cmp_eq_u32_e64 s11, 0, v98
	s_delay_alu instid0(VALU_DEP_2) | instskip(SKIP_1) | instid1(VALU_DEP_2)
	v_dual_cndmask_b32 v97, 0, v97, vcc_lo :: v_dual_lshlrev_b32 v99, 2, v99
	v_cndmask_b32_e32 v96, 3, v96, vcc_lo
	v_and_b32_e32 v99, 0xfc, v99
	s_delay_alu instid0(VALU_DEP_2) | instskip(NEXT) | instid1(VALU_DEP_2)
	v_cmp_eq_u64_e32 vcc_lo, 0, v[96:97]
	v_and_or_b32 v96, v96, 3, v99
	s_and_b32 s11, s11, vcc_lo
	s_delay_alu instid0(VALU_DEP_1) | instid1(SALU_CYCLE_1)
	v_cndmask_b32_e64 v96, v96, 0, s11
	s_delay_alu instid0(VALU_DEP_1)
	v_or_b32_e32 v117, v96, v30
.LBB2_709:                              ;   in Loop: Header=BB2_129 Depth=2
	s_or_b32 exec_lo, exec_lo, s42
                                        ; implicit-def: $vgpr30
.LBB2_710:                              ;   in Loop: Header=BB2_129 Depth=2
	s_and_not1_saveexec_b32 s11, s41
; %bb.711:                              ;   in Loop: Header=BB2_129 Depth=2
	v_or_b32_e32 v117, 0x7b, v30
; %bb.712:                              ;   in Loop: Header=BB2_129 Depth=2
	s_or_b32 exec_lo, exec_lo, s11
                                        ; implicit-def: $vgpr98
                                        ; implicit-def: $vgpr96_vgpr97
                                        ; implicit-def: $vgpr30
.LBB2_713:                              ;   in Loop: Header=BB2_129 Depth=2
	s_and_not1_saveexec_b32 s11, s40
	s_cbranch_execz .LBB2_719
; %bb.714:                              ;   in Loop: Header=BB2_129 Depth=2
	s_mov_b32 s40, exec_lo
                                        ; implicit-def: $vgpr117
	v_cmpx_ne_u64_e32 0, v[96:97]
	s_xor_b32 s40, exec_lo, s40
; %bb.715:                              ;   in Loop: Header=BB2_129 Depth=2
	v_or_b32_e32 v117, 0x7f, v30
                                        ; implicit-def: $vgpr98
; %bb.716:                              ;   in Loop: Header=BB2_129 Depth=2
	s_and_not1_saveexec_b32 s40, s40
; %bb.717:                              ;   in Loop: Header=BB2_129 Depth=2
	v_cmp_lt_i32_e32 vcc_lo, -1, v98
	v_cndmask_b32_e32 v117, 0xfc, v63, vcc_lo
; %bb.718:                              ;   in Loop: Header=BB2_129 Depth=2
	s_or_b32 exec_lo, exec_lo, s40
.LBB2_719:                              ;   in Loop: Header=BB2_129 Depth=2
	s_delay_alu instid0(SALU_CYCLE_1)
	s_or_b32 exec_lo, exec_lo, s11
	v_mov_b32_e32 v96, 0
	s_mov_b32 s11, exec_lo
	v_cmpx_lt_u32_e32 0xffffff, v34
	s_cbranch_execz .LBB2_729
; %bb.720:                              ;   in Loop: Header=BB2_129 Depth=2
	v_lshrrev_b32_e32 v30, 24, v34
	v_bfrev_b32_e32 v96, 1
	s_mov_b32 s40, exec_lo
	s_delay_alu instid0(VALU_DEP_2)
	v_cmpx_ne_u32_e32 0x80, v30
	s_cbranch_execz .LBB2_728
; %bb.721:                              ;   in Loop: Header=BB2_129 Depth=2
	v_and_b32_e32 v96, 0x7c000000, v34
	v_bfe_u32 v97, v34, 24, 2
	s_delay_alu instid0(VALU_DEP_2) | instskip(SKIP_1) | instid1(SALU_CYCLE_1)
	v_cmp_ne_u32_e32 vcc_lo, 0x7c000000, v96
                                        ; implicit-def: $vgpr96
	s_and_saveexec_b32 s41, vcc_lo
	s_xor_b32 s41, exec_lo, s41
	s_cbranch_execz .LBB2_725
; %bb.722:                              ;   in Loop: Header=BB2_129 Depth=2
	v_bfe_u32 v96, v34, 26, 5
	s_mov_b32 s42, exec_lo
	s_delay_alu instid0(VALU_DEP_1)
	v_cmpx_eq_u32_e32 0, v96
; %bb.723:                              ;   in Loop: Header=BB2_129 Depth=2
	v_clz_i32_u32_e32 v96, v97
	s_delay_alu instid0(VALU_DEP_1) | instskip(NEXT) | instid1(VALU_DEP_1)
	v_min_u32_e32 v96, 32, v96
	v_subrev_nc_u32_e32 v97, 29, v96
	s_delay_alu instid0(VALU_DEP_1) | instskip(NEXT) | instid1(VALU_DEP_1)
	v_lshlrev_b64_e32 v[98:99], v97, v[30:31]
	v_dual_sub_nc_u32 v96, 30, v96 :: v_dual_bitop2_b32 v97, 3, v98 bitop3:0x40
; %bb.724:                              ;   in Loop: Header=BB2_129 Depth=2
	s_or_b32 exec_lo, exec_lo, s42
	v_and_b32_e32 v30, 0x80000000, v34
	s_delay_alu instid0(VALU_DEP_1) | instskip(NEXT) | instid1(VALU_DEP_1)
	v_lshl_add_u32 v30, v96, 23, v30
	v_lshl_or_b32 v30, v97, 21, v30
                                        ; implicit-def: $vgpr97
	s_delay_alu instid0(VALU_DEP_1)
	v_add_nc_u32_e32 v96, 0x38000000, v30
.LBB2_725:                              ;   in Loop: Header=BB2_129 Depth=2
	s_and_not1_saveexec_b32 s41, s41
; %bb.726:                              ;   in Loop: Header=BB2_129 Depth=2
	v_cmp_lt_i32_e32 vcc_lo, -1, v34
	v_cndmask_b32_e32 v30, 0xff800000, v62, vcc_lo
	v_cmp_eq_u32_e32 vcc_lo, 0, v97
	s_delay_alu instid0(VALU_DEP_2)
	v_cndmask_b32_e32 v96, 0x7f800001, v30, vcc_lo
; %bb.727:                              ;   in Loop: Header=BB2_129 Depth=2
	s_or_b32 exec_lo, exec_lo, s41
.LBB2_728:                              ;   in Loop: Header=BB2_129 Depth=2
	s_delay_alu instid0(SALU_CYCLE_1)
	s_or_b32 exec_lo, exec_lo, s40
.LBB2_729:                              ;   in Loop: Header=BB2_129 Depth=2
	s_delay_alu instid0(SALU_CYCLE_1) | instskip(SKIP_3) | instid1(VALU_DEP_2)
	s_or_b32 exec_lo, exec_lo, s11
	v_bfe_u32 v34, v10, 24, 2
	v_bfe_u32 v101, v10, 26, 5
                                        ; implicit-def: $vgpr40
	s_mov_b32 s11, exec_lo
	v_clz_i32_u32_e32 v30, v34
	s_delay_alu instid0(VALU_DEP_2) | instskip(NEXT) | instid1(VALU_DEP_2)
	v_cmp_eq_u32_e32 vcc_lo, 0, v101
	v_min_u32_e32 v97, 32, v30
	v_lshrrev_b32_e32 v30, 24, v10
	s_delay_alu instid0(VALU_DEP_2) | instskip(SKIP_1) | instid1(VALU_DEP_2)
	v_subrev_nc_u32_e32 v98, 29, v97
	v_sub_nc_u32_e32 v97, 30, v97
	v_lshlrev_b64_e32 v[98:99], v98, v[30:31]
	v_and_b32_e32 v99, 0x80000000, v10
	s_delay_alu instid0(VALU_DEP_2) | instskip(NEXT) | instid1(VALU_DEP_1)
	v_dual_cndmask_b32 v97, v101, v97, vcc_lo :: v_dual_bitop2_b32 v98, 3, v98 bitop3:0x40
	v_lshl_add_u32 v97, v97, 23, v99
	s_delay_alu instid0(VALU_DEP_2) | instskip(SKIP_1) | instid1(VALU_DEP_2)
	v_cndmask_b32_e32 v98, v34, v98, vcc_lo
	v_cmp_lt_i32_e32 vcc_lo, -1, v10
	v_lshl_or_b32 v97, v98, 21, v97
	v_cndmask_b32_e32 v99, 0xff800000, v62, vcc_lo
	v_and_b32_e32 v98, 0x7c000000, v10
	v_cmp_eq_u32_e32 vcc_lo, 0, v34
	s_delay_alu instid0(VALU_DEP_4) | instskip(NEXT) | instid1(VALU_DEP_4)
	v_add_nc_u32_e32 v97, 0x38000000, v97
	v_dual_cndmask_b32 v34, 0x7f800001, v99 :: v_dual_mov_b32 v99, v35
	s_delay_alu instid0(VALU_DEP_4) | instskip(NEXT) | instid1(VALU_DEP_2)
	v_cmp_eq_u32_e32 vcc_lo, 0x7c000000, v98
	v_cndmask_b32_e32 v34, v97, v34, vcc_lo
	v_cmp_ne_u32_e32 vcc_lo, 0x80, v30
	s_delay_alu instid0(VALU_DEP_2) | instskip(SKIP_1) | instid1(VALU_DEP_2)
	v_cndmask_b32_e32 v30, 0x80000000, v34, vcc_lo
	v_cmp_lt_u32_e32 vcc_lo, 0xffffff, v10
	v_cndmask_b32_e32 v30, 0, v30, vcc_lo
	s_delay_alu instid0(VALU_DEP_1) | instskip(NEXT) | instid1(VALU_DEP_1)
	v_add_f32_e32 v96, v30, v96
	v_and_b32_e32 v98, 0x7f800000, v96
	v_and_b32_e32 v34, 0x7fffff, v96
	v_lshrrev_b32_e32 v30, 24, v96
	s_delay_alu instid0(VALU_DEP_3)
	v_cmpx_ne_u64_e32 0x7f800000, v[98:99]
	s_xor_b32 s40, exec_lo, s11
	s_cbranch_execz .LBB2_743
; %bb.730:                              ;   in Loop: Header=BB2_129 Depth=2
	v_and_b32_e32 v98, 0x7fffffff, v96
	v_mov_b32_e32 v99, v35
	v_and_b32_e32 v30, 0x80, v30
                                        ; implicit-def: $vgpr40
	s_mov_b32 s11, exec_lo
	s_delay_alu instid0(VALU_DEP_2)
	v_cmpx_gt_u64_e32 0x47600001, v[98:99]
	s_xor_b32 s41, exec_lo, s11
	s_cbranch_execz .LBB2_740
; %bb.731:                              ;   in Loop: Header=BB2_129 Depth=2
	v_mov_b32_e32 v40, 0
	s_mov_b32 s42, exec_lo
	v_cmpx_ne_u32_e32 0, v96
	s_cbranch_execz .LBB2_739
; %bb.732:                              ;   in Loop: Header=BB2_129 Depth=2
	v_bfe_u32 v101, v96, 23, 8
	v_or_b32_e32 v98, 0x800000, v34
	s_delay_alu instid0(VALU_DEP_2) | instskip(SKIP_1) | instid1(VALU_DEP_2)
	v_sub_nc_u32_e32 v96, 0x71, v101
	v_cmp_gt_u32_e32 vcc_lo, 0x72, v101
	v_cndmask_b32_e32 v96, 0, v96, vcc_lo
	v_cmp_eq_u32_e32 vcc_lo, 0, v101
	v_cndmask_b32_e32 v34, v98, v34, vcc_lo
	s_delay_alu instid0(VALU_DEP_3) | instskip(NEXT) | instid1(VALU_DEP_1)
	v_cndmask_b32_e64 v40, v96, 0x70, vcc_lo
	v_dual_add_nc_u32 v96, 21, v40 :: v_dual_add_nc_u32 v99, 20, v40
	s_delay_alu instid0(VALU_DEP_1) | instskip(NEXT) | instid1(VALU_DEP_2)
	v_lshlrev_b64_e64 v[96:97], v96, -1
	v_lshlrev_b64_e64 v[98:99], v99, 1
	s_delay_alu instid0(VALU_DEP_2) | instskip(NEXT) | instid1(VALU_DEP_3)
	v_bfi_b32 v73, v97, 0, 0
	v_bfi_b32 v72, v96, 0, v34
	v_lshrrev_b64 v[96:97], v40, v[34:35]
	s_delay_alu instid0(VALU_DEP_2) | instskip(NEXT) | instid1(VALU_DEP_2)
	v_cmp_eq_u64_e64 s11, v[72:73], v[98:99]
	v_mov_b64_e32 v[98:99], v[96:97]
	s_and_saveexec_b32 s43, s11
; %bb.733:                              ;   in Loop: Header=BB2_129 Depth=2
	v_bfe_u32 v34, v96, 21, 1
	s_delay_alu instid0(VALU_DEP_1) | instskip(NEXT) | instid1(VALU_DEP_1)
	v_add_nc_u64_e32 v[98:99], v[96:97], v[34:35]
	v_add_nc_u64_e32 v[98:99], -1, v[98:99]
; %bb.734:                              ;   in Loop: Header=BB2_129 Depth=2
	s_or_b32 exec_lo, exec_lo, s43
	v_add_nc_u32_e32 v34, 0xffffff81, v101
	v_lshrrev_b32_e32 v97, 23, v96
	s_mov_b32 s11, exec_lo
	s_delay_alu instid0(VALU_DEP_2) | instskip(NEXT) | instid1(VALU_DEP_1)
	v_cndmask_b32_e64 v34, v34, 0xffffff82, vcc_lo
	v_add3_u32 v99, v40, v34, v97
	v_and_b32_e32 v34, 0x1fffff, v98
                                        ; implicit-def: $vgpr98
	s_delay_alu instid0(VALU_DEP_1) | instskip(NEXT) | instid1(VALU_DEP_1)
	v_dual_add_nc_u32 v101, 14, v99 :: v_dual_add_nc_u32 v34, v34, v96
                                        ; implicit-def: $vgpr96_vgpr97
	v_cmpx_ne_u32_e32 0, v101
	s_xor_b32 s11, exec_lo, s11
; %bb.735:                              ;   in Loop: Header=BB2_129 Depth=2
	s_delay_alu instid0(VALU_DEP_2) | instskip(SKIP_1) | instid1(VALU_DEP_1)
	v_cmp_lt_u64_e32 vcc_lo, 0xffffff, v[34:35]
	v_add_nc_u32_e32 v96, 15, v99
	v_cndmask_b32_e32 v98, v101, v96, vcc_lo
	v_cndmask_b32_e64 v96, 0, 1, vcc_lo
	s_delay_alu instid0(VALU_DEP_1)
	v_lshrrev_b64 v[96:97], v96, v[34:35]
; %bb.736:                              ;   in Loop: Header=BB2_129 Depth=2
	s_and_not1_saveexec_b32 s11, s11
; %bb.737:                              ;   in Loop: Header=BB2_129 Depth=2
	v_mov_b64_e32 v[96:97], v[34:35]
	v_bfe_u32 v98, v34, 23, 1
; %bb.738:                              ;   in Loop: Header=BB2_129 Depth=2
	s_or_b32 exec_lo, exec_lo, s11
	s_delay_alu instid0(VALU_DEP_2) | instskip(NEXT) | instid1(VALU_DEP_2)
	v_lshrrev_b64 v[96:97], 21, v[96:97]
	v_cmp_gt_i32_e32 vcc_lo, 32, v98
	v_min_i32_e32 v34, 31, v98
	v_cmp_eq_u32_e64 s11, 0, v98
	s_delay_alu instid0(VALU_DEP_2) | instskip(SKIP_1) | instid1(VALU_DEP_2)
	v_dual_cndmask_b32 v97, 0, v97 :: v_dual_lshlrev_b32 v34, 2, v34
	v_cndmask_b32_e32 v96, 3, v96, vcc_lo
	v_and_b32_e32 v34, 0xfc, v34
	s_delay_alu instid0(VALU_DEP_2) | instskip(NEXT) | instid1(VALU_DEP_2)
	v_cmp_eq_u64_e32 vcc_lo, 0, v[96:97]
	v_and_or_b32 v34, v96, 3, v34
	s_and_b32 s11, s11, vcc_lo
	s_delay_alu instid0(VALU_DEP_1) | instid1(SALU_CYCLE_1)
	v_cndmask_b32_e64 v34, v34, 0, s11
	s_delay_alu instid0(VALU_DEP_1)
	v_or_b32_e32 v40, v34, v30
.LBB2_739:                              ;   in Loop: Header=BB2_129 Depth=2
	s_or_b32 exec_lo, exec_lo, s42
                                        ; implicit-def: $vgpr30
.LBB2_740:                              ;   in Loop: Header=BB2_129 Depth=2
	s_and_not1_saveexec_b32 s11, s41
; %bb.741:                              ;   in Loop: Header=BB2_129 Depth=2
	v_or_b32_e32 v40, 0x7b, v30
; %bb.742:                              ;   in Loop: Header=BB2_129 Depth=2
	s_or_b32 exec_lo, exec_lo, s11
                                        ; implicit-def: $vgpr96
                                        ; implicit-def: $vgpr30
.LBB2_743:                              ;   in Loop: Header=BB2_129 Depth=2
	s_and_not1_saveexec_b32 s11, s40
	s_cbranch_execz .LBB2_749
; %bb.744:                              ;   in Loop: Header=BB2_129 Depth=2
	s_mov_b32 s40, exec_lo
                                        ; implicit-def: $vgpr40
	v_cmpx_ne_u64_e32 0, v[34:35]
	s_xor_b32 s40, exec_lo, s40
; %bb.745:                              ;   in Loop: Header=BB2_129 Depth=2
	v_or_b32_e32 v40, 0x7f, v30
                                        ; implicit-def: $vgpr96
; %bb.746:                              ;   in Loop: Header=BB2_129 Depth=2
	s_and_not1_saveexec_b32 s40, s40
; %bb.747:                              ;   in Loop: Header=BB2_129 Depth=2
	v_cmp_lt_i32_e32 vcc_lo, -1, v96
	v_cndmask_b32_e32 v40, 0xfc, v63, vcc_lo
; %bb.748:                              ;   in Loop: Header=BB2_129 Depth=2
	s_or_b32 exec_lo, exec_lo, s40
.LBB2_749:                              ;   in Loop: Header=BB2_129 Depth=2
	s_delay_alu instid0(SALU_CYCLE_1) | instskip(SKIP_4) | instid1(VALU_DEP_2)
	s_or_b32 exec_lo, exec_lo, s11
	v_lshl_or_b32 v30, v43, 8, v100
	v_dual_lshlrev_b32 v34, 16, v45 :: v_dual_lshlrev_b32 v96, 24, v46
	v_mov_b32_e32 v98, 0
	s_mov_b32 s11, exec_lo
	v_or3_b32 v34, v34, v96, v30
	v_cmpx_ne_u32_e32 0, v100
	s_cbranch_execz .LBB2_759
; %bb.750:                              ;   in Loop: Header=BB2_129 Depth=2
	v_bfrev_b32_e32 v98, 1
	s_mov_b32 s40, exec_lo
	v_cmpx_ne_u32_e32 0x80, v100
	s_cbranch_execz .LBB2_758
; %bb.751:                              ;   in Loop: Header=BB2_129 Depth=2
	v_and_b32_e32 v97, 0x7c, v100
	v_and_b32_e32 v96, 3, v100
	s_mov_b32 s41, exec_lo
                                        ; implicit-def: $vgpr98
	s_delay_alu instid0(VALU_DEP_2)
	v_cmpx_ne_u32_e32 0x7c, v97
	s_xor_b32 s41, exec_lo, s41
	s_cbranch_execz .LBB2_755
; %bb.752:                              ;   in Loop: Header=BB2_129 Depth=2
	v_bfe_u32 v97, v100, 2, 5
	s_mov_b32 s42, exec_lo
	s_delay_alu instid0(VALU_DEP_1)
	v_cmpx_eq_u32_e32 0, v97
; %bb.753:                              ;   in Loop: Header=BB2_129 Depth=2
	v_clz_i32_u32_e32 v96, v96
	s_delay_alu instid0(VALU_DEP_1) | instskip(NEXT) | instid1(VALU_DEP_1)
	v_min_u32_e32 v98, 32, v96
	v_subrev_nc_u32_e32 v96, 29, v98
	s_delay_alu instid0(VALU_DEP_1) | instskip(NEXT) | instid1(VALU_DEP_1)
	v_lshlrev_b64_e32 v[96:97], v96, v[34:35]
	v_dual_sub_nc_u32 v97, 30, v98 :: v_dual_bitop2_b32 v96, 3, v96 bitop3:0x40
; %bb.754:                              ;   in Loop: Header=BB2_129 Depth=2
	s_or_b32 exec_lo, exec_lo, s42
	v_lshlrev_b32_e32 v98, 24, v100
                                        ; implicit-def: $vgpr100
	s_delay_alu instid0(VALU_DEP_1) | instskip(NEXT) | instid1(VALU_DEP_1)
	v_and_b32_e32 v98, 0x80000000, v98
	v_lshl_add_u32 v97, v97, 23, v98
	s_delay_alu instid0(VALU_DEP_1) | instskip(NEXT) | instid1(VALU_DEP_1)
	v_lshl_or_b32 v96, v96, 21, v97
	v_add_nc_u32_e32 v98, 0x38000000, v96
                                        ; implicit-def: $vgpr96
.LBB2_755:                              ;   in Loop: Header=BB2_129 Depth=2
	s_and_not1_saveexec_b32 s41, s41
; %bb.756:                              ;   in Loop: Header=BB2_129 Depth=2
	v_and_b32_e32 v97, 0x80, v100
	s_delay_alu instid0(VALU_DEP_1) | instskip(SKIP_2) | instid1(VALU_DEP_2)
	v_cmp_eq_u32_e32 vcc_lo, 0, v97
	v_cndmask_b32_e32 v97, 0xff800000, v62, vcc_lo
	v_cmp_eq_u32_e32 vcc_lo, 0, v96
	v_cndmask_b32_e32 v98, 0x7f800001, v97, vcc_lo
; %bb.757:                              ;   in Loop: Header=BB2_129 Depth=2
	s_or_b32 exec_lo, exec_lo, s41
.LBB2_758:                              ;   in Loop: Header=BB2_129 Depth=2
	s_delay_alu instid0(SALU_CYCLE_1)
	s_or_b32 exec_lo, exec_lo, s40
.LBB2_759:                              ;   in Loop: Header=BB2_129 Depth=2
	s_delay_alu instid0(SALU_CYCLE_1) | instskip(SKIP_4) | instid1(VALU_DEP_2)
	s_or_b32 exec_lo, exec_lo, s11
	v_and_b32_e32 v97, 0xff, v11
	v_mov_b32_e32 v96, v11
	s_mov_b32 s40, 0
	s_mov_b32 s11, exec_lo
	v_cmpx_lt_i16_e32 0x7f, v97
	s_xor_b32 s11, exec_lo, s11
	s_cbranch_execnz .LBB2_1156
; %bb.760:                              ;   in Loop: Header=BB2_129 Depth=2
	s_or_saveexec_b32 s11, s11
	v_bfrev_b32_e32 v99, 1
	s_xor_b32 exec_lo, exec_lo, s11
	s_cbranch_execnz .LBB2_1159
.LBB2_761:                              ;   in Loop: Header=BB2_129 Depth=2
	s_or_b32 exec_lo, exec_lo, s11
	v_mov_b32_e32 v97, v35
	s_and_saveexec_b32 s11, s40
	s_cbranch_execz .LBB2_763
.LBB2_762:                              ;   in Loop: Header=BB2_129 Depth=2
	v_and_b32_e32 v99, 3, v11
	s_delay_alu instid0(VALU_DEP_1) | instskip(NEXT) | instid1(VALU_DEP_1)
	v_clz_i32_u32_e32 v100, v99
	v_min_u32_e32 v43, 32, v100
	s_delay_alu instid0(VALU_DEP_1) | instskip(NEXT) | instid1(VALU_DEP_1)
	v_subrev_nc_u32_e32 v100, 29, v43
	v_lshlrev_b64_e32 v[100:101], v100, v[96:97]
	v_bfe_u32 v101, v11, 2, 5
	v_lshlrev_b32_e32 v97, 24, v11
	v_sub_nc_u32_e32 v43, 30, v43
	s_delay_alu instid0(VALU_DEP_3) | instskip(NEXT) | instid1(VALU_DEP_3)
	v_cmp_eq_u32_e32 vcc_lo, 0, v101
	v_and_b32_e32 v97, 0x80000000, v97
	s_delay_alu instid0(VALU_DEP_3) | instskip(SKIP_1) | instid1(VALU_DEP_2)
	v_dual_cndmask_b32 v101, v101, v43, vcc_lo :: v_dual_bitop2_b32 v100, 3, v100 bitop3:0x40
	v_bfe_i32 v43, v11, 0, 8
	v_cndmask_b32_e32 v100, v99, v100, vcc_lo
	s_delay_alu instid0(VALU_DEP_3) | instskip(NEXT) | instid1(VALU_DEP_3)
	v_lshl_add_u32 v97, v101, 23, v97
	v_cmp_lt_i16_e32 vcc_lo, -1, v43
	s_delay_alu instid0(VALU_DEP_2) | instskip(SKIP_3) | instid1(VALU_DEP_4)
	v_lshl_or_b32 v97, v100, 21, v97
	v_cndmask_b32_e32 v101, 0xff800000, v62, vcc_lo
	v_and_b32_e32 v100, 0x7c, v11
	v_cmp_eq_u32_e32 vcc_lo, 0, v99
	v_add_nc_u32_e32 v97, 0x38000000, v97
	s_delay_alu instid0(VALU_DEP_4) | instskip(NEXT) | instid1(VALU_DEP_4)
	v_cndmask_b32_e32 v99, 0x7f800001, v101, vcc_lo
	v_cmp_eq_u32_e32 vcc_lo, 0x7c, v100
	s_delay_alu instid0(VALU_DEP_2)
	v_cndmask_b32_e32 v99, v97, v99, vcc_lo
.LBB2_763:                              ;   in Loop: Header=BB2_129 Depth=2
	s_or_b32 exec_lo, exec_lo, s11
	s_delay_alu instid0(VALU_DEP_1) | instskip(SKIP_2) | instid1(VALU_DEP_2)
	v_dual_add_f32 v101, v98, v99 :: v_dual_mov_b32 v47, v35
	v_mov_b32_e32 v99, v35
                                        ; implicit-def: $vgpr100
	s_mov_b32 s11, exec_lo
	v_and_b32_e32 v46, 0x7f800000, v101
	v_and_b32_e32 v98, 0x7fffff, v101
	v_lshrrev_b32_e32 v97, 24, v101
	s_delay_alu instid0(VALU_DEP_3)
	v_cmpx_ne_u64_e32 0x7f800000, v[46:47]
	s_xor_b32 s40, exec_lo, s11
	s_cbranch_execz .LBB2_777
; %bb.764:                              ;   in Loop: Header=BB2_129 Depth=2
	v_and_b32_e32 v46, 0x7fffffff, v101
	v_mov_b32_e32 v47, v35
	v_and_b32_e32 v97, 0x80, v97
                                        ; implicit-def: $vgpr100
	s_mov_b32 s11, exec_lo
	s_delay_alu instid0(VALU_DEP_2)
	v_cmpx_gt_u64_e32 0x47600001, v[46:47]
	s_xor_b32 s41, exec_lo, s11
	s_cbranch_execz .LBB2_774
; %bb.765:                              ;   in Loop: Header=BB2_129 Depth=2
	v_mov_b32_e32 v100, 0
	s_mov_b32 s42, exec_lo
	v_cmpx_ne_u32_e32 0, v101
	s_cbranch_execz .LBB2_773
; %bb.766:                              ;   in Loop: Header=BB2_129 Depth=2
	v_bfe_u32 v43, v101, 23, 8
	v_or_b32_e32 v46, 0x800000, v98
	s_delay_alu instid0(VALU_DEP_2) | instskip(SKIP_1) | instid1(VALU_DEP_2)
	v_sub_nc_u32_e32 v100, 0x71, v43
	v_cmp_gt_u32_e32 vcc_lo, 0x72, v43
	v_cndmask_b32_e32 v100, 0, v100, vcc_lo
	v_cmp_eq_u32_e32 vcc_lo, 0, v43
	s_delay_alu instid0(VALU_DEP_2) | instskip(NEXT) | instid1(VALU_DEP_1)
	v_cndmask_b32_e64 v45, v100, 0x70, vcc_lo
	v_dual_cndmask_b32 v98, v46, v98, vcc_lo :: v_dual_add_nc_u32 v100, 21, v45
	v_add_nc_u32_e32 v47, 20, v45
	s_delay_alu instid0(VALU_DEP_2) | instskip(NEXT) | instid1(VALU_DEP_2)
	v_lshlrev_b64_e64 v[100:101], v100, -1
	v_lshlrev_b64_e64 v[46:47], v47, 1
	s_delay_alu instid0(VALU_DEP_2) | instskip(SKIP_1) | instid1(VALU_DEP_4)
	v_bfi_b32 v100, v100, 0, v98
	v_lshrrev_b64 v[98:99], v45, v[98:99]
	v_bfi_b32 v101, v101, 0, 0
	s_delay_alu instid0(VALU_DEP_1) | instskip(NEXT) | instid1(VALU_DEP_3)
	v_cmp_eq_u64_e64 s11, v[100:101], v[46:47]
	v_mov_b64_e32 v[100:101], v[98:99]
	s_and_saveexec_b32 s43, s11
; %bb.767:                              ;   in Loop: Header=BB2_129 Depth=2
	v_bfe_u32 v100, v98, 21, 1
	v_mov_b32_e32 v101, v35
	s_delay_alu instid0(VALU_DEP_1) | instskip(NEXT) | instid1(VALU_DEP_1)
	v_add_nc_u64_e32 v[100:101], v[98:99], v[100:101]
	v_add_nc_u64_e32 v[100:101], -1, v[100:101]
; %bb.768:                              ;   in Loop: Header=BB2_129 Depth=2
	s_or_b32 exec_lo, exec_lo, s43
	v_add_nc_u32_e32 v99, 0xffffff81, v43
	v_lshrrev_b32_e32 v101, 23, v98
	s_mov_b32 s11, exec_lo
	s_delay_alu instid0(VALU_DEP_2) | instskip(NEXT) | instid1(VALU_DEP_1)
	v_cndmask_b32_e64 v99, v99, 0xffffff82, vcc_lo
	v_add3_u32 v101, v45, v99, v101
	v_and_b32_e32 v99, 0x1fffff, v100
                                        ; implicit-def: $vgpr100
	s_delay_alu instid0(VALU_DEP_1) | instskip(SKIP_1) | instid1(VALU_DEP_2)
	v_dual_add_nc_u32 v43, 14, v101 :: v_dual_add_nc_u32 v98, v99, v98
	v_mov_b32_e32 v99, v35
	v_cmpx_ne_u32_e32 0, v43
	s_xor_b32 s11, exec_lo, s11
; %bb.769:                              ;   in Loop: Header=BB2_129 Depth=2
	s_delay_alu instid0(VALU_DEP_2) | instskip(SKIP_2) | instid1(VALU_DEP_2)
	v_cmp_lt_u64_e32 vcc_lo, 0xffffff, v[98:99]
	v_add_nc_u32_e32 v100, 15, v101
	v_cndmask_b32_e64 v101, 0, 1, vcc_lo
	v_cndmask_b32_e32 v100, v43, v100, vcc_lo
	s_delay_alu instid0(VALU_DEP_2)
	v_lshrrev_b64 v[98:99], v101, v[98:99]
; %bb.770:                              ;   in Loop: Header=BB2_129 Depth=2
	s_and_not1_saveexec_b32 s11, s11
; %bb.771:                              ;   in Loop: Header=BB2_129 Depth=2
	s_delay_alu instid0(VALU_DEP_1)
	v_bfe_u32 v100, v98, 23, 1
; %bb.772:                              ;   in Loop: Header=BB2_129 Depth=2
	s_or_b32 exec_lo, exec_lo, s11
	s_delay_alu instid0(VALU_DEP_2) | instskip(NEXT) | instid1(VALU_DEP_2)
	v_lshrrev_b64 v[98:99], 21, v[98:99]
	v_cmp_gt_i32_e32 vcc_lo, 32, v100
	v_min_i32_e32 v101, 31, v100
	v_cmp_eq_u32_e64 s11, 0, v100
	s_delay_alu instid0(VALU_DEP_2) | instskip(SKIP_1) | instid1(VALU_DEP_2)
	v_dual_cndmask_b32 v99, 0, v99, vcc_lo :: v_dual_lshlrev_b32 v101, 2, v101
	v_cndmask_b32_e32 v98, 3, v98, vcc_lo
	v_and_b32_e32 v101, 0xfc, v101
	s_delay_alu instid0(VALU_DEP_2) | instskip(NEXT) | instid1(VALU_DEP_2)
	v_cmp_eq_u64_e32 vcc_lo, 0, v[98:99]
	v_and_or_b32 v98, v98, 3, v101
	s_and_b32 s11, s11, vcc_lo
	s_delay_alu instid0(VALU_DEP_1) | instid1(SALU_CYCLE_1)
	v_cndmask_b32_e64 v98, v98, 0, s11
	s_delay_alu instid0(VALU_DEP_1)
	v_or_b32_e32 v100, v98, v97
.LBB2_773:                              ;   in Loop: Header=BB2_129 Depth=2
	s_or_b32 exec_lo, exec_lo, s42
                                        ; implicit-def: $vgpr97
.LBB2_774:                              ;   in Loop: Header=BB2_129 Depth=2
	s_and_not1_saveexec_b32 s11, s41
; %bb.775:                              ;   in Loop: Header=BB2_129 Depth=2
	v_or_b32_e32 v100, 0x7b, v97
; %bb.776:                              ;   in Loop: Header=BB2_129 Depth=2
	s_or_b32 exec_lo, exec_lo, s11
                                        ; implicit-def: $vgpr101
                                        ; implicit-def: $vgpr98_vgpr99
                                        ; implicit-def: $vgpr97
.LBB2_777:                              ;   in Loop: Header=BB2_129 Depth=2
	s_and_not1_saveexec_b32 s11, s40
	s_cbranch_execz .LBB2_783
; %bb.778:                              ;   in Loop: Header=BB2_129 Depth=2
	s_mov_b32 s40, exec_lo
                                        ; implicit-def: $vgpr100
	v_cmpx_ne_u64_e32 0, v[98:99]
	s_xor_b32 s40, exec_lo, s40
; %bb.779:                              ;   in Loop: Header=BB2_129 Depth=2
	v_or_b32_e32 v100, 0x7f, v97
                                        ; implicit-def: $vgpr101
; %bb.780:                              ;   in Loop: Header=BB2_129 Depth=2
	s_and_not1_saveexec_b32 s40, s40
; %bb.781:                              ;   in Loop: Header=BB2_129 Depth=2
	v_cmp_lt_i32_e32 vcc_lo, -1, v101
	v_cndmask_b32_e32 v100, 0xfc, v63, vcc_lo
; %bb.782:                              ;   in Loop: Header=BB2_129 Depth=2
	s_or_b32 exec_lo, exec_lo, s40
.LBB2_783:                              ;   in Loop: Header=BB2_129 Depth=2
	s_delay_alu instid0(SALU_CYCLE_1) | instskip(SKIP_3) | instid1(VALU_DEP_2)
	s_or_b32 exec_lo, exec_lo, s11
	v_lshrrev_b16 v98, 8, v30
	v_mov_b32_e32 v97, 0
	s_mov_b32 s11, exec_lo
	v_cmpx_ne_u16_e32 0, v98
	s_cbranch_execz .LBB2_793
; %bb.784:                              ;   in Loop: Header=BB2_129 Depth=2
	v_bfrev_b32_e32 v97, 1
	s_mov_b32 s40, exec_lo
	v_cmpx_ne_u16_e32 0x80, v98
	s_cbranch_execz .LBB2_792
; %bb.785:                              ;   in Loop: Header=BB2_129 Depth=2
	v_and_b32_e32 v101, 0xffff, v98
	s_delay_alu instid0(VALU_DEP_1) | instskip(SKIP_1) | instid1(VALU_DEP_2)
	v_and_b32_e32 v97, 0x7c, v101
	v_and_b32_e32 v99, 3, v101
	v_cmp_ne_u32_e32 vcc_lo, 0x7c, v97
                                        ; implicit-def: $vgpr97
	s_and_saveexec_b32 s41, vcc_lo
	s_delay_alu instid0(SALU_CYCLE_1)
	s_xor_b32 s41, exec_lo, s41
	s_cbranch_execz .LBB2_789
; %bb.786:                              ;   in Loop: Header=BB2_129 Depth=2
	v_bfe_u32 v97, v101, 2, 5
	s_mov_b32 s42, exec_lo
	s_delay_alu instid0(VALU_DEP_1)
	v_cmpx_eq_u32_e32 0, v97
	s_cbranch_execz .LBB2_788
; %bb.787:                              ;   in Loop: Header=BB2_129 Depth=2
	v_clz_i32_u32_e32 v97, v99
	s_delay_alu instid0(VALU_DEP_1) | instskip(SKIP_1) | instid1(VALU_DEP_2)
	v_min_u32_e32 v97, 32, v97
	v_mov_b32_e32 v99, v35
	v_subrev_nc_u32_e32 v101, 29, v97
	v_sub_nc_u32_e32 v97, 30, v97
	s_delay_alu instid0(VALU_DEP_2) | instskip(NEXT) | instid1(VALU_DEP_1)
	v_lshlrev_b64_e32 v[98:99], v101, v[98:99]
	v_and_b32_e32 v99, 3, v98
.LBB2_788:                              ;   in Loop: Header=BB2_129 Depth=2
	s_or_b32 exec_lo, exec_lo, s42
	v_lshlrev_b32_e32 v30, 16, v30
	s_delay_alu instid0(VALU_DEP_1) | instskip(NEXT) | instid1(VALU_DEP_1)
	v_and_b32_e32 v30, 0x80000000, v30
	v_lshl_add_u32 v30, v97, 23, v30
	s_delay_alu instid0(VALU_DEP_1) | instskip(NEXT) | instid1(VALU_DEP_1)
	v_lshl_or_b32 v30, v99, 21, v30
                                        ; implicit-def: $vgpr99
	v_add_nc_u32_e32 v97, 0x38000000, v30
                                        ; implicit-def: $vgpr30
.LBB2_789:                              ;   in Loop: Header=BB2_129 Depth=2
	s_and_not1_saveexec_b32 s41, s41
; %bb.790:                              ;   in Loop: Header=BB2_129 Depth=2
	v_cmp_lt_i16_e32 vcc_lo, -1, v30
	v_cndmask_b32_e32 v30, 0xff800000, v62, vcc_lo
	v_cmp_eq_u32_e32 vcc_lo, 0, v99
	s_delay_alu instid0(VALU_DEP_2)
	v_cndmask_b32_e32 v97, 0x7f800001, v30, vcc_lo
; %bb.791:                              ;   in Loop: Header=BB2_129 Depth=2
	s_or_b32 exec_lo, exec_lo, s41
.LBB2_792:                              ;   in Loop: Header=BB2_129 Depth=2
	s_delay_alu instid0(SALU_CYCLE_1)
	s_or_b32 exec_lo, exec_lo, s40
.LBB2_793:                              ;   in Loop: Header=BB2_129 Depth=2
	s_delay_alu instid0(SALU_CYCLE_1) | instskip(SKIP_3) | instid1(VALU_DEP_1)
	s_or_b32 exec_lo, exec_lo, s11
	v_lshrrev_b16 v98, 8, v96
	s_mov_b32 s40, 0
	s_mov_b32 s11, exec_lo
	v_cmpx_lt_i16_e32 0x7f, v98
	s_xor_b32 s11, exec_lo, s11
	s_cbranch_execnz .LBB2_1160
; %bb.794:                              ;   in Loop: Header=BB2_129 Depth=2
	s_or_saveexec_b32 s11, s11
	v_bfrev_b32_e32 v30, 1
	s_xor_b32 exec_lo, exec_lo, s11
	s_cbranch_execnz .LBB2_1163
.LBB2_795:                              ;   in Loop: Header=BB2_129 Depth=2
	s_or_b32 exec_lo, exec_lo, s11
	s_and_saveexec_b32 s11, s40
	s_cbranch_execz .LBB2_797
.LBB2_796:                              ;   in Loop: Header=BB2_129 Depth=2
	v_and_b32_e32 v30, 0xffff, v98
	s_delay_alu instid0(VALU_DEP_1) | instskip(NEXT) | instid1(VALU_DEP_1)
	v_and_b32_e32 v101, 3, v30
	v_clz_i32_u32_e32 v99, v101
	s_delay_alu instid0(VALU_DEP_1) | instskip(SKIP_1) | instid1(VALU_DEP_2)
	v_min_u32_e32 v43, 32, v99
	v_mov_b32_e32 v99, v35
	v_subrev_nc_u32_e32 v45, 29, v43
	v_sub_nc_u32_e32 v43, 30, v43
	s_delay_alu instid0(VALU_DEP_2) | instskip(SKIP_3) | instid1(VALU_DEP_3)
	v_lshlrev_b64_e32 v[46:47], v45, v[98:99]
	v_bfe_u32 v99, v30, 2, 5
	v_lshlrev_b32_e32 v98, 24, v98
	v_and_b32_e32 v30, 0x7c, v30
	v_cmp_eq_u32_e32 vcc_lo, 0, v99
	s_delay_alu instid0(VALU_DEP_3) | instskip(SKIP_1) | instid1(VALU_DEP_1)
	v_and_b32_e32 v98, 0x80000000, v98
	v_dual_cndmask_b32 v99, v99, v43, vcc_lo :: v_dual_bitop2_b32 v45, 3, v46 bitop3:0x40
	v_cndmask_b32_e32 v43, v101, v45, vcc_lo
	v_cmp_lt_i16_e32 vcc_lo, -1, v96
	s_delay_alu instid0(VALU_DEP_3) | instskip(SKIP_2) | instid1(VALU_DEP_3)
	v_lshl_add_u32 v98, v99, 23, v98
	v_cndmask_b32_e32 v96, 0xff800000, v62, vcc_lo
	v_cmp_eq_u32_e32 vcc_lo, 0, v101
	v_lshl_or_b32 v98, v43, 21, v98
	s_delay_alu instid0(VALU_DEP_3) | instskip(NEXT) | instid1(VALU_DEP_2)
	v_cndmask_b32_e32 v96, 0x7f800001, v96, vcc_lo
	v_add_nc_u32_e32 v98, 0x38000000, v98
	v_cmp_eq_u32_e32 vcc_lo, 0x7c, v30
	s_delay_alu instid0(VALU_DEP_2)
	v_cndmask_b32_e32 v30, v98, v96, vcc_lo
.LBB2_797:                              ;   in Loop: Header=BB2_129 Depth=2
	s_or_b32 exec_lo, exec_lo, s11
	s_delay_alu instid0(VALU_DEP_1) | instskip(SKIP_2) | instid1(VALU_DEP_2)
	v_dual_add_f32 v98, v97, v30 :: v_dual_mov_b32 v47, v35
	v_mov_b32_e32 v97, v35
                                        ; implicit-def: $vgpr101
	s_mov_b32 s11, exec_lo
	v_and_b32_e32 v46, 0x7f800000, v98
	v_and_b32_e32 v96, 0x7fffff, v98
	v_lshrrev_b32_e32 v30, 24, v98
	s_delay_alu instid0(VALU_DEP_3)
	v_cmpx_ne_u64_e32 0x7f800000, v[46:47]
	s_xor_b32 s40, exec_lo, s11
	s_cbranch_execz .LBB2_811
; %bb.798:                              ;   in Loop: Header=BB2_129 Depth=2
	v_and_b32_e32 v46, 0x7fffffff, v98
	v_mov_b32_e32 v47, v35
	v_and_b32_e32 v30, 0x80, v30
                                        ; implicit-def: $vgpr101
	s_mov_b32 s11, exec_lo
	s_delay_alu instid0(VALU_DEP_2)
	v_cmpx_gt_u64_e32 0x47600001, v[46:47]
	s_xor_b32 s41, exec_lo, s11
	s_cbranch_execz .LBB2_808
; %bb.799:                              ;   in Loop: Header=BB2_129 Depth=2
	v_mov_b32_e32 v101, 0
	s_mov_b32 s42, exec_lo
	v_cmpx_ne_u32_e32 0, v98
	s_cbranch_execz .LBB2_807
; %bb.800:                              ;   in Loop: Header=BB2_129 Depth=2
	v_bfe_u32 v101, v98, 23, 8
	v_or_b32_e32 v45, 0x800000, v96
	s_delay_alu instid0(VALU_DEP_2) | instskip(SKIP_1) | instid1(VALU_DEP_2)
	v_sub_nc_u32_e32 v98, 0x71, v101
	v_cmp_gt_u32_e32 vcc_lo, 0x72, v101
	v_cndmask_b32_e32 v98, 0, v98, vcc_lo
	v_cmp_eq_u32_e32 vcc_lo, 0, v101
	s_delay_alu instid0(VALU_DEP_2) | instskip(NEXT) | instid1(VALU_DEP_1)
	v_cndmask_b32_e64 v43, v98, 0x70, vcc_lo
	v_dual_cndmask_b32 v96, v45, v96, vcc_lo :: v_dual_add_nc_u32 v98, 21, v43
	v_add_nc_u32_e32 v46, 20, v43
	s_delay_alu instid0(VALU_DEP_2) | instskip(NEXT) | instid1(VALU_DEP_2)
	v_lshlrev_b64_e64 v[98:99], v98, -1
	v_lshlrev_b64_e64 v[46:47], v46, 1
	s_delay_alu instid0(VALU_DEP_2) | instskip(SKIP_1) | instid1(VALU_DEP_4)
	v_bfi_b32 v98, v98, 0, v96
	v_lshrrev_b64 v[96:97], v43, v[96:97]
	v_bfi_b32 v99, v99, 0, 0
	s_delay_alu instid0(VALU_DEP_1) | instskip(NEXT) | instid1(VALU_DEP_3)
	v_cmp_eq_u64_e64 s11, v[98:99], v[46:47]
	v_mov_b64_e32 v[98:99], v[96:97]
	s_and_saveexec_b32 s43, s11
; %bb.801:                              ;   in Loop: Header=BB2_129 Depth=2
	v_bfe_u32 v98, v96, 21, 1
	v_mov_b32_e32 v99, v35
	s_delay_alu instid0(VALU_DEP_1) | instskip(NEXT) | instid1(VALU_DEP_1)
	v_add_nc_u64_e32 v[98:99], v[96:97], v[98:99]
	v_add_nc_u64_e32 v[98:99], -1, v[98:99]
; %bb.802:                              ;   in Loop: Header=BB2_129 Depth=2
	s_or_b32 exec_lo, exec_lo, s43
	v_add_nc_u32_e32 v97, 0xffffff81, v101
	v_lshrrev_b32_e32 v99, 23, v96
	s_mov_b32 s11, exec_lo
	s_delay_alu instid0(VALU_DEP_2) | instskip(NEXT) | instid1(VALU_DEP_1)
	v_cndmask_b32_e64 v97, v97, 0xffffff82, vcc_lo
	v_add3_u32 v99, v43, v97, v99
	v_and_b32_e32 v97, 0x1fffff, v98
                                        ; implicit-def: $vgpr98
	s_delay_alu instid0(VALU_DEP_1) | instskip(SKIP_1) | instid1(VALU_DEP_2)
	v_dual_add_nc_u32 v101, 14, v99 :: v_dual_add_nc_u32 v96, v97, v96
	v_mov_b32_e32 v97, v35
	v_cmpx_ne_u32_e32 0, v101
	s_xor_b32 s11, exec_lo, s11
; %bb.803:                              ;   in Loop: Header=BB2_129 Depth=2
	s_delay_alu instid0(VALU_DEP_2) | instskip(SKIP_2) | instid1(VALU_DEP_2)
	v_cmp_lt_u64_e32 vcc_lo, 0xffffff, v[96:97]
	v_add_nc_u32_e32 v98, 15, v99
	v_cndmask_b32_e64 v99, 0, 1, vcc_lo
	v_cndmask_b32_e32 v98, v101, v98, vcc_lo
	s_delay_alu instid0(VALU_DEP_2)
	v_lshrrev_b64 v[96:97], v99, v[96:97]
; %bb.804:                              ;   in Loop: Header=BB2_129 Depth=2
	s_and_not1_saveexec_b32 s11, s11
; %bb.805:                              ;   in Loop: Header=BB2_129 Depth=2
	s_delay_alu instid0(VALU_DEP_1)
	v_bfe_u32 v98, v96, 23, 1
; %bb.806:                              ;   in Loop: Header=BB2_129 Depth=2
	s_or_b32 exec_lo, exec_lo, s11
	s_delay_alu instid0(VALU_DEP_2) | instskip(NEXT) | instid1(VALU_DEP_2)
	v_lshrrev_b64 v[96:97], 21, v[96:97]
	v_cmp_gt_i32_e32 vcc_lo, 32, v98
	v_min_i32_e32 v99, 31, v98
	v_cmp_eq_u32_e64 s11, 0, v98
	s_delay_alu instid0(VALU_DEP_2) | instskip(SKIP_1) | instid1(VALU_DEP_2)
	v_dual_cndmask_b32 v97, 0, v97, vcc_lo :: v_dual_lshlrev_b32 v99, 2, v99
	v_cndmask_b32_e32 v96, 3, v96, vcc_lo
	v_and_b32_e32 v99, 0xfc, v99
	s_delay_alu instid0(VALU_DEP_2) | instskip(NEXT) | instid1(VALU_DEP_2)
	v_cmp_eq_u64_e32 vcc_lo, 0, v[96:97]
	v_and_or_b32 v96, v96, 3, v99
	s_and_b32 s11, s11, vcc_lo
	s_delay_alu instid0(VALU_DEP_1) | instid1(SALU_CYCLE_1)
	v_cndmask_b32_e64 v96, v96, 0, s11
	s_delay_alu instid0(VALU_DEP_1)
	v_or_b32_e32 v101, v96, v30
.LBB2_807:                              ;   in Loop: Header=BB2_129 Depth=2
	s_or_b32 exec_lo, exec_lo, s42
                                        ; implicit-def: $vgpr30
.LBB2_808:                              ;   in Loop: Header=BB2_129 Depth=2
	s_and_not1_saveexec_b32 s11, s41
; %bb.809:                              ;   in Loop: Header=BB2_129 Depth=2
	v_or_b32_e32 v101, 0x7b, v30
; %bb.810:                              ;   in Loop: Header=BB2_129 Depth=2
	s_or_b32 exec_lo, exec_lo, s11
                                        ; implicit-def: $vgpr98
                                        ; implicit-def: $vgpr96_vgpr97
                                        ; implicit-def: $vgpr30
.LBB2_811:                              ;   in Loop: Header=BB2_129 Depth=2
	s_and_not1_saveexec_b32 s11, s40
	s_cbranch_execz .LBB2_817
; %bb.812:                              ;   in Loop: Header=BB2_129 Depth=2
	s_mov_b32 s40, exec_lo
                                        ; implicit-def: $vgpr101
	v_cmpx_ne_u64_e32 0, v[96:97]
	s_xor_b32 s40, exec_lo, s40
; %bb.813:                              ;   in Loop: Header=BB2_129 Depth=2
	v_or_b32_e32 v101, 0x7f, v30
                                        ; implicit-def: $vgpr98
; %bb.814:                              ;   in Loop: Header=BB2_129 Depth=2
	s_and_not1_saveexec_b32 s40, s40
; %bb.815:                              ;   in Loop: Header=BB2_129 Depth=2
	v_cmp_lt_i32_e32 vcc_lo, -1, v98
	v_cndmask_b32_e32 v101, 0xfc, v63, vcc_lo
; %bb.816:                              ;   in Loop: Header=BB2_129 Depth=2
	s_or_b32 exec_lo, exec_lo, s40
.LBB2_817:                              ;   in Loop: Header=BB2_129 Depth=2
	s_delay_alu instid0(SALU_CYCLE_1) | instskip(SKIP_2) | instid1(VALU_DEP_1)
	s_or_b32 exec_lo, exec_lo, s11
	v_dual_lshrrev_b32 v30, 16, v34 :: v_dual_mov_b32 v96, 0
	s_mov_b32 s11, exec_lo
	v_and_b32_e32 v97, 0xff, v30
	s_delay_alu instid0(VALU_DEP_1)
	v_cmpx_ne_u16_e32 0, v97
	s_cbranch_execz .LBB2_827
; %bb.818:                              ;   in Loop: Header=BB2_129 Depth=2
	v_bfrev_b32_e32 v96, 1
	s_mov_b32 s40, exec_lo
	v_cmpx_ne_u16_e32 0x80, v97
	s_cbranch_execz .LBB2_826
; %bb.819:                              ;   in Loop: Header=BB2_129 Depth=2
	v_and_b32_e32 v96, 0x7c0000, v34
	v_bfe_u32 v97, v34, 16, 2
	s_delay_alu instid0(VALU_DEP_2) | instskip(SKIP_1) | instid1(SALU_CYCLE_1)
	v_cmp_ne_u32_e32 vcc_lo, 0x7c0000, v96
                                        ; implicit-def: $vgpr96
	s_and_saveexec_b32 s41, vcc_lo
	s_xor_b32 s41, exec_lo, s41
	s_cbranch_execz .LBB2_823
; %bb.820:                              ;   in Loop: Header=BB2_129 Depth=2
	v_bfe_u32 v96, v34, 18, 5
	s_mov_b32 s42, exec_lo
	s_delay_alu instid0(VALU_DEP_1)
	v_cmpx_eq_u32_e32 0, v96
; %bb.821:                              ;   in Loop: Header=BB2_129 Depth=2
	v_clz_i32_u32_e32 v96, v97
	s_delay_alu instid0(VALU_DEP_1) | instskip(NEXT) | instid1(VALU_DEP_1)
	v_min_u32_e32 v96, 32, v96
	v_subrev_nc_u32_e32 v97, 29, v96
	s_delay_alu instid0(VALU_DEP_1) | instskip(NEXT) | instid1(VALU_DEP_1)
	v_lshlrev_b64_e32 v[98:99], v97, v[30:31]
	v_dual_sub_nc_u32 v96, 30, v96 :: v_dual_bitop2_b32 v97, 3, v98 bitop3:0x40
; %bb.822:                              ;   in Loop: Header=BB2_129 Depth=2
	s_or_b32 exec_lo, exec_lo, s42
	v_lshlrev_b32_e32 v30, 24, v30
	s_delay_alu instid0(VALU_DEP_1) | instskip(NEXT) | instid1(VALU_DEP_1)
	v_and_b32_e32 v30, 0x80000000, v30
	v_lshl_add_u32 v30, v96, 23, v30
	s_delay_alu instid0(VALU_DEP_1) | instskip(NEXT) | instid1(VALU_DEP_1)
	v_lshl_or_b32 v30, v97, 21, v30
                                        ; implicit-def: $vgpr97
	v_add_nc_u32_e32 v96, 0x38000000, v30
                                        ; implicit-def: $vgpr30
.LBB2_823:                              ;   in Loop: Header=BB2_129 Depth=2
	s_and_not1_saveexec_b32 s41, s41
; %bb.824:                              ;   in Loop: Header=BB2_129 Depth=2
	v_bfe_i32 v30, v30, 0, 8
	s_delay_alu instid0(VALU_DEP_1) | instskip(SKIP_2) | instid1(VALU_DEP_2)
	v_cmp_lt_i16_e32 vcc_lo, -1, v30
	v_cndmask_b32_e32 v30, 0xff800000, v62, vcc_lo
	v_cmp_eq_u32_e32 vcc_lo, 0, v97
	v_cndmask_b32_e32 v96, 0x7f800001, v30, vcc_lo
; %bb.825:                              ;   in Loop: Header=BB2_129 Depth=2
	s_or_b32 exec_lo, exec_lo, s41
.LBB2_826:                              ;   in Loop: Header=BB2_129 Depth=2
	s_delay_alu instid0(SALU_CYCLE_1)
	s_or_b32 exec_lo, exec_lo, s40
.LBB2_827:                              ;   in Loop: Header=BB2_129 Depth=2
	s_delay_alu instid0(SALU_CYCLE_1) | instskip(SKIP_3) | instid1(VALU_DEP_1)
	s_or_b32 exec_lo, exec_lo, s11
	v_lshrrev_b32_e32 v30, 16, v11
	s_mov_b32 s40, 0
	s_mov_b32 s11, exec_lo
	v_and_b32_e32 v98, 0xff, v30
	s_delay_alu instid0(VALU_DEP_1)
	v_cmpx_lt_i16_e32 0x7f, v98
	s_xor_b32 s11, exec_lo, s11
	s_cbranch_execnz .LBB2_1164
; %bb.828:                              ;   in Loop: Header=BB2_129 Depth=2
	s_or_saveexec_b32 s11, s11
	v_bfrev_b32_e32 v97, 1
	s_xor_b32 exec_lo, exec_lo, s11
	s_cbranch_execnz .LBB2_1167
.LBB2_829:                              ;   in Loop: Header=BB2_129 Depth=2
	s_or_b32 exec_lo, exec_lo, s11
	s_and_saveexec_b32 s11, s40
	s_cbranch_execz .LBB2_831
.LBB2_830:                              ;   in Loop: Header=BB2_129 Depth=2
	v_and_b32_e32 v97, 3, v30
	v_bfe_u32 v45, v11, 18, 5
	s_delay_alu instid0(VALU_DEP_2) | instskip(NEXT) | instid1(VALU_DEP_2)
	v_clz_i32_u32_e32 v98, v97
	v_cmp_eq_u32_e32 vcc_lo, 0, v45
	s_delay_alu instid0(VALU_DEP_2) | instskip(NEXT) | instid1(VALU_DEP_1)
	v_min_u32_e32 v43, 32, v98
	v_subrev_nc_u32_e32 v98, 29, v43
	s_delay_alu instid0(VALU_DEP_1) | instskip(SKIP_2) | instid1(VALU_DEP_2)
	v_lshlrev_b64_e32 v[98:99], v98, v[30:31]
	v_dual_lshlrev_b32 v99, 24, v30 :: v_dual_sub_nc_u32 v43, 30, v43
	v_bfe_i32 v30, v30, 0, 8
	v_and_b32_e32 v99, 0x80000000, v99
	s_delay_alu instid0(VALU_DEP_3) | instskip(NEXT) | instid1(VALU_DEP_1)
	v_dual_cndmask_b32 v43, v45, v43, vcc_lo :: v_dual_bitop2_b32 v98, 3, v98 bitop3:0x40
	v_cndmask_b32_e32 v98, v97, v98, vcc_lo
	s_delay_alu instid0(VALU_DEP_2) | instskip(SKIP_1) | instid1(VALU_DEP_2)
	v_lshl_add_u32 v99, v43, 23, v99
	v_cmp_lt_i16_e32 vcc_lo, -1, v30
	v_lshl_or_b32 v98, v98, 21, v99
	v_cndmask_b32_e32 v30, 0xff800000, v62, vcc_lo
	v_and_b32_e32 v99, 0x7c0000, v11
	v_cmp_eq_u32_e32 vcc_lo, 0, v97
	s_delay_alu instid0(VALU_DEP_4) | instskip(NEXT) | instid1(VALU_DEP_4)
	v_add_nc_u32_e32 v97, 0x38000000, v98
	v_cndmask_b32_e32 v30, 0x7f800001, v30, vcc_lo
	s_delay_alu instid0(VALU_DEP_4) | instskip(NEXT) | instid1(VALU_DEP_2)
	v_cmp_eq_u32_e32 vcc_lo, 0x7c0000, v99
	v_cndmask_b32_e32 v97, v97, v30, vcc_lo
.LBB2_831:                              ;   in Loop: Header=BB2_129 Depth=2
	s_or_b32 exec_lo, exec_lo, s11
	s_delay_alu instid0(VALU_DEP_1) | instskip(SKIP_2) | instid1(VALU_DEP_2)
	v_dual_add_f32 v98, v96, v97 :: v_dual_mov_b32 v47, v35
	v_mov_b32_e32 v97, v35
                                        ; implicit-def: $vgpr43
	s_mov_b32 s11, exec_lo
	v_and_b32_e32 v46, 0x7f800000, v98
	v_and_b32_e32 v96, 0x7fffff, v98
	v_lshrrev_b32_e32 v30, 24, v98
	s_delay_alu instid0(VALU_DEP_3)
	v_cmpx_ne_u64_e32 0x7f800000, v[46:47]
	s_xor_b32 s40, exec_lo, s11
	s_cbranch_execz .LBB2_845
; %bb.832:                              ;   in Loop: Header=BB2_129 Depth=2
	v_and_b32_e32 v46, 0x7fffffff, v98
	v_mov_b32_e32 v47, v35
	v_and_b32_e32 v30, 0x80, v30
                                        ; implicit-def: $vgpr43
	s_mov_b32 s11, exec_lo
	s_delay_alu instid0(VALU_DEP_2)
	v_cmpx_gt_u64_e32 0x47600001, v[46:47]
	s_xor_b32 s41, exec_lo, s11
	s_cbranch_execz .LBB2_842
; %bb.833:                              ;   in Loop: Header=BB2_129 Depth=2
	v_mov_b32_e32 v43, 0
	s_mov_b32 s42, exec_lo
	v_cmpx_ne_u32_e32 0, v98
	s_cbranch_execz .LBB2_841
; %bb.834:                              ;   in Loop: Header=BB2_129 Depth=2
	v_bfe_u32 v43, v98, 23, 8
	v_or_b32_e32 v46, 0x800000, v96
	s_delay_alu instid0(VALU_DEP_2) | instskip(SKIP_1) | instid1(VALU_DEP_2)
	v_sub_nc_u32_e32 v98, 0x71, v43
	v_cmp_gt_u32_e32 vcc_lo, 0x72, v43
	v_cndmask_b32_e32 v98, 0, v98, vcc_lo
	v_cmp_eq_u32_e32 vcc_lo, 0, v43
	s_delay_alu instid0(VALU_DEP_2) | instskip(NEXT) | instid1(VALU_DEP_1)
	v_cndmask_b32_e64 v45, v98, 0x70, vcc_lo
	v_dual_cndmask_b32 v96, v46, v96, vcc_lo :: v_dual_add_nc_u32 v98, 21, v45
	v_add_nc_u32_e32 v47, 20, v45
	s_delay_alu instid0(VALU_DEP_2) | instskip(NEXT) | instid1(VALU_DEP_2)
	v_lshlrev_b64_e64 v[98:99], v98, -1
	v_lshlrev_b64_e64 v[46:47], v47, 1
	s_delay_alu instid0(VALU_DEP_2) | instskip(SKIP_1) | instid1(VALU_DEP_4)
	v_bfi_b32 v98, v98, 0, v96
	v_lshrrev_b64 v[96:97], v45, v[96:97]
	v_bfi_b32 v99, v99, 0, 0
	s_delay_alu instid0(VALU_DEP_1) | instskip(NEXT) | instid1(VALU_DEP_3)
	v_cmp_eq_u64_e64 s11, v[98:99], v[46:47]
	v_mov_b64_e32 v[98:99], v[96:97]
	s_and_saveexec_b32 s43, s11
; %bb.835:                              ;   in Loop: Header=BB2_129 Depth=2
	v_bfe_u32 v98, v96, 21, 1
	v_mov_b32_e32 v99, v35
	s_delay_alu instid0(VALU_DEP_1) | instskip(NEXT) | instid1(VALU_DEP_1)
	v_add_nc_u64_e32 v[98:99], v[96:97], v[98:99]
	v_add_nc_u64_e32 v[98:99], -1, v[98:99]
; %bb.836:                              ;   in Loop: Header=BB2_129 Depth=2
	s_or_b32 exec_lo, exec_lo, s43
	v_add_nc_u32_e32 v97, 0xffffff81, v43
	v_lshrrev_b32_e32 v99, 23, v96
	s_mov_b32 s11, exec_lo
	s_delay_alu instid0(VALU_DEP_2) | instskip(NEXT) | instid1(VALU_DEP_1)
	v_cndmask_b32_e64 v97, v97, 0xffffff82, vcc_lo
	v_add3_u32 v99, v45, v97, v99
	v_and_b32_e32 v97, 0x1fffff, v98
                                        ; implicit-def: $vgpr98
	s_delay_alu instid0(VALU_DEP_1) | instskip(SKIP_1) | instid1(VALU_DEP_2)
	v_dual_add_nc_u32 v43, 14, v99 :: v_dual_add_nc_u32 v96, v97, v96
	v_mov_b32_e32 v97, v35
	v_cmpx_ne_u32_e32 0, v43
	s_xor_b32 s11, exec_lo, s11
; %bb.837:                              ;   in Loop: Header=BB2_129 Depth=2
	s_delay_alu instid0(VALU_DEP_2) | instskip(SKIP_2) | instid1(VALU_DEP_2)
	v_cmp_lt_u64_e32 vcc_lo, 0xffffff, v[96:97]
	v_add_nc_u32_e32 v98, 15, v99
	v_cndmask_b32_e64 v99, 0, 1, vcc_lo
	v_cndmask_b32_e32 v98, v43, v98, vcc_lo
	s_delay_alu instid0(VALU_DEP_2)
	v_lshrrev_b64 v[96:97], v99, v[96:97]
; %bb.838:                              ;   in Loop: Header=BB2_129 Depth=2
	s_and_not1_saveexec_b32 s11, s11
; %bb.839:                              ;   in Loop: Header=BB2_129 Depth=2
	s_delay_alu instid0(VALU_DEP_1)
	v_bfe_u32 v98, v96, 23, 1
; %bb.840:                              ;   in Loop: Header=BB2_129 Depth=2
	s_or_b32 exec_lo, exec_lo, s11
	s_delay_alu instid0(VALU_DEP_2) | instskip(NEXT) | instid1(VALU_DEP_2)
	v_lshrrev_b64 v[96:97], 21, v[96:97]
	v_cmp_gt_i32_e32 vcc_lo, 32, v98
	v_min_i32_e32 v99, 31, v98
	v_cmp_eq_u32_e64 s11, 0, v98
	s_delay_alu instid0(VALU_DEP_2) | instskip(SKIP_1) | instid1(VALU_DEP_2)
	v_dual_cndmask_b32 v97, 0, v97, vcc_lo :: v_dual_lshlrev_b32 v99, 2, v99
	v_cndmask_b32_e32 v96, 3, v96, vcc_lo
	v_and_b32_e32 v99, 0xfc, v99
	s_delay_alu instid0(VALU_DEP_2) | instskip(NEXT) | instid1(VALU_DEP_2)
	v_cmp_eq_u64_e32 vcc_lo, 0, v[96:97]
	v_and_or_b32 v96, v96, 3, v99
	s_and_b32 s11, s11, vcc_lo
	s_delay_alu instid0(VALU_DEP_1) | instid1(SALU_CYCLE_1)
	v_cndmask_b32_e64 v96, v96, 0, s11
	s_delay_alu instid0(VALU_DEP_1)
	v_or_b32_e32 v43, v96, v30
.LBB2_841:                              ;   in Loop: Header=BB2_129 Depth=2
	s_or_b32 exec_lo, exec_lo, s42
                                        ; implicit-def: $vgpr30
.LBB2_842:                              ;   in Loop: Header=BB2_129 Depth=2
	s_and_not1_saveexec_b32 s11, s41
; %bb.843:                              ;   in Loop: Header=BB2_129 Depth=2
	v_or_b32_e32 v43, 0x7b, v30
; %bb.844:                              ;   in Loop: Header=BB2_129 Depth=2
	s_or_b32 exec_lo, exec_lo, s11
                                        ; implicit-def: $vgpr98
                                        ; implicit-def: $vgpr96_vgpr97
                                        ; implicit-def: $vgpr30
.LBB2_845:                              ;   in Loop: Header=BB2_129 Depth=2
	s_and_not1_saveexec_b32 s11, s40
	s_cbranch_execz .LBB2_851
; %bb.846:                              ;   in Loop: Header=BB2_129 Depth=2
	s_mov_b32 s40, exec_lo
                                        ; implicit-def: $vgpr43
	v_cmpx_ne_u64_e32 0, v[96:97]
	s_xor_b32 s40, exec_lo, s40
; %bb.847:                              ;   in Loop: Header=BB2_129 Depth=2
	v_or_b32_e32 v43, 0x7f, v30
                                        ; implicit-def: $vgpr98
; %bb.848:                              ;   in Loop: Header=BB2_129 Depth=2
	s_and_not1_saveexec_b32 s40, s40
; %bb.849:                              ;   in Loop: Header=BB2_129 Depth=2
	v_cmp_lt_i32_e32 vcc_lo, -1, v98
	v_cndmask_b32_e32 v43, 0xfc, v63, vcc_lo
; %bb.850:                              ;   in Loop: Header=BB2_129 Depth=2
	s_or_b32 exec_lo, exec_lo, s40
.LBB2_851:                              ;   in Loop: Header=BB2_129 Depth=2
	s_delay_alu instid0(SALU_CYCLE_1)
	s_or_b32 exec_lo, exec_lo, s11
	v_mov_b32_e32 v96, 0
	s_mov_b32 s11, exec_lo
	v_cmpx_lt_u32_e32 0xffffff, v34
	s_cbranch_execz .LBB2_861
; %bb.852:                              ;   in Loop: Header=BB2_129 Depth=2
	v_lshrrev_b32_e32 v30, 24, v34
	v_bfrev_b32_e32 v96, 1
	s_mov_b32 s40, exec_lo
	s_delay_alu instid0(VALU_DEP_2)
	v_cmpx_ne_u32_e32 0x80, v30
	s_cbranch_execz .LBB2_860
; %bb.853:                              ;   in Loop: Header=BB2_129 Depth=2
	v_and_b32_e32 v96, 0x7c000000, v34
	v_bfe_u32 v97, v34, 24, 2
	s_delay_alu instid0(VALU_DEP_2) | instskip(SKIP_1) | instid1(SALU_CYCLE_1)
	v_cmp_ne_u32_e32 vcc_lo, 0x7c000000, v96
                                        ; implicit-def: $vgpr96
	s_and_saveexec_b32 s41, vcc_lo
	s_xor_b32 s41, exec_lo, s41
	s_cbranch_execz .LBB2_857
; %bb.854:                              ;   in Loop: Header=BB2_129 Depth=2
	v_bfe_u32 v96, v34, 26, 5
	s_mov_b32 s42, exec_lo
	s_delay_alu instid0(VALU_DEP_1)
	v_cmpx_eq_u32_e32 0, v96
; %bb.855:                              ;   in Loop: Header=BB2_129 Depth=2
	v_clz_i32_u32_e32 v96, v97
	s_delay_alu instid0(VALU_DEP_1) | instskip(NEXT) | instid1(VALU_DEP_1)
	v_min_u32_e32 v96, 32, v96
	v_subrev_nc_u32_e32 v97, 29, v96
	s_delay_alu instid0(VALU_DEP_1) | instskip(NEXT) | instid1(VALU_DEP_1)
	v_lshlrev_b64_e32 v[98:99], v97, v[30:31]
	v_dual_sub_nc_u32 v96, 30, v96 :: v_dual_bitop2_b32 v97, 3, v98 bitop3:0x40
; %bb.856:                              ;   in Loop: Header=BB2_129 Depth=2
	s_or_b32 exec_lo, exec_lo, s42
	v_and_b32_e32 v30, 0x80000000, v34
	s_delay_alu instid0(VALU_DEP_1) | instskip(NEXT) | instid1(VALU_DEP_1)
	v_lshl_add_u32 v30, v96, 23, v30
	v_lshl_or_b32 v30, v97, 21, v30
                                        ; implicit-def: $vgpr97
	s_delay_alu instid0(VALU_DEP_1)
	v_add_nc_u32_e32 v96, 0x38000000, v30
.LBB2_857:                              ;   in Loop: Header=BB2_129 Depth=2
	s_and_not1_saveexec_b32 s41, s41
; %bb.858:                              ;   in Loop: Header=BB2_129 Depth=2
	v_cmp_lt_i32_e32 vcc_lo, -1, v34
	v_cndmask_b32_e32 v30, 0xff800000, v62, vcc_lo
	v_cmp_eq_u32_e32 vcc_lo, 0, v97
	s_delay_alu instid0(VALU_DEP_2)
	v_cndmask_b32_e32 v96, 0x7f800001, v30, vcc_lo
; %bb.859:                              ;   in Loop: Header=BB2_129 Depth=2
	s_or_b32 exec_lo, exec_lo, s41
.LBB2_860:                              ;   in Loop: Header=BB2_129 Depth=2
	s_delay_alu instid0(SALU_CYCLE_1)
	s_or_b32 exec_lo, exec_lo, s40
.LBB2_861:                              ;   in Loop: Header=BB2_129 Depth=2
	s_delay_alu instid0(SALU_CYCLE_1) | instskip(SKIP_3) | instid1(VALU_DEP_2)
	s_or_b32 exec_lo, exec_lo, s11
	v_bfe_u32 v34, v11, 24, 2
	v_bfe_u32 v45, v11, 26, 5
	s_mov_b32 s11, exec_lo
	v_clz_i32_u32_e32 v30, v34
	s_delay_alu instid0(VALU_DEP_2) | instskip(NEXT) | instid1(VALU_DEP_2)
	v_cmp_eq_u32_e32 vcc_lo, 0, v45
	v_min_u32_e32 v97, 32, v30
	v_lshrrev_b32_e32 v30, 24, v11
	s_delay_alu instid0(VALU_DEP_2) | instskip(SKIP_1) | instid1(VALU_DEP_2)
	v_subrev_nc_u32_e32 v98, 29, v97
	v_sub_nc_u32_e32 v97, 30, v97
	v_lshlrev_b64_e32 v[98:99], v98, v[30:31]
	s_delay_alu instid0(VALU_DEP_2) | instskip(SKIP_1) | instid1(VALU_DEP_3)
	v_cndmask_b32_e32 v97, v45, v97, vcc_lo
	v_and_b32_e32 v99, 0x80000000, v11
	v_and_b32_e32 v98, 3, v98
	s_delay_alu instid0(VALU_DEP_2) | instskip(NEXT) | instid1(VALU_DEP_2)
	v_lshl_add_u32 v97, v97, 23, v99
	v_cndmask_b32_e32 v98, v34, v98, vcc_lo
	v_cmp_lt_i64_e32 vcc_lo, -1, v[10:11]
	s_delay_alu instid0(VALU_DEP_2) | instskip(SKIP_3) | instid1(VALU_DEP_4)
	v_lshl_or_b32 v97, v98, 21, v97
	v_and_b32_e32 v98, 0x7c000000, v11
	v_cndmask_b32_e32 v99, 0xff800000, v62, vcc_lo
	v_cmp_eq_u32_e32 vcc_lo, 0, v34
	v_add_nc_u32_e32 v97, 0x38000000, v97
	s_delay_alu instid0(VALU_DEP_3) | instskip(SKIP_1) | instid1(VALU_DEP_2)
	v_cndmask_b32_e32 v34, 0x7f800001, v99, vcc_lo
	v_cmp_eq_u32_e32 vcc_lo, 0x7c000000, v98
	v_cndmask_b32_e32 v34, v97, v34, vcc_lo
	v_cmp_ne_u32_e32 vcc_lo, 0x80, v30
	s_delay_alu instid0(VALU_DEP_2) | instskip(SKIP_1) | instid1(VALU_DEP_2)
	v_dual_mov_b32 v97, v35 :: v_dual_cndmask_b32 v30, 0x80000000, v34
	v_cmp_lt_u64_e32 vcc_lo, s[12:13], v[10:11]
	v_cndmask_b32_e32 v10, 0, v30, vcc_lo
                                        ; implicit-def: $vgpr30
	s_delay_alu instid0(VALU_DEP_1) | instskip(NEXT) | instid1(VALU_DEP_1)
	v_add_f32_e32 v10, v10, v96
	v_and_b32_e32 v96, 0x7f800000, v10
	v_and_b32_e32 v34, 0x7fffff, v10
	v_lshrrev_b32_e32 v11, 24, v10
	s_delay_alu instid0(VALU_DEP_3)
	v_cmpx_ne_u64_e32 0x7f800000, v[96:97]
	s_xor_b32 s40, exec_lo, s11
	s_cbranch_execz .LBB2_875
; %bb.862:                              ;   in Loop: Header=BB2_129 Depth=2
	v_and_b32_e32 v96, 0x7fffffff, v10
	v_mov_b32_e32 v97, v35
	v_and_b32_e32 v98, 0x80, v11
                                        ; implicit-def: $vgpr30
	s_mov_b32 s11, exec_lo
	s_delay_alu instid0(VALU_DEP_2)
	v_cmpx_gt_u64_e32 0x47600001, v[96:97]
	s_xor_b32 s41, exec_lo, s11
	s_cbranch_execz .LBB2_872
; %bb.863:                              ;   in Loop: Header=BB2_129 Depth=2
	v_mov_b32_e32 v30, 0
	s_mov_b32 s42, exec_lo
	v_cmpx_ne_u32_e32 0, v10
	s_cbranch_execz .LBB2_871
; %bb.864:                              ;   in Loop: Header=BB2_129 Depth=2
	v_bfe_u32 v30, v10, 23, 8
	v_or_b32_e32 v96, 0x800000, v34
	s_delay_alu instid0(VALU_DEP_2) | instskip(SKIP_1) | instid1(VALU_DEP_2)
	v_sub_nc_u32_e32 v10, 0x71, v30
	v_cmp_gt_u32_e32 vcc_lo, 0x72, v30
	v_cndmask_b32_e32 v10, 0, v10, vcc_lo
	v_cmp_eq_u32_e32 vcc_lo, 0, v30
	s_delay_alu instid0(VALU_DEP_2) | instskip(NEXT) | instid1(VALU_DEP_1)
	v_cndmask_b32_e64 v99, v10, 0x70, vcc_lo
	v_dual_cndmask_b32 v34, v96, v34, vcc_lo :: v_dual_add_nc_u32 v10, 21, v99
	v_add_nc_u32_e32 v97, 20, v99
	s_delay_alu instid0(VALU_DEP_2) | instskip(NEXT) | instid1(VALU_DEP_2)
	v_lshlrev_b64_e64 v[10:11], v10, -1
	v_lshlrev_b64_e64 v[96:97], v97, 1
	s_delay_alu instid0(VALU_DEP_2) | instskip(NEXT) | instid1(VALU_DEP_3)
	v_bfi_b32 v47, v11, 0, 0
	v_bfi_b32 v46, v10, 0, v34
	v_lshrrev_b64 v[10:11], v99, v[34:35]
	s_delay_alu instid0(VALU_DEP_2) | instskip(NEXT) | instid1(VALU_DEP_2)
	v_cmp_eq_u64_e64 s11, v[46:47], v[96:97]
	v_mov_b64_e32 v[96:97], v[10:11]
	s_and_saveexec_b32 s43, s11
; %bb.865:                              ;   in Loop: Header=BB2_129 Depth=2
	v_bfe_u32 v34, v10, 21, 1
	s_delay_alu instid0(VALU_DEP_1) | instskip(NEXT) | instid1(VALU_DEP_1)
	v_add_nc_u64_e32 v[96:97], v[10:11], v[34:35]
	v_add_nc_u64_e32 v[96:97], -1, v[96:97]
; %bb.866:                              ;   in Loop: Header=BB2_129 Depth=2
	s_or_b32 exec_lo, exec_lo, s43
	v_add_nc_u32_e32 v11, 0xffffff81, v30
	v_lshrrev_b32_e32 v30, 23, v10
	s_mov_b32 s11, exec_lo
	s_delay_alu instid0(VALU_DEP_2) | instskip(NEXT) | instid1(VALU_DEP_1)
	v_cndmask_b32_e64 v11, v11, 0xffffff82, vcc_lo
	v_add3_u32 v97, v99, v11, v30
	v_and_b32_e32 v11, 0x1fffff, v96
                                        ; implicit-def: $vgpr30
	s_delay_alu instid0(VALU_DEP_1) | instskip(NEXT) | instid1(VALU_DEP_1)
	v_dual_add_nc_u32 v96, 14, v97 :: v_dual_add_nc_u32 v34, v11, v10
                                        ; implicit-def: $vgpr10_vgpr11
	v_cmpx_ne_u32_e32 0, v96
	s_xor_b32 s11, exec_lo, s11
; %bb.867:                              ;   in Loop: Header=BB2_129 Depth=2
	s_delay_alu instid0(VALU_DEP_2) | instskip(SKIP_1) | instid1(VALU_DEP_1)
	v_cmp_lt_u64_e32 vcc_lo, 0xffffff, v[34:35]
	v_add_nc_u32_e32 v10, 15, v97
	v_cndmask_b32_e32 v30, v96, v10, vcc_lo
	v_cndmask_b32_e64 v10, 0, 1, vcc_lo
	s_delay_alu instid0(VALU_DEP_1)
	v_lshrrev_b64 v[10:11], v10, v[34:35]
; %bb.868:                              ;   in Loop: Header=BB2_129 Depth=2
	s_and_not1_saveexec_b32 s11, s11
; %bb.869:                              ;   in Loop: Header=BB2_129 Depth=2
	v_mov_b64_e32 v[10:11], v[34:35]
	v_bfe_u32 v30, v34, 23, 1
; %bb.870:                              ;   in Loop: Header=BB2_129 Depth=2
	s_or_b32 exec_lo, exec_lo, s11
	s_delay_alu instid0(VALU_DEP_2) | instskip(NEXT) | instid1(VALU_DEP_2)
	v_lshrrev_b64 v[10:11], 21, v[10:11]
	v_cmp_gt_i32_e32 vcc_lo, 32, v30
	v_min_i32_e32 v34, 31, v30
	v_cmp_eq_u32_e64 s11, 0, v30
	s_delay_alu instid0(VALU_DEP_2) | instskip(SKIP_1) | instid1(VALU_DEP_2)
	v_dual_cndmask_b32 v11, 0, v11 :: v_dual_lshlrev_b32 v34, 2, v34
	v_cndmask_b32_e32 v10, 3, v10, vcc_lo
	v_and_b32_e32 v34, 0xfc, v34
	s_delay_alu instid0(VALU_DEP_2) | instskip(NEXT) | instid1(VALU_DEP_2)
	v_cmp_eq_u64_e32 vcc_lo, 0, v[10:11]
	v_and_or_b32 v10, v10, 3, v34
	s_and_b32 s11, s11, vcc_lo
	s_delay_alu instid0(VALU_DEP_1) | instid1(SALU_CYCLE_1)
	v_cndmask_b32_e64 v10, v10, 0, s11
	s_delay_alu instid0(VALU_DEP_1)
	v_or_b32_e32 v30, v10, v98
.LBB2_871:                              ;   in Loop: Header=BB2_129 Depth=2
	s_or_b32 exec_lo, exec_lo, s42
                                        ; implicit-def: $vgpr98
.LBB2_872:                              ;   in Loop: Header=BB2_129 Depth=2
	s_and_not1_saveexec_b32 s11, s41
; %bb.873:                              ;   in Loop: Header=BB2_129 Depth=2
	v_or_b32_e32 v30, 0x7b, v98
; %bb.874:                              ;   in Loop: Header=BB2_129 Depth=2
	s_or_b32 exec_lo, exec_lo, s11
                                        ; implicit-def: $vgpr10
                                        ; implicit-def: $vgpr11
.LBB2_875:                              ;   in Loop: Header=BB2_129 Depth=2
	s_and_not1_saveexec_b32 s11, s40
	s_cbranch_execz .LBB2_881
; %bb.876:                              ;   in Loop: Header=BB2_129 Depth=2
	s_mov_b32 s40, exec_lo
                                        ; implicit-def: $vgpr30
	v_cmpx_ne_u64_e32 0, v[34:35]
	s_xor_b32 s40, exec_lo, s40
; %bb.877:                              ;   in Loop: Header=BB2_129 Depth=2
	v_or_b32_e32 v30, 0x7f, v11
                                        ; implicit-def: $vgpr10
; %bb.878:                              ;   in Loop: Header=BB2_129 Depth=2
	s_and_not1_saveexec_b32 s40, s40
; %bb.879:                              ;   in Loop: Header=BB2_129 Depth=2
	v_cmp_lt_i32_e32 vcc_lo, -1, v10
	v_cndmask_b32_e32 v30, 0xfc, v63, vcc_lo
; %bb.880:                              ;   in Loop: Header=BB2_129 Depth=2
	s_or_b32 exec_lo, exec_lo, s40
.LBB2_881:                              ;   in Loop: Header=BB2_129 Depth=2
	s_delay_alu instid0(SALU_CYCLE_1) | instskip(SKIP_3) | instid1(VALU_DEP_1)
	s_or_b32 exec_lo, exec_lo, s11
	v_lshl_or_b32 v98, v119, 8, v115
	v_dual_lshlrev_b32 v10, 16, v42 :: v_dual_lshlrev_b32 v11, 24, v44
	s_mov_b32 s11, exec_lo
	v_or3_b32 v34, v10, v11, v98
	v_mov_b32_e32 v10, 0
	v_cmpx_ne_u32_e32 0, v115
	s_cbranch_execz .LBB2_891
; %bb.882:                              ;   in Loop: Header=BB2_129 Depth=2
	v_bfrev_b32_e32 v10, 1
	s_mov_b32 s40, exec_lo
	v_cmpx_ne_u32_e32 0x80, v115
	s_cbranch_execz .LBB2_890
; %bb.883:                              ;   in Loop: Header=BB2_129 Depth=2
	v_and_b32_e32 v10, 0x7c, v115
	v_and_b32_e32 v11, 3, v115
	s_delay_alu instid0(VALU_DEP_2) | instskip(SKIP_1) | instid1(SALU_CYCLE_1)
	v_cmp_ne_u32_e32 vcc_lo, 0x7c, v10
                                        ; implicit-def: $vgpr10
	s_and_saveexec_b32 s41, vcc_lo
	s_xor_b32 s41, exec_lo, s41
	s_cbranch_execz .LBB2_887
; %bb.884:                              ;   in Loop: Header=BB2_129 Depth=2
	v_bfe_u32 v10, v115, 2, 5
	s_mov_b32 s42, exec_lo
	s_delay_alu instid0(VALU_DEP_1)
	v_cmpx_eq_u32_e32 0, v10
; %bb.885:                              ;   in Loop: Header=BB2_129 Depth=2
	v_clz_i32_u32_e32 v10, v11
	s_delay_alu instid0(VALU_DEP_1) | instskip(NEXT) | instid1(VALU_DEP_1)
	v_min_u32_e32 v10, 32, v10
	v_subrev_nc_u32_e32 v11, 29, v10
	s_delay_alu instid0(VALU_DEP_1) | instskip(NEXT) | instid1(VALU_DEP_1)
	v_lshlrev_b64_e32 v[96:97], v11, v[34:35]
	v_dual_sub_nc_u32 v10, 30, v10 :: v_dual_bitop2_b32 v11, 3, v96 bitop3:0x40
; %bb.886:                              ;   in Loop: Header=BB2_129 Depth=2
	s_or_b32 exec_lo, exec_lo, s42
	v_lshlrev_b32_e32 v96, 24, v115
                                        ; implicit-def: $vgpr115
	s_delay_alu instid0(VALU_DEP_1) | instskip(NEXT) | instid1(VALU_DEP_1)
	v_and_b32_e32 v96, 0x80000000, v96
	v_lshl_add_u32 v10, v10, 23, v96
	s_delay_alu instid0(VALU_DEP_1) | instskip(NEXT) | instid1(VALU_DEP_1)
	v_lshl_or_b32 v10, v11, 21, v10
                                        ; implicit-def: $vgpr11
	v_add_nc_u32_e32 v10, 0x38000000, v10
.LBB2_887:                              ;   in Loop: Header=BB2_129 Depth=2
	s_and_not1_saveexec_b32 s41, s41
; %bb.888:                              ;   in Loop: Header=BB2_129 Depth=2
	v_and_b32_e32 v10, 0x80, v115
	s_delay_alu instid0(VALU_DEP_1) | instskip(SKIP_2) | instid1(VALU_DEP_2)
	v_cmp_eq_u32_e32 vcc_lo, 0, v10
	v_cndmask_b32_e32 v10, 0xff800000, v62, vcc_lo
	v_cmp_eq_u32_e32 vcc_lo, 0, v11
	v_cndmask_b32_e32 v10, 0x7f800001, v10, vcc_lo
; %bb.889:                              ;   in Loop: Header=BB2_129 Depth=2
	s_or_b32 exec_lo, exec_lo, s41
.LBB2_890:                              ;   in Loop: Header=BB2_129 Depth=2
	s_delay_alu instid0(SALU_CYCLE_1)
	s_or_b32 exec_lo, exec_lo, s40
.LBB2_891:                              ;   in Loop: Header=BB2_129 Depth=2
	s_delay_alu instid0(SALU_CYCLE_1) | instskip(SKIP_3) | instid1(VALU_DEP_1)
	s_or_b32 exec_lo, exec_lo, s11
	v_and_b32_e32 v96, 0xff, v12
	s_mov_b32 s40, 0
	s_mov_b32 s11, exec_lo
	v_cmpx_lt_i16_e32 0x7f, v96
	s_xor_b32 s11, exec_lo, s11
	s_cbranch_execnz .LBB2_1168
; %bb.892:                              ;   in Loop: Header=BB2_129 Depth=2
	s_or_saveexec_b32 s11, s11
	v_bfrev_b32_e32 v11, 1
	s_xor_b32 exec_lo, exec_lo, s11
	s_cbranch_execnz .LBB2_1171
.LBB2_893:                              ;   in Loop: Header=BB2_129 Depth=2
	s_or_b32 exec_lo, exec_lo, s11
	s_and_saveexec_b32 s11, s40
	s_cbranch_execz .LBB2_895
.LBB2_894:                              ;   in Loop: Header=BB2_129 Depth=2
	v_and_b32_e32 v11, 3, v12
	v_bfe_u32 v115, v12, 2, 5
	s_delay_alu instid0(VALU_DEP_2) | instskip(NEXT) | instid1(VALU_DEP_2)
	v_clz_i32_u32_e32 v96, v11
	v_cmp_eq_u32_e32 vcc_lo, 0, v115
	s_delay_alu instid0(VALU_DEP_2) | instskip(NEXT) | instid1(VALU_DEP_1)
	v_min_u32_e32 v99, 32, v96
	v_subrev_nc_u32_e32 v96, 29, v99
	s_delay_alu instid0(VALU_DEP_1) | instskip(SKIP_1) | instid1(VALU_DEP_1)
	v_lshlrev_b64_e32 v[96:97], v96, v[12:13]
	v_dual_lshlrev_b32 v97, 24, v12 :: v_dual_sub_nc_u32 v99, 30, v99
	v_and_b32_e32 v97, 0x80000000, v97
	s_delay_alu instid0(VALU_DEP_2) | instskip(SKIP_1) | instid1(VALU_DEP_2)
	v_dual_cndmask_b32 v99, v115, v99, vcc_lo :: v_dual_bitop2_b32 v96, 3, v96 bitop3:0x40
	v_bfe_i32 v115, v12, 0, 8
	v_cndmask_b32_e32 v96, v11, v96, vcc_lo
	s_delay_alu instid0(VALU_DEP_3) | instskip(NEXT) | instid1(VALU_DEP_3)
	v_lshl_add_u32 v97, v99, 23, v97
	v_cmp_lt_i16_e32 vcc_lo, -1, v115
	s_delay_alu instid0(VALU_DEP_2) | instskip(SKIP_3) | instid1(VALU_DEP_4)
	v_lshl_or_b32 v96, v96, 21, v97
	v_cndmask_b32_e32 v99, 0xff800000, v62, vcc_lo
	v_and_b32_e32 v97, 0x7c, v12
	v_cmp_eq_u32_e32 vcc_lo, 0, v11
	v_add_nc_u32_e32 v96, 0x38000000, v96
	s_delay_alu instid0(VALU_DEP_4) | instskip(NEXT) | instid1(VALU_DEP_4)
	v_cndmask_b32_e32 v11, 0x7f800001, v99, vcc_lo
	v_cmp_eq_u32_e32 vcc_lo, 0x7c, v97
	s_delay_alu instid0(VALU_DEP_2)
	v_cndmask_b32_e32 v11, v96, v11, vcc_lo
.LBB2_895:                              ;   in Loop: Header=BB2_129 Depth=2
	s_or_b32 exec_lo, exec_lo, s11
	s_delay_alu instid0(VALU_DEP_1) | instskip(SKIP_2) | instid1(VALU_DEP_2)
	v_dual_add_f32 v96, v10, v11 :: v_dual_mov_b32 v45, v35
	v_mov_b32_e32 v11, v35
                                        ; implicit-def: $vgpr115
	s_mov_b32 s11, exec_lo
	v_and_b32_e32 v44, 0x7f800000, v96
	v_and_b32_e32 v10, 0x7fffff, v96
	v_lshrrev_b32_e32 v97, 24, v96
	s_delay_alu instid0(VALU_DEP_3)
	v_cmpx_ne_u64_e32 0x7f800000, v[44:45]
	s_xor_b32 s40, exec_lo, s11
	s_cbranch_execz .LBB2_909
; %bb.896:                              ;   in Loop: Header=BB2_129 Depth=2
	v_and_b32_e32 v44, 0x7fffffff, v96
	v_mov_b32_e32 v45, v35
	v_and_b32_e32 v99, 0x80, v97
                                        ; implicit-def: $vgpr115
	s_mov_b32 s11, exec_lo
	s_delay_alu instid0(VALU_DEP_2)
	v_cmpx_gt_u64_e32 0x47600001, v[44:45]
	s_xor_b32 s41, exec_lo, s11
	s_cbranch_execz .LBB2_906
; %bb.897:                              ;   in Loop: Header=BB2_129 Depth=2
	v_mov_b32_e32 v115, 0
	s_mov_b32 s42, exec_lo
	v_cmpx_ne_u32_e32 0, v96
	s_cbranch_execz .LBB2_905
; %bb.898:                              ;   in Loop: Header=BB2_129 Depth=2
	v_bfe_u32 v115, v96, 23, 8
	v_or_b32_e32 v42, 0x800000, v10
	s_delay_alu instid0(VALU_DEP_2) | instskip(SKIP_1) | instid1(VALU_DEP_2)
	v_sub_nc_u32_e32 v96, 0x71, v115
	v_cmp_gt_u32_e32 vcc_lo, 0x72, v115
	v_cndmask_b32_e32 v96, 0, v96, vcc_lo
	v_cmp_eq_u32_e32 vcc_lo, 0, v115
	s_delay_alu instid0(VALU_DEP_2) | instskip(NEXT) | instid1(VALU_DEP_1)
	v_cndmask_b32_e64 v119, v96, 0x70, vcc_lo
	v_dual_cndmask_b32 v10, v42, v10, vcc_lo :: v_dual_add_nc_u32 v96, 21, v119
	v_add_nc_u32_e32 v44, 20, v119
	s_delay_alu instid0(VALU_DEP_2) | instskip(NEXT) | instid1(VALU_DEP_2)
	v_lshlrev_b64_e64 v[96:97], v96, -1
	v_lshlrev_b64_e64 v[44:45], v44, 1
	s_delay_alu instid0(VALU_DEP_2) | instskip(SKIP_1) | instid1(VALU_DEP_4)
	v_bfi_b32 v96, v96, 0, v10
	v_lshrrev_b64 v[10:11], v119, v[10:11]
	v_bfi_b32 v97, v97, 0, 0
	s_delay_alu instid0(VALU_DEP_1) | instskip(NEXT) | instid1(VALU_DEP_3)
	v_cmp_eq_u64_e64 s11, v[96:97], v[44:45]
	v_mov_b64_e32 v[96:97], v[10:11]
	s_and_saveexec_b32 s43, s11
; %bb.899:                              ;   in Loop: Header=BB2_129 Depth=2
	v_bfe_u32 v96, v10, 21, 1
	v_mov_b32_e32 v97, v35
	s_delay_alu instid0(VALU_DEP_1) | instskip(NEXT) | instid1(VALU_DEP_1)
	v_add_nc_u64_e32 v[96:97], v[10:11], v[96:97]
	v_add_nc_u64_e32 v[96:97], -1, v[96:97]
; %bb.900:                              ;   in Loop: Header=BB2_129 Depth=2
	s_or_b32 exec_lo, exec_lo, s43
	v_add_nc_u32_e32 v11, 0xffffff81, v115
	v_lshrrev_b32_e32 v97, 23, v10
	s_mov_b32 s11, exec_lo
	s_delay_alu instid0(VALU_DEP_2) | instskip(NEXT) | instid1(VALU_DEP_1)
	v_cndmask_b32_e64 v11, v11, 0xffffff82, vcc_lo
	v_add3_u32 v97, v119, v11, v97
	v_and_b32_e32 v11, 0x1fffff, v96
                                        ; implicit-def: $vgpr96
	s_delay_alu instid0(VALU_DEP_1) | instskip(SKIP_1) | instid1(VALU_DEP_2)
	v_dual_add_nc_u32 v115, 14, v97 :: v_dual_add_nc_u32 v10, v11, v10
	v_mov_b32_e32 v11, v35
	v_cmpx_ne_u32_e32 0, v115
	s_xor_b32 s11, exec_lo, s11
; %bb.901:                              ;   in Loop: Header=BB2_129 Depth=2
	s_delay_alu instid0(VALU_DEP_2) | instskip(SKIP_2) | instid1(VALU_DEP_2)
	v_cmp_lt_u64_e32 vcc_lo, 0xffffff, v[10:11]
	v_add_nc_u32_e32 v96, 15, v97
	v_cndmask_b32_e64 v97, 0, 1, vcc_lo
	v_cndmask_b32_e32 v96, v115, v96, vcc_lo
	s_delay_alu instid0(VALU_DEP_2)
	v_lshrrev_b64 v[10:11], v97, v[10:11]
; %bb.902:                              ;   in Loop: Header=BB2_129 Depth=2
	s_and_not1_saveexec_b32 s11, s11
; %bb.903:                              ;   in Loop: Header=BB2_129 Depth=2
	s_delay_alu instid0(VALU_DEP_1)
	v_bfe_u32 v96, v10, 23, 1
; %bb.904:                              ;   in Loop: Header=BB2_129 Depth=2
	s_or_b32 exec_lo, exec_lo, s11
	s_delay_alu instid0(VALU_DEP_2) | instskip(NEXT) | instid1(VALU_DEP_2)
	v_lshrrev_b64 v[10:11], 21, v[10:11]
	v_cmp_gt_i32_e32 vcc_lo, 32, v96
	v_min_i32_e32 v97, 31, v96
	v_cmp_eq_u32_e64 s11, 0, v96
	s_delay_alu instid0(VALU_DEP_2) | instskip(SKIP_1) | instid1(VALU_DEP_2)
	v_dual_cndmask_b32 v11, 0, v11, vcc_lo :: v_dual_lshlrev_b32 v97, 2, v97
	v_cndmask_b32_e32 v10, 3, v10, vcc_lo
	v_and_b32_e32 v97, 0xfc, v97
	s_delay_alu instid0(VALU_DEP_2) | instskip(NEXT) | instid1(VALU_DEP_2)
	v_cmp_eq_u64_e32 vcc_lo, 0, v[10:11]
	v_and_or_b32 v10, v10, 3, v97
	s_and_b32 s11, s11, vcc_lo
	s_delay_alu instid0(VALU_DEP_1) | instid1(SALU_CYCLE_1)
	v_cndmask_b32_e64 v10, v10, 0, s11
	s_delay_alu instid0(VALU_DEP_1)
	v_or_b32_e32 v115, v10, v99
.LBB2_905:                              ;   in Loop: Header=BB2_129 Depth=2
	s_or_b32 exec_lo, exec_lo, s42
                                        ; implicit-def: $vgpr99
.LBB2_906:                              ;   in Loop: Header=BB2_129 Depth=2
	s_and_not1_saveexec_b32 s11, s41
; %bb.907:                              ;   in Loop: Header=BB2_129 Depth=2
	v_or_b32_e32 v115, 0x7b, v99
; %bb.908:                              ;   in Loop: Header=BB2_129 Depth=2
	s_or_b32 exec_lo, exec_lo, s11
                                        ; implicit-def: $vgpr96
                                        ; implicit-def: $vgpr10_vgpr11
                                        ; implicit-def: $vgpr97
.LBB2_909:                              ;   in Loop: Header=BB2_129 Depth=2
	s_and_not1_saveexec_b32 s11, s40
	s_cbranch_execz .LBB2_915
; %bb.910:                              ;   in Loop: Header=BB2_129 Depth=2
	s_mov_b32 s40, exec_lo
                                        ; implicit-def: $vgpr115
	v_cmpx_ne_u64_e32 0, v[10:11]
	s_xor_b32 s40, exec_lo, s40
; %bb.911:                              ;   in Loop: Header=BB2_129 Depth=2
	v_or_b32_e32 v115, 0x7f, v97
                                        ; implicit-def: $vgpr96
; %bb.912:                              ;   in Loop: Header=BB2_129 Depth=2
	s_and_not1_saveexec_b32 s40, s40
; %bb.913:                              ;   in Loop: Header=BB2_129 Depth=2
	v_cmp_lt_i32_e32 vcc_lo, -1, v96
	v_cndmask_b32_e32 v115, 0xfc, v63, vcc_lo
; %bb.914:                              ;   in Loop: Header=BB2_129 Depth=2
	s_or_b32 exec_lo, exec_lo, s40
.LBB2_915:                              ;   in Loop: Header=BB2_129 Depth=2
	s_delay_alu instid0(SALU_CYCLE_1) | instskip(SKIP_3) | instid1(VALU_DEP_2)
	s_or_b32 exec_lo, exec_lo, s11
	v_lshrrev_b16 v10, 8, v98
	v_mov_b32_e32 v96, 0
	s_mov_b32 s11, exec_lo
	v_cmpx_ne_u16_e32 0, v10
	s_cbranch_execz .LBB2_925
; %bb.916:                              ;   in Loop: Header=BB2_129 Depth=2
	v_bfrev_b32_e32 v96, 1
	s_mov_b32 s40, exec_lo
	v_cmpx_ne_u16_e32 0x80, v10
	s_cbranch_execz .LBB2_924
; %bb.917:                              ;   in Loop: Header=BB2_129 Depth=2
	v_and_b32_e32 v97, 0xffff, v10
	s_delay_alu instid0(VALU_DEP_1) | instskip(SKIP_1) | instid1(VALU_DEP_2)
	v_and_b32_e32 v96, 0x7c, v97
	v_and_b32_e32 v11, 3, v97
	v_cmp_ne_u32_e32 vcc_lo, 0x7c, v96
                                        ; implicit-def: $vgpr96
	s_and_saveexec_b32 s41, vcc_lo
	s_delay_alu instid0(SALU_CYCLE_1)
	s_xor_b32 s41, exec_lo, s41
	s_cbranch_execz .LBB2_921
; %bb.918:                              ;   in Loop: Header=BB2_129 Depth=2
	v_bfe_u32 v96, v97, 2, 5
	s_mov_b32 s42, exec_lo
	s_delay_alu instid0(VALU_DEP_1)
	v_cmpx_eq_u32_e32 0, v96
	s_cbranch_execz .LBB2_920
; %bb.919:                              ;   in Loop: Header=BB2_129 Depth=2
	v_clz_i32_u32_e32 v11, v11
	s_delay_alu instid0(VALU_DEP_1) | instskip(SKIP_1) | instid1(VALU_DEP_2)
	v_min_u32_e32 v96, 32, v11
	v_mov_b32_e32 v11, v35
	v_subrev_nc_u32_e32 v97, 29, v96
	v_sub_nc_u32_e32 v96, 30, v96
	s_delay_alu instid0(VALU_DEP_2) | instskip(NEXT) | instid1(VALU_DEP_1)
	v_lshlrev_b64_e32 v[10:11], v97, v[10:11]
	v_and_b32_e32 v11, 3, v10
.LBB2_920:                              ;   in Loop: Header=BB2_129 Depth=2
	s_or_b32 exec_lo, exec_lo, s42
	v_lshlrev_b32_e32 v10, 16, v98
                                        ; implicit-def: $vgpr98
	s_delay_alu instid0(VALU_DEP_1) | instskip(NEXT) | instid1(VALU_DEP_1)
	v_and_b32_e32 v10, 0x80000000, v10
	v_lshl_add_u32 v10, v96, 23, v10
	s_delay_alu instid0(VALU_DEP_1) | instskip(NEXT) | instid1(VALU_DEP_1)
	v_lshl_or_b32 v10, v11, 21, v10
                                        ; implicit-def: $vgpr11
	v_add_nc_u32_e32 v96, 0x38000000, v10
.LBB2_921:                              ;   in Loop: Header=BB2_129 Depth=2
	s_and_not1_saveexec_b32 s41, s41
; %bb.922:                              ;   in Loop: Header=BB2_129 Depth=2
	v_cmp_lt_i16_e32 vcc_lo, -1, v98
	v_cndmask_b32_e32 v10, 0xff800000, v62, vcc_lo
	v_cmp_eq_u32_e32 vcc_lo, 0, v11
	s_delay_alu instid0(VALU_DEP_2)
	v_cndmask_b32_e32 v96, 0x7f800001, v10, vcc_lo
; %bb.923:                              ;   in Loop: Header=BB2_129 Depth=2
	s_or_b32 exec_lo, exec_lo, s41
.LBB2_924:                              ;   in Loop: Header=BB2_129 Depth=2
	s_delay_alu instid0(SALU_CYCLE_1)
	s_or_b32 exec_lo, exec_lo, s40
.LBB2_925:                              ;   in Loop: Header=BB2_129 Depth=2
	s_delay_alu instid0(SALU_CYCLE_1) | instskip(SKIP_3) | instid1(VALU_DEP_1)
	s_or_b32 exec_lo, exec_lo, s11
	v_lshrrev_b16 v10, 8, v12
	s_mov_b32 s40, 0
	s_mov_b32 s11, exec_lo
	v_cmpx_lt_i16_e32 0x7f, v10
	s_xor_b32 s11, exec_lo, s11
	s_cbranch_execnz .LBB2_1172
; %bb.926:                              ;   in Loop: Header=BB2_129 Depth=2
	s_or_saveexec_b32 s11, s11
	v_bfrev_b32_e32 v11, 1
	s_xor_b32 exec_lo, exec_lo, s11
	s_cbranch_execnz .LBB2_1175
.LBB2_927:                              ;   in Loop: Header=BB2_129 Depth=2
	s_or_b32 exec_lo, exec_lo, s11
	s_and_saveexec_b32 s11, s40
	s_cbranch_execz .LBB2_929
.LBB2_928:                              ;   in Loop: Header=BB2_129 Depth=2
	v_and_b32_e32 v97, 0xffff, v10
	s_delay_alu instid0(VALU_DEP_1) | instskip(NEXT) | instid1(VALU_DEP_1)
	v_and_b32_e32 v119, 3, v97
	v_clz_i32_u32_e32 v11, v119
	s_delay_alu instid0(VALU_DEP_1) | instskip(SKIP_1) | instid1(VALU_DEP_2)
	v_min_u32_e32 v42, 32, v11
	v_mov_b32_e32 v11, v35
	v_subrev_nc_u32_e32 v98, 29, v42
	s_delay_alu instid0(VALU_DEP_1) | instskip(SKIP_3) | instid1(VALU_DEP_3)
	v_lshlrev_b64_e32 v[98:99], v98, v[10:11]
	v_bfe_u32 v11, v97, 2, 5
	v_sub_nc_u32_e32 v99, 30, v42
	v_and_b32_e32 v97, 0x7c, v97
	v_cmp_eq_u32_e32 vcc_lo, 0, v11
	v_lshlrev_b32_e32 v10, 24, v10
	s_delay_alu instid0(VALU_DEP_4) | instskip(NEXT) | instid1(VALU_DEP_2)
	v_dual_cndmask_b32 v11, v11, v99, vcc_lo :: v_dual_bitop2_b32 v98, 3, v98 bitop3:0x40
	v_and_b32_e32 v10, 0x80000000, v10
	s_delay_alu instid0(VALU_DEP_2) | instskip(SKIP_1) | instid1(VALU_DEP_3)
	v_cndmask_b32_e32 v98, v119, v98, vcc_lo
	v_cmp_lt_i16_e32 vcc_lo, -1, v12
	v_lshl_add_u32 v10, v11, 23, v10
	v_cndmask_b32_e32 v11, 0xff800000, v62, vcc_lo
	v_cmp_eq_u32_e32 vcc_lo, 0, v119
	s_delay_alu instid0(VALU_DEP_3) | instskip(NEXT) | instid1(VALU_DEP_3)
	v_lshl_or_b32 v10, v98, 21, v10
	v_cndmask_b32_e32 v11, 0x7f800001, v11, vcc_lo
	v_cmp_eq_u32_e32 vcc_lo, 0x7c, v97
	s_delay_alu instid0(VALU_DEP_3) | instskip(NEXT) | instid1(VALU_DEP_1)
	v_add_nc_u32_e32 v10, 0x38000000, v10
	v_cndmask_b32_e32 v11, v10, v11, vcc_lo
.LBB2_929:                              ;   in Loop: Header=BB2_129 Depth=2
	s_or_b32 exec_lo, exec_lo, s11
	s_delay_alu instid0(VALU_DEP_1) | instskip(SKIP_2) | instid1(VALU_DEP_2)
	v_dual_add_f32 v96, v96, v11 :: v_dual_mov_b32 v99, v35
	v_mov_b32_e32 v11, v35
                                        ; implicit-def: $vgpr119
	s_mov_b32 s11, exec_lo
	v_and_b32_e32 v98, 0x7f800000, v96
	v_and_b32_e32 v10, 0x7fffff, v96
	v_lshrrev_b32_e32 v97, 24, v96
	s_delay_alu instid0(VALU_DEP_3)
	v_cmpx_ne_u64_e32 0x7f800000, v[98:99]
	s_xor_b32 s40, exec_lo, s11
	s_cbranch_execz .LBB2_943
; %bb.930:                              ;   in Loop: Header=BB2_129 Depth=2
	v_and_b32_e32 v98, 0x7fffffff, v96
	v_mov_b32_e32 v99, v35
                                        ; implicit-def: $vgpr119
	s_delay_alu instid0(VALU_DEP_1) | instskip(SKIP_2) | instid1(SALU_CYCLE_1)
	v_cmp_gt_u64_e32 vcc_lo, 0x47600001, v[98:99]
	v_and_b32_e32 v98, 0x80, v97
	s_and_saveexec_b32 s11, vcc_lo
	s_xor_b32 s41, exec_lo, s11
	s_cbranch_execz .LBB2_940
; %bb.931:                              ;   in Loop: Header=BB2_129 Depth=2
	v_mov_b32_e32 v119, 0
	s_mov_b32 s42, exec_lo
	v_cmpx_ne_u32_e32 0, v96
	s_cbranch_execz .LBB2_939
; %bb.932:                              ;   in Loop: Header=BB2_129 Depth=2
	v_bfe_u32 v99, v96, 23, 8
	v_or_b32_e32 v42, 0x800000, v10
	s_delay_alu instid0(VALU_DEP_2) | instskip(SKIP_1) | instid1(VALU_DEP_2)
	v_sub_nc_u32_e32 v96, 0x71, v99
	v_cmp_gt_u32_e32 vcc_lo, 0x72, v99
	v_cndmask_b32_e32 v96, 0, v96, vcc_lo
	v_cmp_eq_u32_e32 vcc_lo, 0, v99
	s_delay_alu instid0(VALU_DEP_2) | instskip(NEXT) | instid1(VALU_DEP_1)
	v_cndmask_b32_e64 v119, v96, 0x70, vcc_lo
	v_dual_cndmask_b32 v10, v42, v10, vcc_lo :: v_dual_add_nc_u32 v96, 21, v119
	v_add_nc_u32_e32 v44, 20, v119
	s_delay_alu instid0(VALU_DEP_2) | instskip(NEXT) | instid1(VALU_DEP_2)
	v_lshlrev_b64_e64 v[96:97], v96, -1
	v_lshlrev_b64_e64 v[44:45], v44, 1
	s_delay_alu instid0(VALU_DEP_2) | instskip(SKIP_1) | instid1(VALU_DEP_4)
	v_bfi_b32 v96, v96, 0, v10
	v_lshrrev_b64 v[10:11], v119, v[10:11]
	v_bfi_b32 v97, v97, 0, 0
	s_delay_alu instid0(VALU_DEP_1) | instskip(NEXT) | instid1(VALU_DEP_3)
	v_cmp_eq_u64_e64 s11, v[96:97], v[44:45]
	v_mov_b64_e32 v[96:97], v[10:11]
	s_and_saveexec_b32 s43, s11
; %bb.933:                              ;   in Loop: Header=BB2_129 Depth=2
	v_bfe_u32 v96, v10, 21, 1
	v_mov_b32_e32 v97, v35
	s_delay_alu instid0(VALU_DEP_1) | instskip(NEXT) | instid1(VALU_DEP_1)
	v_add_nc_u64_e32 v[96:97], v[10:11], v[96:97]
	v_add_nc_u64_e32 v[96:97], -1, v[96:97]
; %bb.934:                              ;   in Loop: Header=BB2_129 Depth=2
	s_or_b32 exec_lo, exec_lo, s43
	v_add_nc_u32_e32 v11, 0xffffff81, v99
	v_lshrrev_b32_e32 v97, 23, v10
	s_mov_b32 s11, exec_lo
	s_delay_alu instid0(VALU_DEP_2) | instskip(NEXT) | instid1(VALU_DEP_1)
	v_cndmask_b32_e64 v11, v11, 0xffffff82, vcc_lo
	v_add3_u32 v97, v119, v11, v97
	v_and_b32_e32 v11, 0x1fffff, v96
                                        ; implicit-def: $vgpr96
	s_delay_alu instid0(VALU_DEP_1) | instskip(SKIP_1) | instid1(VALU_DEP_2)
	v_dual_add_nc_u32 v99, 14, v97 :: v_dual_add_nc_u32 v10, v11, v10
	v_mov_b32_e32 v11, v35
	v_cmpx_ne_u32_e32 0, v99
	s_xor_b32 s11, exec_lo, s11
; %bb.935:                              ;   in Loop: Header=BB2_129 Depth=2
	s_delay_alu instid0(VALU_DEP_2) | instskip(SKIP_2) | instid1(VALU_DEP_2)
	v_cmp_lt_u64_e32 vcc_lo, 0xffffff, v[10:11]
	v_add_nc_u32_e32 v96, 15, v97
	v_cndmask_b32_e64 v97, 0, 1, vcc_lo
	v_cndmask_b32_e32 v96, v99, v96, vcc_lo
	s_delay_alu instid0(VALU_DEP_2)
	v_lshrrev_b64 v[10:11], v97, v[10:11]
; %bb.936:                              ;   in Loop: Header=BB2_129 Depth=2
	s_and_not1_saveexec_b32 s11, s11
; %bb.937:                              ;   in Loop: Header=BB2_129 Depth=2
	s_delay_alu instid0(VALU_DEP_1)
	v_bfe_u32 v96, v10, 23, 1
; %bb.938:                              ;   in Loop: Header=BB2_129 Depth=2
	s_or_b32 exec_lo, exec_lo, s11
	s_delay_alu instid0(VALU_DEP_2) | instskip(NEXT) | instid1(VALU_DEP_2)
	v_lshrrev_b64 v[10:11], 21, v[10:11]
	v_cmp_gt_i32_e32 vcc_lo, 32, v96
	v_min_i32_e32 v97, 31, v96
	v_cmp_eq_u32_e64 s11, 0, v96
	s_delay_alu instid0(VALU_DEP_2) | instskip(SKIP_1) | instid1(VALU_DEP_2)
	v_dual_cndmask_b32 v11, 0, v11, vcc_lo :: v_dual_lshlrev_b32 v97, 2, v97
	v_cndmask_b32_e32 v10, 3, v10, vcc_lo
	v_and_b32_e32 v97, 0xfc, v97
	s_delay_alu instid0(VALU_DEP_2) | instskip(NEXT) | instid1(VALU_DEP_2)
	v_cmp_eq_u64_e32 vcc_lo, 0, v[10:11]
	v_and_or_b32 v10, v10, 3, v97
	s_and_b32 s11, s11, vcc_lo
	s_delay_alu instid0(VALU_DEP_1) | instid1(SALU_CYCLE_1)
	v_cndmask_b32_e64 v10, v10, 0, s11
	s_delay_alu instid0(VALU_DEP_1)
	v_or_b32_e32 v119, v10, v98
.LBB2_939:                              ;   in Loop: Header=BB2_129 Depth=2
	s_or_b32 exec_lo, exec_lo, s42
                                        ; implicit-def: $vgpr98
.LBB2_940:                              ;   in Loop: Header=BB2_129 Depth=2
	s_and_not1_saveexec_b32 s11, s41
; %bb.941:                              ;   in Loop: Header=BB2_129 Depth=2
	v_or_b32_e32 v119, 0x7b, v98
; %bb.942:                              ;   in Loop: Header=BB2_129 Depth=2
	s_or_b32 exec_lo, exec_lo, s11
                                        ; implicit-def: $vgpr96
                                        ; implicit-def: $vgpr10_vgpr11
                                        ; implicit-def: $vgpr97
.LBB2_943:                              ;   in Loop: Header=BB2_129 Depth=2
	s_and_not1_saveexec_b32 s11, s40
	s_cbranch_execz .LBB2_949
; %bb.944:                              ;   in Loop: Header=BB2_129 Depth=2
	s_mov_b32 s40, exec_lo
                                        ; implicit-def: $vgpr119
	v_cmpx_ne_u64_e32 0, v[10:11]
	s_xor_b32 s40, exec_lo, s40
; %bb.945:                              ;   in Loop: Header=BB2_129 Depth=2
	v_or_b32_e32 v119, 0x7f, v97
                                        ; implicit-def: $vgpr96
; %bb.946:                              ;   in Loop: Header=BB2_129 Depth=2
	s_and_not1_saveexec_b32 s40, s40
; %bb.947:                              ;   in Loop: Header=BB2_129 Depth=2
	v_cmp_lt_i32_e32 vcc_lo, -1, v96
	v_cndmask_b32_e32 v119, 0xfc, v63, vcc_lo
; %bb.948:                              ;   in Loop: Header=BB2_129 Depth=2
	s_or_b32 exec_lo, exec_lo, s40
.LBB2_949:                              ;   in Loop: Header=BB2_129 Depth=2
	s_delay_alu instid0(SALU_CYCLE_1) | instskip(SKIP_2) | instid1(VALU_DEP_1)
	s_or_b32 exec_lo, exec_lo, s11
	v_dual_mov_b32 v11, 0 :: v_dual_lshrrev_b32 v10, 16, v34
	s_mov_b32 s11, exec_lo
	v_and_b32_e32 v96, 0xff, v10
	s_delay_alu instid0(VALU_DEP_1)
	v_cmpx_ne_u16_e32 0, v96
	s_cbranch_execz .LBB2_959
; %bb.950:                              ;   in Loop: Header=BB2_129 Depth=2
	v_bfrev_b32_e32 v11, 1
	s_mov_b32 s40, exec_lo
	v_cmpx_ne_u16_e32 0x80, v96
	s_cbranch_execz .LBB2_958
; %bb.951:                              ;   in Loop: Header=BB2_129 Depth=2
	v_and_b32_e32 v11, 0x7c0000, v34
	v_bfe_u32 v96, v34, 16, 2
	s_delay_alu instid0(VALU_DEP_2) | instskip(SKIP_1) | instid1(SALU_CYCLE_1)
	v_cmp_ne_u32_e32 vcc_lo, 0x7c0000, v11
                                        ; implicit-def: $vgpr11
	s_and_saveexec_b32 s41, vcc_lo
	s_xor_b32 s41, exec_lo, s41
	s_cbranch_execz .LBB2_955
; %bb.952:                              ;   in Loop: Header=BB2_129 Depth=2
	v_bfe_u32 v11, v34, 18, 5
	s_mov_b32 s42, exec_lo
	s_delay_alu instid0(VALU_DEP_1)
	v_cmpx_eq_u32_e32 0, v11
; %bb.953:                              ;   in Loop: Header=BB2_129 Depth=2
	v_clz_i32_u32_e32 v11, v96
	s_delay_alu instid0(VALU_DEP_1) | instskip(NEXT) | instid1(VALU_DEP_1)
	v_min_u32_e32 v11, 32, v11
	v_subrev_nc_u32_e32 v96, 29, v11
	s_delay_alu instid0(VALU_DEP_1) | instskip(NEXT) | instid1(VALU_DEP_1)
	v_lshlrev_b64_e32 v[96:97], v96, v[10:11]
	v_dual_sub_nc_u32 v11, 30, v11 :: v_dual_bitop2_b32 v96, 3, v96 bitop3:0x40
; %bb.954:                              ;   in Loop: Header=BB2_129 Depth=2
	s_or_b32 exec_lo, exec_lo, s42
	v_lshlrev_b32_e32 v10, 24, v10
	s_delay_alu instid0(VALU_DEP_1) | instskip(NEXT) | instid1(VALU_DEP_1)
	v_and_b32_e32 v10, 0x80000000, v10
	v_lshl_add_u32 v10, v11, 23, v10
	s_delay_alu instid0(VALU_DEP_1) | instskip(NEXT) | instid1(VALU_DEP_1)
	v_lshl_or_b32 v10, v96, 21, v10
                                        ; implicit-def: $vgpr96
	v_add_nc_u32_e32 v11, 0x38000000, v10
                                        ; implicit-def: $vgpr10
.LBB2_955:                              ;   in Loop: Header=BB2_129 Depth=2
	s_and_not1_saveexec_b32 s41, s41
; %bb.956:                              ;   in Loop: Header=BB2_129 Depth=2
	v_bfe_i32 v10, v10, 0, 8
	s_delay_alu instid0(VALU_DEP_1) | instskip(SKIP_2) | instid1(VALU_DEP_2)
	v_cmp_lt_i16_e32 vcc_lo, -1, v10
	v_cndmask_b32_e32 v10, 0xff800000, v62, vcc_lo
	v_cmp_eq_u32_e32 vcc_lo, 0, v96
	v_cndmask_b32_e32 v11, 0x7f800001, v10, vcc_lo
; %bb.957:                              ;   in Loop: Header=BB2_129 Depth=2
	s_or_b32 exec_lo, exec_lo, s41
.LBB2_958:                              ;   in Loop: Header=BB2_129 Depth=2
	s_delay_alu instid0(SALU_CYCLE_1)
	s_or_b32 exec_lo, exec_lo, s40
.LBB2_959:                              ;   in Loop: Header=BB2_129 Depth=2
	s_delay_alu instid0(SALU_CYCLE_1) | instskip(SKIP_3) | instid1(VALU_DEP_1)
	s_or_b32 exec_lo, exec_lo, s11
	v_lshrrev_b32_e32 v10, 16, v12
	s_mov_b32 s40, 0
	s_mov_b32 s11, exec_lo
	v_and_b32_e32 v97, 0xff, v10
	s_delay_alu instid0(VALU_DEP_1)
	v_cmpx_lt_i16_e32 0x7f, v97
	s_xor_b32 s11, exec_lo, s11
	s_cbranch_execnz .LBB2_1176
; %bb.960:                              ;   in Loop: Header=BB2_129 Depth=2
	s_or_saveexec_b32 s11, s11
	v_bfrev_b32_e32 v96, 1
	s_xor_b32 exec_lo, exec_lo, s11
	s_cbranch_execnz .LBB2_1179
.LBB2_961:                              ;   in Loop: Header=BB2_129 Depth=2
	s_or_b32 exec_lo, exec_lo, s11
	s_and_saveexec_b32 s11, s40
	s_cbranch_execz .LBB2_963
.LBB2_962:                              ;   in Loop: Header=BB2_129 Depth=2
	v_and_b32_e32 v98, 3, v10
	v_bfe_u32 v42, v12, 18, 5
	s_delay_alu instid0(VALU_DEP_2) | instskip(NEXT) | instid1(VALU_DEP_2)
	v_clz_i32_u32_e32 v96, v98
	v_cmp_eq_u32_e32 vcc_lo, 0, v42
	s_delay_alu instid0(VALU_DEP_2) | instskip(NEXT) | instid1(VALU_DEP_1)
	v_min_u32_e32 v99, 32, v96
	v_subrev_nc_u32_e32 v96, 29, v99
	s_delay_alu instid0(VALU_DEP_1) | instskip(SKIP_2) | instid1(VALU_DEP_2)
	v_lshlrev_b64_e32 v[96:97], v96, v[10:11]
	v_dual_lshlrev_b32 v97, 24, v10 :: v_dual_sub_nc_u32 v99, 30, v99
	v_bfe_i32 v10, v10, 0, 8
	v_and_b32_e32 v97, 0x80000000, v97
	s_delay_alu instid0(VALU_DEP_3) | instskip(NEXT) | instid1(VALU_DEP_1)
	v_dual_cndmask_b32 v99, v42, v99, vcc_lo :: v_dual_bitop2_b32 v96, 3, v96 bitop3:0x40
	v_cndmask_b32_e32 v96, v98, v96, vcc_lo
	s_delay_alu instid0(VALU_DEP_2) | instskip(SKIP_1) | instid1(VALU_DEP_2)
	v_lshl_add_u32 v97, v99, 23, v97
	v_cmp_lt_i16_e32 vcc_lo, -1, v10
	v_lshl_or_b32 v96, v96, 21, v97
	v_cndmask_b32_e32 v10, 0xff800000, v62, vcc_lo
	v_and_b32_e32 v97, 0x7c0000, v12
	v_cmp_eq_u32_e32 vcc_lo, 0, v98
	s_delay_alu instid0(VALU_DEP_4) | instskip(NEXT) | instid1(VALU_DEP_4)
	v_add_nc_u32_e32 v96, 0x38000000, v96
	v_cndmask_b32_e32 v10, 0x7f800001, v10, vcc_lo
	s_delay_alu instid0(VALU_DEP_4) | instskip(NEXT) | instid1(VALU_DEP_2)
	v_cmp_eq_u32_e32 vcc_lo, 0x7c0000, v97
	v_cndmask_b32_e32 v96, v96, v10, vcc_lo
.LBB2_963:                              ;   in Loop: Header=BB2_129 Depth=2
	s_or_b32 exec_lo, exec_lo, s11
	s_delay_alu instid0(VALU_DEP_1) | instskip(SKIP_2) | instid1(VALU_DEP_2)
	v_add_f32_e32 v96, v11, v96
	v_dual_mov_b32 v99, v35 :: v_dual_mov_b32 v11, v35
                                        ; implicit-def: $vgpr42
	s_mov_b32 s11, exec_lo
	v_and_b32_e32 v98, 0x7f800000, v96
	v_and_b32_e32 v10, 0x7fffff, v96
	v_lshrrev_b32_e32 v97, 24, v96
	s_delay_alu instid0(VALU_DEP_3)
	v_cmpx_ne_u64_e32 0x7f800000, v[98:99]
	s_xor_b32 s40, exec_lo, s11
	s_cbranch_execz .LBB2_977
; %bb.964:                              ;   in Loop: Header=BB2_129 Depth=2
	v_and_b32_e32 v98, 0x7fffffff, v96
	v_mov_b32_e32 v99, v35
                                        ; implicit-def: $vgpr42
	s_delay_alu instid0(VALU_DEP_1) | instskip(SKIP_2) | instid1(SALU_CYCLE_1)
	v_cmp_gt_u64_e32 vcc_lo, 0x47600001, v[98:99]
	v_and_b32_e32 v98, 0x80, v97
	s_and_saveexec_b32 s11, vcc_lo
	s_xor_b32 s41, exec_lo, s11
	s_cbranch_execz .LBB2_974
; %bb.965:                              ;   in Loop: Header=BB2_129 Depth=2
	v_mov_b32_e32 v42, 0
	s_mov_b32 s42, exec_lo
	v_cmpx_ne_u32_e32 0, v96
	s_cbranch_execz .LBB2_973
; %bb.966:                              ;   in Loop: Header=BB2_129 Depth=2
	v_bfe_u32 v99, v96, 23, 8
	v_or_b32_e32 v44, 0x800000, v10
	s_delay_alu instid0(VALU_DEP_2) | instskip(SKIP_1) | instid1(VALU_DEP_2)
	v_sub_nc_u32_e32 v96, 0x71, v99
	v_cmp_gt_u32_e32 vcc_lo, 0x72, v99
	v_cndmask_b32_e32 v96, 0, v96, vcc_lo
	v_cmp_eq_u32_e32 vcc_lo, 0, v99
	s_delay_alu instid0(VALU_DEP_2) | instskip(SKIP_1) | instid1(VALU_DEP_2)
	v_cndmask_b32_e64 v42, v96, 0x70, vcc_lo
	v_cndmask_b32_e32 v10, v44, v10, vcc_lo
	v_dual_add_nc_u32 v96, 21, v42 :: v_dual_add_nc_u32 v45, 20, v42
	s_delay_alu instid0(VALU_DEP_1) | instskip(NEXT) | instid1(VALU_DEP_2)
	v_lshlrev_b64_e64 v[96:97], v96, -1
	v_lshlrev_b64_e64 v[44:45], v45, 1
	s_delay_alu instid0(VALU_DEP_2) | instskip(SKIP_1) | instid1(VALU_DEP_4)
	v_bfi_b32 v96, v96, 0, v10
	v_lshrrev_b64 v[10:11], v42, v[10:11]
	v_bfi_b32 v97, v97, 0, 0
	s_delay_alu instid0(VALU_DEP_1) | instskip(NEXT) | instid1(VALU_DEP_3)
	v_cmp_eq_u64_e64 s11, v[96:97], v[44:45]
	v_mov_b64_e32 v[96:97], v[10:11]
	s_and_saveexec_b32 s43, s11
; %bb.967:                              ;   in Loop: Header=BB2_129 Depth=2
	v_bfe_u32 v96, v10, 21, 1
	v_mov_b32_e32 v97, v35
	s_delay_alu instid0(VALU_DEP_1) | instskip(NEXT) | instid1(VALU_DEP_1)
	v_add_nc_u64_e32 v[96:97], v[10:11], v[96:97]
	v_add_nc_u64_e32 v[96:97], -1, v[96:97]
; %bb.968:                              ;   in Loop: Header=BB2_129 Depth=2
	s_or_b32 exec_lo, exec_lo, s43
	v_add_nc_u32_e32 v11, 0xffffff81, v99
	v_lshrrev_b32_e32 v97, 23, v10
	s_mov_b32 s11, exec_lo
	s_delay_alu instid0(VALU_DEP_2) | instskip(NEXT) | instid1(VALU_DEP_1)
	v_cndmask_b32_e64 v11, v11, 0xffffff82, vcc_lo
	v_add3_u32 v97, v42, v11, v97
	v_and_b32_e32 v11, 0x1fffff, v96
                                        ; implicit-def: $vgpr96
	s_delay_alu instid0(VALU_DEP_1) | instskip(SKIP_1) | instid1(VALU_DEP_2)
	v_dual_add_nc_u32 v99, 14, v97 :: v_dual_add_nc_u32 v10, v11, v10
	v_mov_b32_e32 v11, v35
	v_cmpx_ne_u32_e32 0, v99
	s_xor_b32 s11, exec_lo, s11
; %bb.969:                              ;   in Loop: Header=BB2_129 Depth=2
	s_delay_alu instid0(VALU_DEP_2) | instskip(SKIP_2) | instid1(VALU_DEP_2)
	v_cmp_lt_u64_e32 vcc_lo, 0xffffff, v[10:11]
	v_add_nc_u32_e32 v96, 15, v97
	v_cndmask_b32_e64 v97, 0, 1, vcc_lo
	v_cndmask_b32_e32 v96, v99, v96, vcc_lo
	s_delay_alu instid0(VALU_DEP_2)
	v_lshrrev_b64 v[10:11], v97, v[10:11]
; %bb.970:                              ;   in Loop: Header=BB2_129 Depth=2
	s_and_not1_saveexec_b32 s11, s11
; %bb.971:                              ;   in Loop: Header=BB2_129 Depth=2
	s_delay_alu instid0(VALU_DEP_1)
	v_bfe_u32 v96, v10, 23, 1
; %bb.972:                              ;   in Loop: Header=BB2_129 Depth=2
	s_or_b32 exec_lo, exec_lo, s11
	s_delay_alu instid0(VALU_DEP_2) | instskip(NEXT) | instid1(VALU_DEP_2)
	v_lshrrev_b64 v[10:11], 21, v[10:11]
	v_cmp_gt_i32_e32 vcc_lo, 32, v96
	v_min_i32_e32 v97, 31, v96
	v_cmp_eq_u32_e64 s11, 0, v96
	s_delay_alu instid0(VALU_DEP_2) | instskip(SKIP_1) | instid1(VALU_DEP_2)
	v_dual_cndmask_b32 v11, 0, v11, vcc_lo :: v_dual_lshlrev_b32 v97, 2, v97
	v_cndmask_b32_e32 v10, 3, v10, vcc_lo
	v_and_b32_e32 v97, 0xfc, v97
	s_delay_alu instid0(VALU_DEP_2) | instskip(NEXT) | instid1(VALU_DEP_2)
	v_cmp_eq_u64_e32 vcc_lo, 0, v[10:11]
	v_and_or_b32 v10, v10, 3, v97
	s_and_b32 s11, s11, vcc_lo
	s_delay_alu instid0(VALU_DEP_1) | instid1(SALU_CYCLE_1)
	v_cndmask_b32_e64 v10, v10, 0, s11
	s_delay_alu instid0(VALU_DEP_1)
	v_or_b32_e32 v42, v10, v98
.LBB2_973:                              ;   in Loop: Header=BB2_129 Depth=2
	s_or_b32 exec_lo, exec_lo, s42
                                        ; implicit-def: $vgpr98
.LBB2_974:                              ;   in Loop: Header=BB2_129 Depth=2
	s_and_not1_saveexec_b32 s11, s41
; %bb.975:                              ;   in Loop: Header=BB2_129 Depth=2
	v_or_b32_e32 v42, 0x7b, v98
; %bb.976:                              ;   in Loop: Header=BB2_129 Depth=2
	s_or_b32 exec_lo, exec_lo, s11
                                        ; implicit-def: $vgpr96
                                        ; implicit-def: $vgpr10_vgpr11
                                        ; implicit-def: $vgpr97
.LBB2_977:                              ;   in Loop: Header=BB2_129 Depth=2
	s_and_not1_saveexec_b32 s11, s40
	s_cbranch_execz .LBB2_983
; %bb.978:                              ;   in Loop: Header=BB2_129 Depth=2
	s_mov_b32 s40, exec_lo
                                        ; implicit-def: $vgpr42
	v_cmpx_ne_u64_e32 0, v[10:11]
	s_xor_b32 s40, exec_lo, s40
; %bb.979:                              ;   in Loop: Header=BB2_129 Depth=2
	v_or_b32_e32 v42, 0x7f, v97
                                        ; implicit-def: $vgpr96
; %bb.980:                              ;   in Loop: Header=BB2_129 Depth=2
	s_and_not1_saveexec_b32 s40, s40
; %bb.981:                              ;   in Loop: Header=BB2_129 Depth=2
	v_cmp_lt_i32_e32 vcc_lo, -1, v96
	v_cndmask_b32_e32 v42, 0xfc, v63, vcc_lo
; %bb.982:                              ;   in Loop: Header=BB2_129 Depth=2
	s_or_b32 exec_lo, exec_lo, s40
.LBB2_983:                              ;   in Loop: Header=BB2_129 Depth=2
	s_delay_alu instid0(SALU_CYCLE_1)
	s_or_b32 exec_lo, exec_lo, s11
	v_mov_b32_e32 v11, 0
	s_mov_b32 s11, exec_lo
	v_cmpx_lt_u32_e32 0xffffff, v34
	s_cbranch_execz .LBB2_993
; %bb.984:                              ;   in Loop: Header=BB2_129 Depth=2
	v_lshrrev_b32_e32 v10, 24, v34
	v_bfrev_b32_e32 v11, 1
	s_mov_b32 s40, exec_lo
	s_delay_alu instid0(VALU_DEP_2)
	v_cmpx_ne_u32_e32 0x80, v10
	s_cbranch_execz .LBB2_992
; %bb.985:                              ;   in Loop: Header=BB2_129 Depth=2
	v_and_b32_e32 v11, 0x7c000000, v34
	v_bfe_u32 v96, v34, 24, 2
	s_delay_alu instid0(VALU_DEP_2) | instskip(SKIP_1) | instid1(SALU_CYCLE_1)
	v_cmp_ne_u32_e32 vcc_lo, 0x7c000000, v11
                                        ; implicit-def: $vgpr11
	s_and_saveexec_b32 s41, vcc_lo
	s_xor_b32 s41, exec_lo, s41
	s_cbranch_execz .LBB2_989
; %bb.986:                              ;   in Loop: Header=BB2_129 Depth=2
	v_bfe_u32 v11, v34, 26, 5
	s_mov_b32 s42, exec_lo
	s_delay_alu instid0(VALU_DEP_1)
	v_cmpx_eq_u32_e32 0, v11
; %bb.987:                              ;   in Loop: Header=BB2_129 Depth=2
	v_clz_i32_u32_e32 v11, v96
	s_delay_alu instid0(VALU_DEP_1) | instskip(NEXT) | instid1(VALU_DEP_1)
	v_min_u32_e32 v96, 32, v11
	v_subrev_nc_u32_e32 v11, 29, v96
	s_delay_alu instid0(VALU_DEP_1) | instskip(NEXT) | instid1(VALU_DEP_1)
	v_lshlrev_b64_e32 v[10:11], v11, v[10:11]
	v_dual_sub_nc_u32 v11, 30, v96 :: v_dual_bitop2_b32 v96, 3, v10 bitop3:0x40
; %bb.988:                              ;   in Loop: Header=BB2_129 Depth=2
	s_or_b32 exec_lo, exec_lo, s42
	v_and_b32_e32 v10, 0x80000000, v34
	s_delay_alu instid0(VALU_DEP_1) | instskip(NEXT) | instid1(VALU_DEP_1)
	v_lshl_add_u32 v10, v11, 23, v10
	v_lshl_or_b32 v10, v96, 21, v10
                                        ; implicit-def: $vgpr96
	s_delay_alu instid0(VALU_DEP_1)
	v_add_nc_u32_e32 v11, 0x38000000, v10
.LBB2_989:                              ;   in Loop: Header=BB2_129 Depth=2
	s_and_not1_saveexec_b32 s41, s41
; %bb.990:                              ;   in Loop: Header=BB2_129 Depth=2
	v_cmp_lt_i32_e32 vcc_lo, -1, v34
	v_cndmask_b32_e32 v10, 0xff800000, v62, vcc_lo
	v_cmp_eq_u32_e32 vcc_lo, 0, v96
	s_delay_alu instid0(VALU_DEP_2)
	v_cndmask_b32_e32 v11, 0x7f800001, v10, vcc_lo
; %bb.991:                              ;   in Loop: Header=BB2_129 Depth=2
	s_or_b32 exec_lo, exec_lo, s41
.LBB2_992:                              ;   in Loop: Header=BB2_129 Depth=2
	s_delay_alu instid0(SALU_CYCLE_1)
	s_or_b32 exec_lo, exec_lo, s40
.LBB2_993:                              ;   in Loop: Header=BB2_129 Depth=2
	s_delay_alu instid0(SALU_CYCLE_1) | instskip(SKIP_3) | instid1(VALU_DEP_2)
	s_or_b32 exec_lo, exec_lo, s11
	v_bfe_u32 v34, v12, 24, 2
	v_bfe_u32 v99, v12, 26, 5
                                        ; implicit-def: $vgpr44
	s_mov_b32 s11, exec_lo
	v_clz_i32_u32_e32 v10, v34
	s_delay_alu instid0(VALU_DEP_2) | instskip(NEXT) | instid1(VALU_DEP_2)
	v_cmp_eq_u32_e32 vcc_lo, 0, v99
	v_min_u32_e32 v98, 32, v10
	v_lshrrev_b32_e32 v10, 24, v12
	s_delay_alu instid0(VALU_DEP_2) | instskip(NEXT) | instid1(VALU_DEP_1)
	v_subrev_nc_u32_e32 v96, 29, v98
	v_lshlrev_b64_e32 v[96:97], v96, v[10:11]
	v_sub_nc_u32_e32 v97, 30, v98
	v_and_b32_e32 v98, 0x80000000, v12
	s_delay_alu instid0(VALU_DEP_2) | instskip(NEXT) | instid1(VALU_DEP_1)
	v_dual_cndmask_b32 v97, v99, v97, vcc_lo :: v_dual_bitop2_b32 v96, 3, v96 bitop3:0x40
	v_lshl_add_u32 v97, v97, 23, v98
	s_delay_alu instid0(VALU_DEP_2) | instskip(SKIP_1) | instid1(VALU_DEP_2)
	v_cndmask_b32_e32 v96, v34, v96, vcc_lo
	v_cmp_lt_i32_e32 vcc_lo, -1, v12
	v_lshl_or_b32 v96, v96, 21, v97
	v_cndmask_b32_e32 v98, 0xff800000, v62, vcc_lo
	v_and_b32_e32 v97, 0x7c000000, v12
	v_cmp_eq_u32_e32 vcc_lo, 0, v34
	s_delay_alu instid0(VALU_DEP_4) | instskip(NEXT) | instid1(VALU_DEP_4)
	v_add_nc_u32_e32 v96, 0x38000000, v96
	v_cndmask_b32_e32 v34, 0x7f800001, v98, vcc_lo
	s_delay_alu instid0(VALU_DEP_4) | instskip(NEXT) | instid1(VALU_DEP_2)
	v_cmp_eq_u32_e32 vcc_lo, 0x7c000000, v97
	v_dual_mov_b32 v97, v35 :: v_dual_cndmask_b32 v34, v96, v34
	v_cmp_ne_u32_e32 vcc_lo, 0x80, v10
	s_delay_alu instid0(VALU_DEP_2) | instskip(SKIP_1) | instid1(VALU_DEP_2)
	v_cndmask_b32_e32 v10, 0x80000000, v34, vcc_lo
	v_cmp_lt_u32_e32 vcc_lo, 0xffffff, v12
	v_cndmask_b32_e32 v10, 0, v10, vcc_lo
	s_delay_alu instid0(VALU_DEP_1) | instskip(NEXT) | instid1(VALU_DEP_1)
	v_add_f32_e32 v10, v10, v11
	v_and_b32_e32 v96, 0x7f800000, v10
	v_and_b32_e32 v34, 0x7fffff, v10
	v_lshrrev_b32_e32 v11, 24, v10
	s_delay_alu instid0(VALU_DEP_3)
	v_cmpx_ne_u64_e32 0x7f800000, v[96:97]
	s_xor_b32 s40, exec_lo, s11
	s_cbranch_execz .LBB2_1007
; %bb.994:                              ;   in Loop: Header=BB2_129 Depth=2
	v_and_b32_e32 v96, 0x7fffffff, v10
	v_mov_b32_e32 v97, v35
	v_and_b32_e32 v98, 0x80, v11
                                        ; implicit-def: $vgpr44
	s_mov_b32 s11, exec_lo
	s_delay_alu instid0(VALU_DEP_2)
	v_cmpx_gt_u64_e32 0x47600001, v[96:97]
	s_xor_b32 s41, exec_lo, s11
	s_cbranch_execz .LBB2_1004
; %bb.995:                              ;   in Loop: Header=BB2_129 Depth=2
	v_mov_b32_e32 v44, 0
	s_mov_b32 s42, exec_lo
	v_cmpx_ne_u32_e32 0, v10
	s_cbranch_execz .LBB2_1003
; %bb.996:                              ;   in Loop: Header=BB2_129 Depth=2
	v_bfe_u32 v99, v10, 23, 8
	v_or_b32_e32 v96, 0x800000, v34
	s_delay_alu instid0(VALU_DEP_2) | instskip(SKIP_1) | instid1(VALU_DEP_2)
	v_sub_nc_u32_e32 v10, 0x71, v99
	v_cmp_gt_u32_e32 vcc_lo, 0x72, v99
	v_cndmask_b32_e32 v10, 0, v10, vcc_lo
	v_cmp_eq_u32_e32 vcc_lo, 0, v99
	s_delay_alu instid0(VALU_DEP_2) | instskip(NEXT) | instid1(VALU_DEP_1)
	v_cndmask_b32_e64 v44, v10, 0x70, vcc_lo
	v_dual_cndmask_b32 v34, v96, v34, vcc_lo :: v_dual_add_nc_u32 v10, 21, v44
	v_add_nc_u32_e32 v97, 20, v44
	s_delay_alu instid0(VALU_DEP_2) | instskip(NEXT) | instid1(VALU_DEP_2)
	v_lshlrev_b64_e64 v[10:11], v10, -1
	v_lshlrev_b64_e64 v[96:97], v97, 1
	s_delay_alu instid0(VALU_DEP_2) | instskip(NEXT) | instid1(VALU_DEP_3)
	v_bfi_b32 v47, v11, 0, 0
	v_bfi_b32 v46, v10, 0, v34
	v_lshrrev_b64 v[10:11], v44, v[34:35]
	s_delay_alu instid0(VALU_DEP_2) | instskip(NEXT) | instid1(VALU_DEP_2)
	v_cmp_eq_u64_e64 s11, v[46:47], v[96:97]
	v_mov_b64_e32 v[96:97], v[10:11]
	s_and_saveexec_b32 s43, s11
; %bb.997:                              ;   in Loop: Header=BB2_129 Depth=2
	v_bfe_u32 v34, v10, 21, 1
	s_delay_alu instid0(VALU_DEP_1) | instskip(NEXT) | instid1(VALU_DEP_1)
	v_add_nc_u64_e32 v[96:97], v[10:11], v[34:35]
	v_add_nc_u64_e32 v[96:97], -1, v[96:97]
; %bb.998:                              ;   in Loop: Header=BB2_129 Depth=2
	s_or_b32 exec_lo, exec_lo, s43
	v_add_nc_u32_e32 v11, 0xffffff81, v99
	v_lshrrev_b32_e32 v34, 23, v10
	s_mov_b32 s11, exec_lo
	s_delay_alu instid0(VALU_DEP_2) | instskip(NEXT) | instid1(VALU_DEP_1)
	v_cndmask_b32_e64 v11, v11, 0xffffff82, vcc_lo
	v_add3_u32 v97, v44, v11, v34
	v_and_b32_e32 v11, 0x1fffff, v96
                                        ; implicit-def: $vgpr96
	s_delay_alu instid0(VALU_DEP_1) | instskip(NEXT) | instid1(VALU_DEP_1)
	v_dual_add_nc_u32 v99, 14, v97 :: v_dual_add_nc_u32 v34, v11, v10
                                        ; implicit-def: $vgpr10_vgpr11
	v_cmpx_ne_u32_e32 0, v99
	s_xor_b32 s11, exec_lo, s11
; %bb.999:                              ;   in Loop: Header=BB2_129 Depth=2
	s_delay_alu instid0(VALU_DEP_2) | instskip(SKIP_1) | instid1(VALU_DEP_1)
	v_cmp_lt_u64_e32 vcc_lo, 0xffffff, v[34:35]
	v_add_nc_u32_e32 v10, 15, v97
	v_cndmask_b32_e32 v96, v99, v10, vcc_lo
	v_cndmask_b32_e64 v10, 0, 1, vcc_lo
	s_delay_alu instid0(VALU_DEP_1)
	v_lshrrev_b64 v[10:11], v10, v[34:35]
; %bb.1000:                             ;   in Loop: Header=BB2_129 Depth=2
	s_and_not1_saveexec_b32 s11, s11
; %bb.1001:                             ;   in Loop: Header=BB2_129 Depth=2
	v_mov_b64_e32 v[10:11], v[34:35]
	v_bfe_u32 v96, v34, 23, 1
; %bb.1002:                             ;   in Loop: Header=BB2_129 Depth=2
	s_or_b32 exec_lo, exec_lo, s11
	s_delay_alu instid0(VALU_DEP_2) | instskip(NEXT) | instid1(VALU_DEP_2)
	v_lshrrev_b64 v[10:11], 21, v[10:11]
	v_cmp_gt_i32_e32 vcc_lo, 32, v96
	v_min_i32_e32 v34, 31, v96
	v_cmp_eq_u32_e64 s11, 0, v96
	s_delay_alu instid0(VALU_DEP_2) | instskip(SKIP_1) | instid1(VALU_DEP_2)
	v_dual_cndmask_b32 v11, 0, v11 :: v_dual_lshlrev_b32 v34, 2, v34
	v_cndmask_b32_e32 v10, 3, v10, vcc_lo
	v_and_b32_e32 v34, 0xfc, v34
	s_delay_alu instid0(VALU_DEP_2) | instskip(NEXT) | instid1(VALU_DEP_2)
	v_cmp_eq_u64_e32 vcc_lo, 0, v[10:11]
	v_and_or_b32 v10, v10, 3, v34
	s_and_b32 s11, s11, vcc_lo
	s_delay_alu instid0(VALU_DEP_1) | instid1(SALU_CYCLE_1)
	v_cndmask_b32_e64 v10, v10, 0, s11
	s_delay_alu instid0(VALU_DEP_1)
	v_or_b32_e32 v44, v10, v98
.LBB2_1003:                             ;   in Loop: Header=BB2_129 Depth=2
	s_or_b32 exec_lo, exec_lo, s42
                                        ; implicit-def: $vgpr98
.LBB2_1004:                             ;   in Loop: Header=BB2_129 Depth=2
	s_and_not1_saveexec_b32 s11, s41
; %bb.1005:                             ;   in Loop: Header=BB2_129 Depth=2
	v_or_b32_e32 v44, 0x7b, v98
; %bb.1006:                             ;   in Loop: Header=BB2_129 Depth=2
	s_or_b32 exec_lo, exec_lo, s11
                                        ; implicit-def: $vgpr10
                                        ; implicit-def: $vgpr11
.LBB2_1007:                             ;   in Loop: Header=BB2_129 Depth=2
	s_and_not1_saveexec_b32 s11, s40
	s_cbranch_execz .LBB2_1013
; %bb.1008:                             ;   in Loop: Header=BB2_129 Depth=2
	s_mov_b32 s40, exec_lo
                                        ; implicit-def: $vgpr44
	v_cmpx_ne_u64_e32 0, v[34:35]
	s_xor_b32 s40, exec_lo, s40
; %bb.1009:                             ;   in Loop: Header=BB2_129 Depth=2
	v_or_b32_e32 v44, 0x7f, v11
                                        ; implicit-def: $vgpr10
; %bb.1010:                             ;   in Loop: Header=BB2_129 Depth=2
	s_and_not1_saveexec_b32 s40, s40
; %bb.1011:                             ;   in Loop: Header=BB2_129 Depth=2
	v_cmp_lt_i32_e32 vcc_lo, -1, v10
	v_cndmask_b32_e32 v44, 0xfc, v63, vcc_lo
; %bb.1012:                             ;   in Loop: Header=BB2_129 Depth=2
	s_or_b32 exec_lo, exec_lo, s40
.LBB2_1013:                             ;   in Loop: Header=BB2_129 Depth=2
	s_delay_alu instid0(SALU_CYCLE_1) | instskip(SKIP_4) | instid1(VALU_DEP_2)
	s_or_b32 exec_lo, exec_lo, s11
	v_dual_lshlrev_b32 v10, 24, v41 :: v_dual_lshlrev_b32 v11, 16, v118
	v_lshl_or_b32 v116, v116, 8, v113
	v_mov_b32_e32 v96, 0
	s_mov_b32 s11, exec_lo
	v_or3_b32 v34, v11, v10, v116
	v_cmpx_ne_u32_e32 0, v113
	s_cbranch_execz .LBB2_1023
; %bb.1014:                             ;   in Loop: Header=BB2_129 Depth=2
	v_bfrev_b32_e32 v96, 1
	s_mov_b32 s40, exec_lo
	v_cmpx_ne_u32_e32 0x80, v113
	s_cbranch_execz .LBB2_1022
; %bb.1015:                             ;   in Loop: Header=BB2_129 Depth=2
	v_and_b32_e32 v11, 0x7c, v113
	v_and_b32_e32 v10, 3, v113
	s_mov_b32 s41, exec_lo
                                        ; implicit-def: $vgpr96
	s_delay_alu instid0(VALU_DEP_2)
	v_cmpx_ne_u32_e32 0x7c, v11
	s_xor_b32 s41, exec_lo, s41
	s_cbranch_execz .LBB2_1019
; %bb.1016:                             ;   in Loop: Header=BB2_129 Depth=2
	v_bfe_u32 v11, v113, 2, 5
	s_mov_b32 s42, exec_lo
	s_delay_alu instid0(VALU_DEP_1)
	v_cmpx_eq_u32_e32 0, v11
; %bb.1017:                             ;   in Loop: Header=BB2_129 Depth=2
	v_clz_i32_u32_e32 v10, v10
	s_delay_alu instid0(VALU_DEP_1) | instskip(NEXT) | instid1(VALU_DEP_1)
	v_min_u32_e32 v96, 32, v10
	v_subrev_nc_u32_e32 v10, 29, v96
	s_delay_alu instid0(VALU_DEP_1) | instskip(NEXT) | instid1(VALU_DEP_1)
	v_lshlrev_b64_e32 v[10:11], v10, v[34:35]
	v_dual_sub_nc_u32 v11, 30, v96 :: v_dual_bitop2_b32 v10, 3, v10 bitop3:0x40
; %bb.1018:                             ;   in Loop: Header=BB2_129 Depth=2
	s_or_b32 exec_lo, exec_lo, s42
	v_lshlrev_b32_e32 v96, 24, v113
                                        ; implicit-def: $vgpr113
	s_delay_alu instid0(VALU_DEP_1) | instskip(NEXT) | instid1(VALU_DEP_1)
	v_and_b32_e32 v96, 0x80000000, v96
	v_lshl_add_u32 v11, v11, 23, v96
	s_delay_alu instid0(VALU_DEP_1) | instskip(NEXT) | instid1(VALU_DEP_1)
	v_lshl_or_b32 v10, v10, 21, v11
	v_add_nc_u32_e32 v96, 0x38000000, v10
                                        ; implicit-def: $vgpr10
.LBB2_1019:                             ;   in Loop: Header=BB2_129 Depth=2
	s_and_not1_saveexec_b32 s41, s41
; %bb.1020:                             ;   in Loop: Header=BB2_129 Depth=2
	v_and_b32_e32 v11, 0x80, v113
	s_delay_alu instid0(VALU_DEP_1) | instskip(SKIP_2) | instid1(VALU_DEP_2)
	v_cmp_eq_u32_e32 vcc_lo, 0, v11
	v_cndmask_b32_e32 v11, 0xff800000, v62, vcc_lo
	v_cmp_eq_u32_e32 vcc_lo, 0, v10
	v_cndmask_b32_e32 v96, 0x7f800001, v11, vcc_lo
; %bb.1021:                             ;   in Loop: Header=BB2_129 Depth=2
	s_or_b32 exec_lo, exec_lo, s41
.LBB2_1022:                             ;   in Loop: Header=BB2_129 Depth=2
	s_delay_alu instid0(SALU_CYCLE_1)
	s_or_b32 exec_lo, exec_lo, s40
.LBB2_1023:                             ;   in Loop: Header=BB2_129 Depth=2
	s_delay_alu instid0(SALU_CYCLE_1) | instskip(SKIP_4) | instid1(VALU_DEP_2)
	s_or_b32 exec_lo, exec_lo, s11
	v_and_b32_e32 v11, 0xff, v13
	v_mov_b32_e32 v10, v13
	s_mov_b32 s40, 0
	s_mov_b32 s11, exec_lo
	v_cmpx_lt_i16_e32 0x7f, v11
	s_xor_b32 s11, exec_lo, s11
	s_cbranch_execnz .LBB2_1180
; %bb.1024:                             ;   in Loop: Header=BB2_129 Depth=2
	s_or_saveexec_b32 s11, s11
	v_bfrev_b32_e32 v97, 1
	s_xor_b32 exec_lo, exec_lo, s11
	s_cbranch_execnz .LBB2_1183
.LBB2_1025:                             ;   in Loop: Header=BB2_129 Depth=2
	s_or_b32 exec_lo, exec_lo, s11
	v_mov_b32_e32 v11, v35
	s_and_saveexec_b32 s11, s40
	s_cbranch_execz .LBB2_1027
.LBB2_1026:                             ;   in Loop: Header=BB2_129 Depth=2
	v_and_b32_e32 v97, 3, v13
	s_delay_alu instid0(VALU_DEP_1) | instskip(NEXT) | instid1(VALU_DEP_1)
	v_clz_i32_u32_e32 v98, v97
	v_min_u32_e32 v113, 32, v98
	s_delay_alu instid0(VALU_DEP_1) | instskip(NEXT) | instid1(VALU_DEP_1)
	v_subrev_nc_u32_e32 v98, 29, v113
	v_lshlrev_b64_e32 v[98:99], v98, v[10:11]
	v_bfe_u32 v99, v13, 2, 5
	v_lshlrev_b32_e32 v11, 24, v13
	v_sub_nc_u32_e32 v113, 30, v113
	s_delay_alu instid0(VALU_DEP_3) | instskip(NEXT) | instid1(VALU_DEP_3)
	v_cmp_eq_u32_e32 vcc_lo, 0, v99
	v_and_b32_e32 v11, 0x80000000, v11
	s_delay_alu instid0(VALU_DEP_3) | instskip(SKIP_1) | instid1(VALU_DEP_2)
	v_dual_cndmask_b32 v99, v99, v113, vcc_lo :: v_dual_bitop2_b32 v98, 3, v98 bitop3:0x40
	v_bfe_i32 v113, v13, 0, 8
	v_cndmask_b32_e32 v98, v97, v98, vcc_lo
	s_delay_alu instid0(VALU_DEP_3) | instskip(NEXT) | instid1(VALU_DEP_3)
	v_lshl_add_u32 v11, v99, 23, v11
	v_cmp_lt_i16_e32 vcc_lo, -1, v113
	s_delay_alu instid0(VALU_DEP_2) | instskip(SKIP_3) | instid1(VALU_DEP_4)
	v_lshl_or_b32 v11, v98, 21, v11
	v_cndmask_b32_e32 v99, 0xff800000, v62, vcc_lo
	v_and_b32_e32 v98, 0x7c, v13
	v_cmp_eq_u32_e32 vcc_lo, 0, v97
	v_add_nc_u32_e32 v11, 0x38000000, v11
	s_delay_alu instid0(VALU_DEP_4) | instskip(NEXT) | instid1(VALU_DEP_4)
	v_cndmask_b32_e32 v97, 0x7f800001, v99, vcc_lo
	v_cmp_eq_u32_e32 vcc_lo, 0x7c, v98
	s_delay_alu instid0(VALU_DEP_2)
	v_cndmask_b32_e32 v97, v11, v97, vcc_lo
.LBB2_1027:                             ;   in Loop: Header=BB2_129 Depth=2
	s_or_b32 exec_lo, exec_lo, s11
	s_delay_alu instid0(VALU_DEP_1) | instskip(SKIP_2) | instid1(VALU_DEP_2)
	v_dual_add_f32 v99, v96, v97 :: v_dual_mov_b32 v47, v35
	v_mov_b32_e32 v97, v35
                                        ; implicit-def: $vgpr98
	s_mov_b32 s11, exec_lo
	v_and_b32_e32 v46, 0x7f800000, v99
	v_and_b32_e32 v96, 0x7fffff, v99
	v_lshrrev_b32_e32 v11, 24, v99
	s_delay_alu instid0(VALU_DEP_3)
	v_cmpx_ne_u64_e32 0x7f800000, v[46:47]
	s_xor_b32 s40, exec_lo, s11
	s_cbranch_execz .LBB2_1041
; %bb.1028:                             ;   in Loop: Header=BB2_129 Depth=2
	v_and_b32_e32 v46, 0x7fffffff, v99
	v_mov_b32_e32 v47, v35
	v_and_b32_e32 v11, 0x80, v11
                                        ; implicit-def: $vgpr98
	s_mov_b32 s11, exec_lo
	s_delay_alu instid0(VALU_DEP_2)
	v_cmpx_gt_u64_e32 0x47600001, v[46:47]
	s_xor_b32 s41, exec_lo, s11
	s_cbranch_execz .LBB2_1038
; %bb.1029:                             ;   in Loop: Header=BB2_129 Depth=2
	v_mov_b32_e32 v98, 0
	s_mov_b32 s42, exec_lo
	v_cmpx_ne_u32_e32 0, v99
	s_cbranch_execz .LBB2_1037
; %bb.1030:                             ;   in Loop: Header=BB2_129 Depth=2
	v_bfe_u32 v113, v99, 23, 8
	v_or_b32_e32 v41, 0x800000, v96
	s_delay_alu instid0(VALU_DEP_2) | instskip(SKIP_1) | instid1(VALU_DEP_2)
	v_sub_nc_u32_e32 v98, 0x71, v113
	v_cmp_gt_u32_e32 vcc_lo, 0x72, v113
	v_cndmask_b32_e32 v98, 0, v98, vcc_lo
	v_cmp_eq_u32_e32 vcc_lo, 0, v113
	v_cndmask_b32_e32 v96, v41, v96, vcc_lo
	s_delay_alu instid0(VALU_DEP_3) | instskip(NEXT) | instid1(VALU_DEP_1)
	v_cndmask_b32_e64 v118, v98, 0x70, vcc_lo
	v_dual_add_nc_u32 v98, 21, v118 :: v_dual_add_nc_u32 v45, 20, v118
	s_delay_alu instid0(VALU_DEP_1) | instskip(NEXT) | instid1(VALU_DEP_2)
	v_lshlrev_b64_e64 v[98:99], v98, -1
	v_lshlrev_b64_e64 v[46:47], v45, 1
	s_delay_alu instid0(VALU_DEP_2) | instskip(SKIP_1) | instid1(VALU_DEP_4)
	v_bfi_b32 v98, v98, 0, v96
	v_lshrrev_b64 v[96:97], v118, v[96:97]
	v_bfi_b32 v99, v99, 0, 0
	s_delay_alu instid0(VALU_DEP_1) | instskip(NEXT) | instid1(VALU_DEP_3)
	v_cmp_eq_u64_e64 s11, v[98:99], v[46:47]
	v_mov_b64_e32 v[98:99], v[96:97]
	s_and_saveexec_b32 s43, s11
; %bb.1031:                             ;   in Loop: Header=BB2_129 Depth=2
	v_bfe_u32 v98, v96, 21, 1
	v_mov_b32_e32 v99, v35
	s_delay_alu instid0(VALU_DEP_1) | instskip(NEXT) | instid1(VALU_DEP_1)
	v_add_nc_u64_e32 v[98:99], v[96:97], v[98:99]
	v_add_nc_u64_e32 v[98:99], -1, v[98:99]
; %bb.1032:                             ;   in Loop: Header=BB2_129 Depth=2
	s_or_b32 exec_lo, exec_lo, s43
	v_add_nc_u32_e32 v97, 0xffffff81, v113
	v_lshrrev_b32_e32 v99, 23, v96
	s_mov_b32 s11, exec_lo
	s_delay_alu instid0(VALU_DEP_2) | instskip(NEXT) | instid1(VALU_DEP_1)
	v_cndmask_b32_e64 v97, v97, 0xffffff82, vcc_lo
	v_add3_u32 v99, v118, v97, v99
	v_and_b32_e32 v97, 0x1fffff, v98
                                        ; implicit-def: $vgpr98
	s_delay_alu instid0(VALU_DEP_1) | instskip(SKIP_1) | instid1(VALU_DEP_2)
	v_dual_add_nc_u32 v113, 14, v99 :: v_dual_add_nc_u32 v96, v97, v96
	v_mov_b32_e32 v97, v35
	v_cmpx_ne_u32_e32 0, v113
	s_xor_b32 s11, exec_lo, s11
; %bb.1033:                             ;   in Loop: Header=BB2_129 Depth=2
	s_delay_alu instid0(VALU_DEP_2) | instskip(SKIP_2) | instid1(VALU_DEP_2)
	v_cmp_lt_u64_e32 vcc_lo, 0xffffff, v[96:97]
	v_add_nc_u32_e32 v98, 15, v99
	v_cndmask_b32_e64 v99, 0, 1, vcc_lo
	v_cndmask_b32_e32 v98, v113, v98, vcc_lo
	s_delay_alu instid0(VALU_DEP_2)
	v_lshrrev_b64 v[96:97], v99, v[96:97]
; %bb.1034:                             ;   in Loop: Header=BB2_129 Depth=2
	s_and_not1_saveexec_b32 s11, s11
; %bb.1035:                             ;   in Loop: Header=BB2_129 Depth=2
	s_delay_alu instid0(VALU_DEP_1)
	v_bfe_u32 v98, v96, 23, 1
; %bb.1036:                             ;   in Loop: Header=BB2_129 Depth=2
	s_or_b32 exec_lo, exec_lo, s11
	s_delay_alu instid0(VALU_DEP_2) | instskip(NEXT) | instid1(VALU_DEP_2)
	v_lshrrev_b64 v[96:97], 21, v[96:97]
	v_cmp_gt_i32_e32 vcc_lo, 32, v98
	v_min_i32_e32 v99, 31, v98
	v_cmp_eq_u32_e64 s11, 0, v98
	s_delay_alu instid0(VALU_DEP_2) | instskip(SKIP_1) | instid1(VALU_DEP_2)
	v_dual_cndmask_b32 v97, 0, v97, vcc_lo :: v_dual_lshlrev_b32 v99, 2, v99
	v_cndmask_b32_e32 v96, 3, v96, vcc_lo
	v_and_b32_e32 v99, 0xfc, v99
	s_delay_alu instid0(VALU_DEP_2) | instskip(NEXT) | instid1(VALU_DEP_2)
	v_cmp_eq_u64_e32 vcc_lo, 0, v[96:97]
	v_and_or_b32 v96, v96, 3, v99
	s_and_b32 s11, s11, vcc_lo
	s_delay_alu instid0(VALU_DEP_1) | instid1(SALU_CYCLE_1)
	v_cndmask_b32_e64 v96, v96, 0, s11
	s_delay_alu instid0(VALU_DEP_1)
	v_or_b32_e32 v98, v96, v11
.LBB2_1037:                             ;   in Loop: Header=BB2_129 Depth=2
	s_or_b32 exec_lo, exec_lo, s42
                                        ; implicit-def: $vgpr11
.LBB2_1038:                             ;   in Loop: Header=BB2_129 Depth=2
	s_and_not1_saveexec_b32 s11, s41
; %bb.1039:                             ;   in Loop: Header=BB2_129 Depth=2
	v_or_b32_e32 v98, 0x7b, v11
; %bb.1040:                             ;   in Loop: Header=BB2_129 Depth=2
	s_or_b32 exec_lo, exec_lo, s11
                                        ; implicit-def: $vgpr99
                                        ; implicit-def: $vgpr96_vgpr97
                                        ; implicit-def: $vgpr11
.LBB2_1041:                             ;   in Loop: Header=BB2_129 Depth=2
	s_and_not1_saveexec_b32 s11, s40
	s_cbranch_execz .LBB2_1047
; %bb.1042:                             ;   in Loop: Header=BB2_129 Depth=2
	s_mov_b32 s40, exec_lo
                                        ; implicit-def: $vgpr98
	v_cmpx_ne_u64_e32 0, v[96:97]
	s_xor_b32 s40, exec_lo, s40
; %bb.1043:                             ;   in Loop: Header=BB2_129 Depth=2
	v_or_b32_e32 v98, 0x7f, v11
                                        ; implicit-def: $vgpr99
; %bb.1044:                             ;   in Loop: Header=BB2_129 Depth=2
	s_and_not1_saveexec_b32 s40, s40
; %bb.1045:                             ;   in Loop: Header=BB2_129 Depth=2
	v_cmp_lt_i32_e32 vcc_lo, -1, v99
	v_cndmask_b32_e32 v98, 0xfc, v63, vcc_lo
; %bb.1046:                             ;   in Loop: Header=BB2_129 Depth=2
	s_or_b32 exec_lo, exec_lo, s40
.LBB2_1047:                             ;   in Loop: Header=BB2_129 Depth=2
	s_delay_alu instid0(SALU_CYCLE_1) | instskip(SKIP_3) | instid1(VALU_DEP_2)
	s_or_b32 exec_lo, exec_lo, s11
	v_lshrrev_b16 v96, 8, v116
	v_mov_b32_e32 v11, 0
	s_mov_b32 s11, exec_lo
	v_cmpx_ne_u16_e32 0, v96
	s_cbranch_execz .LBB2_1057
; %bb.1048:                             ;   in Loop: Header=BB2_129 Depth=2
	v_bfrev_b32_e32 v11, 1
	s_mov_b32 s40, exec_lo
	v_cmpx_ne_u16_e32 0x80, v96
	s_cbranch_execz .LBB2_1056
; %bb.1049:                             ;   in Loop: Header=BB2_129 Depth=2
	v_and_b32_e32 v99, 0xffff, v96
	s_delay_alu instid0(VALU_DEP_1) | instskip(SKIP_1) | instid1(VALU_DEP_2)
	v_and_b32_e32 v11, 0x7c, v99
	v_and_b32_e32 v97, 3, v99
	v_cmp_ne_u32_e32 vcc_lo, 0x7c, v11
                                        ; implicit-def: $vgpr11
	s_and_saveexec_b32 s41, vcc_lo
	s_delay_alu instid0(SALU_CYCLE_1)
	s_xor_b32 s41, exec_lo, s41
	s_cbranch_execz .LBB2_1053
; %bb.1050:                             ;   in Loop: Header=BB2_129 Depth=2
	v_bfe_u32 v11, v99, 2, 5
	s_mov_b32 s42, exec_lo
	s_delay_alu instid0(VALU_DEP_1)
	v_cmpx_eq_u32_e32 0, v11
	s_cbranch_execz .LBB2_1052
; %bb.1051:                             ;   in Loop: Header=BB2_129 Depth=2
	v_clz_i32_u32_e32 v11, v97
	s_delay_alu instid0(VALU_DEP_1) | instskip(SKIP_1) | instid1(VALU_DEP_2)
	v_min_u32_e32 v11, 32, v11
	v_mov_b32_e32 v97, v35
	v_subrev_nc_u32_e32 v99, 29, v11
	v_sub_nc_u32_e32 v11, 30, v11
	s_delay_alu instid0(VALU_DEP_2) | instskip(NEXT) | instid1(VALU_DEP_1)
	v_lshlrev_b64_e32 v[96:97], v99, v[96:97]
	v_and_b32_e32 v97, 3, v96
.LBB2_1052:                             ;   in Loop: Header=BB2_129 Depth=2
	s_or_b32 exec_lo, exec_lo, s42
	v_lshlrev_b32_e32 v96, 16, v116
                                        ; implicit-def: $vgpr116
	s_delay_alu instid0(VALU_DEP_1) | instskip(NEXT) | instid1(VALU_DEP_1)
	v_and_b32_e32 v96, 0x80000000, v96
	v_lshl_add_u32 v11, v11, 23, v96
	s_delay_alu instid0(VALU_DEP_1) | instskip(NEXT) | instid1(VALU_DEP_1)
	v_lshl_or_b32 v11, v97, 21, v11
                                        ; implicit-def: $vgpr97
	v_add_nc_u32_e32 v11, 0x38000000, v11
.LBB2_1053:                             ;   in Loop: Header=BB2_129 Depth=2
	s_and_not1_saveexec_b32 s41, s41
; %bb.1054:                             ;   in Loop: Header=BB2_129 Depth=2
	v_cmp_lt_i16_e32 vcc_lo, -1, v116
	v_cndmask_b32_e32 v11, 0xff800000, v62, vcc_lo
	v_cmp_eq_u32_e32 vcc_lo, 0, v97
	s_delay_alu instid0(VALU_DEP_2)
	v_cndmask_b32_e32 v11, 0x7f800001, v11, vcc_lo
; %bb.1055:                             ;   in Loop: Header=BB2_129 Depth=2
	s_or_b32 exec_lo, exec_lo, s41
.LBB2_1056:                             ;   in Loop: Header=BB2_129 Depth=2
	s_delay_alu instid0(SALU_CYCLE_1)
	s_or_b32 exec_lo, exec_lo, s40
.LBB2_1057:                             ;   in Loop: Header=BB2_129 Depth=2
	s_delay_alu instid0(SALU_CYCLE_1) | instskip(SKIP_3) | instid1(VALU_DEP_1)
	s_or_b32 exec_lo, exec_lo, s11
	v_lshrrev_b16 v96, 8, v10
	s_mov_b32 s40, 0
	s_mov_b32 s11, exec_lo
	v_cmpx_lt_i16_e32 0x7f, v96
	s_xor_b32 s11, exec_lo, s11
	s_cbranch_execnz .LBB2_1184
; %bb.1058:                             ;   in Loop: Header=BB2_129 Depth=2
	s_or_saveexec_b32 s11, s11
	v_bfrev_b32_e32 v97, 1
	s_xor_b32 exec_lo, exec_lo, s11
	s_cbranch_execnz .LBB2_1187
.LBB2_1059:                             ;   in Loop: Header=BB2_129 Depth=2
	s_or_b32 exec_lo, exec_lo, s11
	s_and_saveexec_b32 s11, s40
	s_cbranch_execz .LBB2_1061
.LBB2_1060:                             ;   in Loop: Header=BB2_129 Depth=2
	v_and_b32_e32 v99, 0xffff, v96
	s_delay_alu instid0(VALU_DEP_1) | instskip(NEXT) | instid1(VALU_DEP_1)
	v_and_b32_e32 v113, 3, v99
	v_clz_i32_u32_e32 v97, v113
	s_delay_alu instid0(VALU_DEP_1) | instskip(SKIP_1) | instid1(VALU_DEP_2)
	v_min_u32_e32 v116, 32, v97
	v_mov_b32_e32 v97, v35
	v_subrev_nc_u32_e32 v118, 29, v116
	v_sub_nc_u32_e32 v116, 30, v116
	s_delay_alu instid0(VALU_DEP_2) | instskip(SKIP_2) | instid1(VALU_DEP_2)
	v_lshlrev_b64_e32 v[46:47], v118, v[96:97]
	v_bfe_u32 v97, v99, 2, 5
	v_lshlrev_b32_e32 v96, 24, v96
	v_cmp_eq_u32_e32 vcc_lo, 0, v97
	s_delay_alu instid0(VALU_DEP_4) | instskip(NEXT) | instid1(VALU_DEP_3)
	v_and_b32_e32 v118, 3, v46
	v_and_b32_e32 v96, 0x80000000, v96
	v_cndmask_b32_e32 v97, v97, v116, vcc_lo
	s_delay_alu instid0(VALU_DEP_3) | instskip(SKIP_1) | instid1(VALU_DEP_3)
	v_cndmask_b32_e32 v116, v113, v118, vcc_lo
	v_cmp_lt_i16_e32 vcc_lo, -1, v10
	v_lshl_add_u32 v96, v97, 23, v96
	v_and_b32_e32 v97, 0x7c, v99
	v_cndmask_b32_e32 v10, 0xff800000, v62, vcc_lo
	v_cmp_eq_u32_e32 vcc_lo, 0, v113
	s_delay_alu instid0(VALU_DEP_4) | instskip(NEXT) | instid1(VALU_DEP_3)
	v_lshl_or_b32 v96, v116, 21, v96
	v_cndmask_b32_e32 v10, 0x7f800001, v10, vcc_lo
	v_cmp_eq_u32_e32 vcc_lo, 0x7c, v97
	s_delay_alu instid0(VALU_DEP_3) | instskip(NEXT) | instid1(VALU_DEP_1)
	v_add_nc_u32_e32 v96, 0x38000000, v96
	v_cndmask_b32_e32 v97, v96, v10, vcc_lo
.LBB2_1061:                             ;   in Loop: Header=BB2_129 Depth=2
	s_or_b32 exec_lo, exec_lo, s11
	s_delay_alu instid0(VALU_DEP_1) | instskip(SKIP_2) | instid1(VALU_DEP_2)
	v_add_f32_e32 v96, v11, v97
	v_dual_mov_b32 v47, v35 :: v_dual_mov_b32 v11, v35
                                        ; implicit-def: $vgpr99
	s_mov_b32 s11, exec_lo
	v_and_b32_e32 v46, 0x7f800000, v96
	v_and_b32_e32 v10, 0x7fffff, v96
	v_lshrrev_b32_e32 v97, 24, v96
	s_delay_alu instid0(VALU_DEP_3)
	v_cmpx_ne_u64_e32 0x7f800000, v[46:47]
	s_xor_b32 s40, exec_lo, s11
	s_cbranch_execz .LBB2_1075
; %bb.1062:                             ;   in Loop: Header=BB2_129 Depth=2
	v_and_b32_e32 v46, 0x7fffffff, v96
	v_mov_b32_e32 v47, v35
	v_and_b32_e32 v113, 0x80, v97
                                        ; implicit-def: $vgpr99
	s_mov_b32 s11, exec_lo
	s_delay_alu instid0(VALU_DEP_2)
	v_cmpx_gt_u64_e32 0x47600001, v[46:47]
	s_xor_b32 s41, exec_lo, s11
	s_cbranch_execz .LBB2_1072
; %bb.1063:                             ;   in Loop: Header=BB2_129 Depth=2
	v_mov_b32_e32 v99, 0
	s_mov_b32 s42, exec_lo
	v_cmpx_ne_u32_e32 0, v96
	s_cbranch_execz .LBB2_1071
; %bb.1064:                             ;   in Loop: Header=BB2_129 Depth=2
	v_bfe_u32 v99, v96, 23, 8
	v_or_b32_e32 v118, 0x800000, v10
	s_delay_alu instid0(VALU_DEP_2) | instskip(SKIP_1) | instid1(VALU_DEP_2)
	v_sub_nc_u32_e32 v96, 0x71, v99
	v_cmp_gt_u32_e32 vcc_lo, 0x72, v99
	v_cndmask_b32_e32 v96, 0, v96, vcc_lo
	v_cmp_eq_u32_e32 vcc_lo, 0, v99
	v_cndmask_b32_e32 v10, v118, v10, vcc_lo
	s_delay_alu instid0(VALU_DEP_3) | instskip(NEXT) | instid1(VALU_DEP_1)
	v_cndmask_b32_e64 v116, v96, 0x70, vcc_lo
	v_dual_add_nc_u32 v96, 21, v116 :: v_dual_add_nc_u32 v41, 20, v116
	s_delay_alu instid0(VALU_DEP_1) | instskip(NEXT) | instid1(VALU_DEP_2)
	v_lshlrev_b64_e64 v[96:97], v96, -1
	v_lshlrev_b64_e64 v[46:47], v41, 1
	s_delay_alu instid0(VALU_DEP_2) | instskip(SKIP_1) | instid1(VALU_DEP_4)
	v_bfi_b32 v96, v96, 0, v10
	v_lshrrev_b64 v[10:11], v116, v[10:11]
	v_bfi_b32 v97, v97, 0, 0
	s_delay_alu instid0(VALU_DEP_1) | instskip(NEXT) | instid1(VALU_DEP_3)
	v_cmp_eq_u64_e64 s11, v[96:97], v[46:47]
	v_mov_b64_e32 v[96:97], v[10:11]
	s_and_saveexec_b32 s43, s11
; %bb.1065:                             ;   in Loop: Header=BB2_129 Depth=2
	v_bfe_u32 v96, v10, 21, 1
	v_mov_b32_e32 v97, v35
	s_delay_alu instid0(VALU_DEP_1) | instskip(NEXT) | instid1(VALU_DEP_1)
	v_add_nc_u64_e32 v[96:97], v[10:11], v[96:97]
	v_add_nc_u64_e32 v[96:97], -1, v[96:97]
; %bb.1066:                             ;   in Loop: Header=BB2_129 Depth=2
	s_or_b32 exec_lo, exec_lo, s43
	v_add_nc_u32_e32 v11, 0xffffff81, v99
	v_lshrrev_b32_e32 v97, 23, v10
	s_mov_b32 s11, exec_lo
	s_delay_alu instid0(VALU_DEP_2) | instskip(NEXT) | instid1(VALU_DEP_1)
	v_cndmask_b32_e64 v11, v11, 0xffffff82, vcc_lo
	v_add3_u32 v97, v116, v11, v97
	v_and_b32_e32 v11, 0x1fffff, v96
                                        ; implicit-def: $vgpr96
	s_delay_alu instid0(VALU_DEP_1) | instskip(SKIP_1) | instid1(VALU_DEP_2)
	v_dual_add_nc_u32 v99, 14, v97 :: v_dual_add_nc_u32 v10, v11, v10
	v_mov_b32_e32 v11, v35
	v_cmpx_ne_u32_e32 0, v99
	s_xor_b32 s11, exec_lo, s11
; %bb.1067:                             ;   in Loop: Header=BB2_129 Depth=2
	s_delay_alu instid0(VALU_DEP_2) | instskip(SKIP_2) | instid1(VALU_DEP_2)
	v_cmp_lt_u64_e32 vcc_lo, 0xffffff, v[10:11]
	v_add_nc_u32_e32 v96, 15, v97
	v_cndmask_b32_e64 v97, 0, 1, vcc_lo
	v_cndmask_b32_e32 v96, v99, v96, vcc_lo
	s_delay_alu instid0(VALU_DEP_2)
	v_lshrrev_b64 v[10:11], v97, v[10:11]
; %bb.1068:                             ;   in Loop: Header=BB2_129 Depth=2
	s_and_not1_saveexec_b32 s11, s11
; %bb.1069:                             ;   in Loop: Header=BB2_129 Depth=2
	s_delay_alu instid0(VALU_DEP_1)
	v_bfe_u32 v96, v10, 23, 1
; %bb.1070:                             ;   in Loop: Header=BB2_129 Depth=2
	s_or_b32 exec_lo, exec_lo, s11
	s_delay_alu instid0(VALU_DEP_2) | instskip(NEXT) | instid1(VALU_DEP_2)
	v_lshrrev_b64 v[10:11], 21, v[10:11]
	v_cmp_gt_i32_e32 vcc_lo, 32, v96
	v_min_i32_e32 v97, 31, v96
	v_cmp_eq_u32_e64 s11, 0, v96
	s_delay_alu instid0(VALU_DEP_2) | instskip(SKIP_1) | instid1(VALU_DEP_2)
	v_dual_cndmask_b32 v11, 0, v11, vcc_lo :: v_dual_lshlrev_b32 v97, 2, v97
	v_cndmask_b32_e32 v10, 3, v10, vcc_lo
	v_and_b32_e32 v97, 0xfc, v97
	s_delay_alu instid0(VALU_DEP_2) | instskip(NEXT) | instid1(VALU_DEP_2)
	v_cmp_eq_u64_e32 vcc_lo, 0, v[10:11]
	v_and_or_b32 v10, v10, 3, v97
	s_and_b32 s11, s11, vcc_lo
	s_delay_alu instid0(VALU_DEP_1) | instid1(SALU_CYCLE_1)
	v_cndmask_b32_e64 v10, v10, 0, s11
	s_delay_alu instid0(VALU_DEP_1)
	v_or_b32_e32 v99, v10, v113
.LBB2_1071:                             ;   in Loop: Header=BB2_129 Depth=2
	s_or_b32 exec_lo, exec_lo, s42
                                        ; implicit-def: $vgpr113
.LBB2_1072:                             ;   in Loop: Header=BB2_129 Depth=2
	s_and_not1_saveexec_b32 s11, s41
; %bb.1073:                             ;   in Loop: Header=BB2_129 Depth=2
	v_or_b32_e32 v99, 0x7b, v113
; %bb.1074:                             ;   in Loop: Header=BB2_129 Depth=2
	s_or_b32 exec_lo, exec_lo, s11
                                        ; implicit-def: $vgpr96
                                        ; implicit-def: $vgpr10_vgpr11
                                        ; implicit-def: $vgpr97
.LBB2_1075:                             ;   in Loop: Header=BB2_129 Depth=2
	s_and_not1_saveexec_b32 s11, s40
	s_cbranch_execz .LBB2_1081
; %bb.1076:                             ;   in Loop: Header=BB2_129 Depth=2
	s_mov_b32 s40, exec_lo
                                        ; implicit-def: $vgpr99
	v_cmpx_ne_u64_e32 0, v[10:11]
	s_xor_b32 s40, exec_lo, s40
; %bb.1077:                             ;   in Loop: Header=BB2_129 Depth=2
	v_or_b32_e32 v99, 0x7f, v97
                                        ; implicit-def: $vgpr96
; %bb.1078:                             ;   in Loop: Header=BB2_129 Depth=2
	s_and_not1_saveexec_b32 s40, s40
; %bb.1079:                             ;   in Loop: Header=BB2_129 Depth=2
	v_cmp_lt_i32_e32 vcc_lo, -1, v96
	v_cndmask_b32_e32 v99, 0xfc, v63, vcc_lo
; %bb.1080:                             ;   in Loop: Header=BB2_129 Depth=2
	s_or_b32 exec_lo, exec_lo, s40
.LBB2_1081:                             ;   in Loop: Header=BB2_129 Depth=2
	s_delay_alu instid0(SALU_CYCLE_1) | instskip(SKIP_2) | instid1(VALU_DEP_1)
	s_or_b32 exec_lo, exec_lo, s11
	v_dual_mov_b32 v11, 0 :: v_dual_lshrrev_b32 v10, 16, v34
	s_mov_b32 s11, exec_lo
	v_and_b32_e32 v96, 0xff, v10
	s_delay_alu instid0(VALU_DEP_1)
	v_cmpx_ne_u16_e32 0, v96
	s_cbranch_execz .LBB2_1091
; %bb.1082:                             ;   in Loop: Header=BB2_129 Depth=2
	v_bfrev_b32_e32 v11, 1
	s_mov_b32 s40, exec_lo
	v_cmpx_ne_u16_e32 0x80, v96
	s_cbranch_execz .LBB2_1090
; %bb.1083:                             ;   in Loop: Header=BB2_129 Depth=2
	v_and_b32_e32 v11, 0x7c0000, v34
	v_bfe_u32 v96, v34, 16, 2
	s_delay_alu instid0(VALU_DEP_2) | instskip(SKIP_1) | instid1(SALU_CYCLE_1)
	v_cmp_ne_u32_e32 vcc_lo, 0x7c0000, v11
                                        ; implicit-def: $vgpr11
	s_and_saveexec_b32 s41, vcc_lo
	s_xor_b32 s41, exec_lo, s41
	s_cbranch_execz .LBB2_1087
; %bb.1084:                             ;   in Loop: Header=BB2_129 Depth=2
	v_bfe_u32 v11, v34, 18, 5
	s_mov_b32 s42, exec_lo
	s_delay_alu instid0(VALU_DEP_1)
	v_cmpx_eq_u32_e32 0, v11
; %bb.1085:                             ;   in Loop: Header=BB2_129 Depth=2
	v_clz_i32_u32_e32 v11, v96
	s_delay_alu instid0(VALU_DEP_1) | instskip(NEXT) | instid1(VALU_DEP_1)
	v_min_u32_e32 v11, 32, v11
	v_subrev_nc_u32_e32 v96, 29, v11
	s_delay_alu instid0(VALU_DEP_1) | instskip(NEXT) | instid1(VALU_DEP_1)
	v_lshlrev_b64_e32 v[96:97], v96, v[10:11]
	v_dual_sub_nc_u32 v11, 30, v11 :: v_dual_bitop2_b32 v96, 3, v96 bitop3:0x40
; %bb.1086:                             ;   in Loop: Header=BB2_129 Depth=2
	s_or_b32 exec_lo, exec_lo, s42
	v_lshlrev_b32_e32 v10, 24, v10
	s_delay_alu instid0(VALU_DEP_1) | instskip(NEXT) | instid1(VALU_DEP_1)
	v_and_b32_e32 v10, 0x80000000, v10
	v_lshl_add_u32 v10, v11, 23, v10
	s_delay_alu instid0(VALU_DEP_1) | instskip(NEXT) | instid1(VALU_DEP_1)
	v_lshl_or_b32 v10, v96, 21, v10
                                        ; implicit-def: $vgpr96
	v_add_nc_u32_e32 v11, 0x38000000, v10
                                        ; implicit-def: $vgpr10
.LBB2_1087:                             ;   in Loop: Header=BB2_129 Depth=2
	s_and_not1_saveexec_b32 s41, s41
; %bb.1088:                             ;   in Loop: Header=BB2_129 Depth=2
	v_bfe_i32 v10, v10, 0, 8
	s_delay_alu instid0(VALU_DEP_1) | instskip(SKIP_2) | instid1(VALU_DEP_2)
	v_cmp_lt_i16_e32 vcc_lo, -1, v10
	v_cndmask_b32_e32 v10, 0xff800000, v62, vcc_lo
	v_cmp_eq_u32_e32 vcc_lo, 0, v96
	v_cndmask_b32_e32 v11, 0x7f800001, v10, vcc_lo
; %bb.1089:                             ;   in Loop: Header=BB2_129 Depth=2
	s_or_b32 exec_lo, exec_lo, s41
.LBB2_1090:                             ;   in Loop: Header=BB2_129 Depth=2
	s_delay_alu instid0(SALU_CYCLE_1)
	s_or_b32 exec_lo, exec_lo, s40
.LBB2_1091:                             ;   in Loop: Header=BB2_129 Depth=2
	s_delay_alu instid0(SALU_CYCLE_1) | instskip(SKIP_3) | instid1(VALU_DEP_1)
	s_or_b32 exec_lo, exec_lo, s11
	v_lshrrev_b32_e32 v10, 16, v13
	s_mov_b32 s40, 0
	s_mov_b32 s11, exec_lo
	v_and_b32_e32 v97, 0xff, v10
	s_delay_alu instid0(VALU_DEP_1)
	v_cmpx_lt_i16_e32 0x7f, v97
	s_xor_b32 s11, exec_lo, s11
	s_cbranch_execnz .LBB2_1188
; %bb.1092:                             ;   in Loop: Header=BB2_129 Depth=2
	s_or_saveexec_b32 s11, s11
	v_bfrev_b32_e32 v96, 1
	s_xor_b32 exec_lo, exec_lo, s11
	s_cbranch_execnz .LBB2_1191
.LBB2_1093:                             ;   in Loop: Header=BB2_129 Depth=2
	s_or_b32 exec_lo, exec_lo, s11
	s_and_saveexec_b32 s11, s40
	s_cbranch_execz .LBB2_1095
.LBB2_1094:                             ;   in Loop: Header=BB2_129 Depth=2
	v_and_b32_e32 v113, 3, v10
	v_bfe_u32 v118, v13, 18, 5
	s_delay_alu instid0(VALU_DEP_2) | instskip(NEXT) | instid1(VALU_DEP_2)
	v_clz_i32_u32_e32 v96, v113
	v_cmp_eq_u32_e32 vcc_lo, 0, v118
	s_delay_alu instid0(VALU_DEP_2) | instskip(NEXT) | instid1(VALU_DEP_1)
	v_min_u32_e32 v116, 32, v96
	v_subrev_nc_u32_e32 v96, 29, v116
	v_sub_nc_u32_e32 v116, 30, v116
	s_delay_alu instid0(VALU_DEP_2) | instskip(NEXT) | instid1(VALU_DEP_2)
	v_lshlrev_b64_e32 v[96:97], v96, v[10:11]
	v_dual_cndmask_b32 v116, v118, v116 :: v_dual_lshlrev_b32 v97, 24, v10
	v_bfe_i32 v10, v10, 0, 8
	s_delay_alu instid0(VALU_DEP_2) | instskip(NEXT) | instid1(VALU_DEP_4)
	v_and_b32_e32 v97, 0x80000000, v97
	v_and_b32_e32 v96, 3, v96
	s_delay_alu instid0(VALU_DEP_2) | instskip(NEXT) | instid1(VALU_DEP_2)
	v_lshl_add_u32 v97, v116, 23, v97
	v_cndmask_b32_e32 v96, v113, v96, vcc_lo
	v_cmp_lt_i16_e32 vcc_lo, -1, v10
	s_delay_alu instid0(VALU_DEP_2) | instskip(SKIP_3) | instid1(VALU_DEP_4)
	v_lshl_or_b32 v96, v96, 21, v97
	v_cndmask_b32_e32 v10, 0xff800000, v62, vcc_lo
	v_and_b32_e32 v97, 0x7c0000, v13
	v_cmp_eq_u32_e32 vcc_lo, 0, v113
	v_add_nc_u32_e32 v96, 0x38000000, v96
	s_delay_alu instid0(VALU_DEP_4) | instskip(NEXT) | instid1(VALU_DEP_4)
	v_cndmask_b32_e32 v10, 0x7f800001, v10, vcc_lo
	v_cmp_eq_u32_e32 vcc_lo, 0x7c0000, v97
	s_delay_alu instid0(VALU_DEP_2)
	v_cndmask_b32_e32 v96, v96, v10, vcc_lo
.LBB2_1095:                             ;   in Loop: Header=BB2_129 Depth=2
	s_or_b32 exec_lo, exec_lo, s11
	s_delay_alu instid0(VALU_DEP_1) | instskip(SKIP_2) | instid1(VALU_DEP_2)
	v_add_f32_e32 v97, v11, v96
	v_dual_mov_b32 v47, v35 :: v_dual_mov_b32 v11, v35
                                        ; implicit-def: $vgpr96
	s_mov_b32 s11, exec_lo
	v_and_b32_e32 v46, 0x7f800000, v97
	v_and_b32_e32 v10, 0x7fffff, v97
	v_lshrrev_b32_e32 v113, 24, v97
	s_delay_alu instid0(VALU_DEP_3)
	v_cmpx_ne_u64_e32 0x7f800000, v[46:47]
	s_xor_b32 s40, exec_lo, s11
	s_cbranch_execz .LBB2_1109
; %bb.1096:                             ;   in Loop: Header=BB2_129 Depth=2
	v_and_b32_e32 v46, 0x7fffffff, v97
	v_mov_b32_e32 v47, v35
	v_and_b32_e32 v113, 0x80, v113
                                        ; implicit-def: $vgpr96
	s_mov_b32 s11, exec_lo
	s_delay_alu instid0(VALU_DEP_2)
	v_cmpx_gt_u64_e32 0x47600001, v[46:47]
	s_xor_b32 s41, exec_lo, s11
	s_cbranch_execz .LBB2_1106
; %bb.1097:                             ;   in Loop: Header=BB2_129 Depth=2
	v_mov_b32_e32 v96, 0
	s_mov_b32 s42, exec_lo
	v_cmpx_ne_u32_e32 0, v97
	s_cbranch_execz .LBB2_1105
; %bb.1098:                             ;   in Loop: Header=BB2_129 Depth=2
	v_bfe_u32 v116, v97, 23, 8
	v_or_b32_e32 v41, 0x800000, v10
	s_delay_alu instid0(VALU_DEP_2) | instskip(SKIP_1) | instid1(VALU_DEP_2)
	v_sub_nc_u32_e32 v96, 0x71, v116
	v_cmp_gt_u32_e32 vcc_lo, 0x72, v116
	v_cndmask_b32_e32 v96, 0, v96, vcc_lo
	v_cmp_eq_u32_e32 vcc_lo, 0, v116
	s_delay_alu instid0(VALU_DEP_2) | instskip(SKIP_1) | instid1(VALU_DEP_2)
	v_cndmask_b32_e64 v118, v96, 0x70, vcc_lo
	v_cndmask_b32_e32 v10, v41, v10, vcc_lo
	v_dual_add_nc_u32 v96, 21, v118 :: v_dual_add_nc_u32 v45, 20, v118
	s_delay_alu instid0(VALU_DEP_1) | instskip(NEXT) | instid1(VALU_DEP_2)
	v_lshlrev_b64_e64 v[96:97], v96, -1
	v_lshlrev_b64_e64 v[46:47], v45, 1
	s_delay_alu instid0(VALU_DEP_2) | instskip(SKIP_1) | instid1(VALU_DEP_4)
	v_bfi_b32 v96, v96, 0, v10
	v_lshrrev_b64 v[10:11], v118, v[10:11]
	v_bfi_b32 v97, v97, 0, 0
	s_delay_alu instid0(VALU_DEP_1) | instskip(NEXT) | instid1(VALU_DEP_3)
	v_cmp_eq_u64_e64 s11, v[96:97], v[46:47]
	v_mov_b64_e32 v[96:97], v[10:11]
	s_and_saveexec_b32 s43, s11
; %bb.1099:                             ;   in Loop: Header=BB2_129 Depth=2
	v_bfe_u32 v96, v10, 21, 1
	v_mov_b32_e32 v97, v35
	s_delay_alu instid0(VALU_DEP_1) | instskip(NEXT) | instid1(VALU_DEP_1)
	v_add_nc_u64_e32 v[96:97], v[10:11], v[96:97]
	v_add_nc_u64_e32 v[96:97], -1, v[96:97]
; %bb.1100:                             ;   in Loop: Header=BB2_129 Depth=2
	s_or_b32 exec_lo, exec_lo, s43
	v_add_nc_u32_e32 v11, 0xffffff81, v116
	v_lshrrev_b32_e32 v97, 23, v10
	s_mov_b32 s11, exec_lo
	s_delay_alu instid0(VALU_DEP_2) | instskip(NEXT) | instid1(VALU_DEP_1)
	v_cndmask_b32_e64 v11, v11, 0xffffff82, vcc_lo
	v_add3_u32 v97, v118, v11, v97
	v_and_b32_e32 v11, 0x1fffff, v96
                                        ; implicit-def: $vgpr96
	s_delay_alu instid0(VALU_DEP_1) | instskip(SKIP_1) | instid1(VALU_DEP_2)
	v_dual_add_nc_u32 v116, 14, v97 :: v_dual_add_nc_u32 v10, v11, v10
	v_mov_b32_e32 v11, v35
	v_cmpx_ne_u32_e32 0, v116
	s_xor_b32 s11, exec_lo, s11
; %bb.1101:                             ;   in Loop: Header=BB2_129 Depth=2
	s_delay_alu instid0(VALU_DEP_2) | instskip(SKIP_2) | instid1(VALU_DEP_2)
	v_cmp_lt_u64_e32 vcc_lo, 0xffffff, v[10:11]
	v_add_nc_u32_e32 v96, 15, v97
	v_cndmask_b32_e64 v97, 0, 1, vcc_lo
	v_cndmask_b32_e32 v96, v116, v96, vcc_lo
	s_delay_alu instid0(VALU_DEP_2)
	v_lshrrev_b64 v[10:11], v97, v[10:11]
; %bb.1102:                             ;   in Loop: Header=BB2_129 Depth=2
	s_and_not1_saveexec_b32 s11, s11
; %bb.1103:                             ;   in Loop: Header=BB2_129 Depth=2
	s_delay_alu instid0(VALU_DEP_1)
	v_bfe_u32 v96, v10, 23, 1
; %bb.1104:                             ;   in Loop: Header=BB2_129 Depth=2
	s_or_b32 exec_lo, exec_lo, s11
	s_delay_alu instid0(VALU_DEP_2) | instskip(NEXT) | instid1(VALU_DEP_2)
	v_lshrrev_b64 v[10:11], 21, v[10:11]
	v_cmp_gt_i32_e32 vcc_lo, 32, v96
	v_min_i32_e32 v97, 31, v96
	v_cmp_eq_u32_e64 s11, 0, v96
	s_delay_alu instid0(VALU_DEP_2) | instskip(SKIP_1) | instid1(VALU_DEP_2)
	v_dual_cndmask_b32 v11, 0, v11, vcc_lo :: v_dual_lshlrev_b32 v97, 2, v97
	v_cndmask_b32_e32 v10, 3, v10, vcc_lo
	v_and_b32_e32 v97, 0xfc, v97
	s_delay_alu instid0(VALU_DEP_2) | instskip(NEXT) | instid1(VALU_DEP_2)
	v_cmp_eq_u64_e32 vcc_lo, 0, v[10:11]
	v_and_or_b32 v10, v10, 3, v97
	s_and_b32 s11, s11, vcc_lo
	s_delay_alu instid0(VALU_DEP_1) | instid1(SALU_CYCLE_1)
	v_cndmask_b32_e64 v10, v10, 0, s11
	s_delay_alu instid0(VALU_DEP_1)
	v_or_b32_e32 v96, v10, v113
.LBB2_1105:                             ;   in Loop: Header=BB2_129 Depth=2
	s_or_b32 exec_lo, exec_lo, s42
                                        ; implicit-def: $vgpr113
.LBB2_1106:                             ;   in Loop: Header=BB2_129 Depth=2
	s_and_not1_saveexec_b32 s11, s41
; %bb.1107:                             ;   in Loop: Header=BB2_129 Depth=2
	v_or_b32_e32 v96, 0x7b, v113
; %bb.1108:                             ;   in Loop: Header=BB2_129 Depth=2
	s_or_b32 exec_lo, exec_lo, s11
                                        ; implicit-def: $vgpr97
                                        ; implicit-def: $vgpr10_vgpr11
                                        ; implicit-def: $vgpr113
.LBB2_1109:                             ;   in Loop: Header=BB2_129 Depth=2
	s_and_not1_saveexec_b32 s11, s40
	s_cbranch_execz .LBB2_1115
; %bb.1110:                             ;   in Loop: Header=BB2_129 Depth=2
	s_mov_b32 s40, exec_lo
                                        ; implicit-def: $vgpr96
	v_cmpx_ne_u64_e32 0, v[10:11]
	s_xor_b32 s40, exec_lo, s40
; %bb.1111:                             ;   in Loop: Header=BB2_129 Depth=2
	v_or_b32_e32 v96, 0x7f, v113
                                        ; implicit-def: $vgpr97
; %bb.1112:                             ;   in Loop: Header=BB2_129 Depth=2
	s_and_not1_saveexec_b32 s40, s40
; %bb.1113:                             ;   in Loop: Header=BB2_129 Depth=2
	v_cmp_lt_i32_e32 vcc_lo, -1, v97
	v_cndmask_b32_e32 v96, 0xfc, v63, vcc_lo
; %bb.1114:                             ;   in Loop: Header=BB2_129 Depth=2
	s_or_b32 exec_lo, exec_lo, s40
.LBB2_1115:                             ;   in Loop: Header=BB2_129 Depth=2
	s_delay_alu instid0(SALU_CYCLE_1)
	s_or_b32 exec_lo, exec_lo, s11
	v_mov_b32_e32 v11, 0
	s_mov_b32 s11, exec_lo
	v_cmpx_lt_u32_e32 0xffffff, v34
	s_cbranch_execz .LBB2_1125
; %bb.1116:                             ;   in Loop: Header=BB2_129 Depth=2
	v_lshrrev_b32_e32 v10, 24, v34
	v_bfrev_b32_e32 v11, 1
	s_mov_b32 s40, exec_lo
	s_delay_alu instid0(VALU_DEP_2)
	v_cmpx_ne_u32_e32 0x80, v10
	s_cbranch_execz .LBB2_1124
; %bb.1117:                             ;   in Loop: Header=BB2_129 Depth=2
	v_and_b32_e32 v11, 0x7c000000, v34
	v_bfe_u32 v97, v34, 24, 2
	s_delay_alu instid0(VALU_DEP_2) | instskip(SKIP_1) | instid1(SALU_CYCLE_1)
	v_cmp_ne_u32_e32 vcc_lo, 0x7c000000, v11
                                        ; implicit-def: $vgpr11
	s_and_saveexec_b32 s41, vcc_lo
	s_xor_b32 s41, exec_lo, s41
	s_cbranch_execz .LBB2_1121
; %bb.1118:                             ;   in Loop: Header=BB2_129 Depth=2
	v_bfe_u32 v11, v34, 26, 5
	s_mov_b32 s42, exec_lo
	s_delay_alu instid0(VALU_DEP_1)
	v_cmpx_eq_u32_e32 0, v11
; %bb.1119:                             ;   in Loop: Header=BB2_129 Depth=2
	v_clz_i32_u32_e32 v11, v97
	s_delay_alu instid0(VALU_DEP_1) | instskip(NEXT) | instid1(VALU_DEP_1)
	v_min_u32_e32 v97, 32, v11
	v_subrev_nc_u32_e32 v11, 29, v97
	s_delay_alu instid0(VALU_DEP_1) | instskip(NEXT) | instid1(VALU_DEP_1)
	v_lshlrev_b64_e32 v[10:11], v11, v[10:11]
	v_dual_sub_nc_u32 v11, 30, v97 :: v_dual_bitop2_b32 v97, 3, v10 bitop3:0x40
; %bb.1120:                             ;   in Loop: Header=BB2_129 Depth=2
	s_or_b32 exec_lo, exec_lo, s42
	v_and_b32_e32 v10, 0x80000000, v34
	s_delay_alu instid0(VALU_DEP_1) | instskip(NEXT) | instid1(VALU_DEP_1)
	v_lshl_add_u32 v10, v11, 23, v10
	v_lshl_or_b32 v10, v97, 21, v10
                                        ; implicit-def: $vgpr97
	s_delay_alu instid0(VALU_DEP_1)
	v_add_nc_u32_e32 v11, 0x38000000, v10
.LBB2_1121:                             ;   in Loop: Header=BB2_129 Depth=2
	s_and_not1_saveexec_b32 s41, s41
; %bb.1122:                             ;   in Loop: Header=BB2_129 Depth=2
	v_cmp_lt_i32_e32 vcc_lo, -1, v34
	v_cndmask_b32_e32 v10, 0xff800000, v62, vcc_lo
	v_cmp_eq_u32_e32 vcc_lo, 0, v97
	s_delay_alu instid0(VALU_DEP_2)
	v_cndmask_b32_e32 v11, 0x7f800001, v10, vcc_lo
; %bb.1123:                             ;   in Loop: Header=BB2_129 Depth=2
	s_or_b32 exec_lo, exec_lo, s41
.LBB2_1124:                             ;   in Loop: Header=BB2_129 Depth=2
	s_delay_alu instid0(SALU_CYCLE_1)
	s_or_b32 exec_lo, exec_lo, s40
.LBB2_1125:                             ;   in Loop: Header=BB2_129 Depth=2
	s_delay_alu instid0(SALU_CYCLE_1) | instskip(SKIP_2) | instid1(VALU_DEP_2)
	s_or_b32 exec_lo, exec_lo, s11
	v_bfe_u32 v34, v13, 24, 2
	v_bfe_u32 v116, v13, 26, 5
	v_clz_i32_u32_e32 v10, v34
	s_delay_alu instid0(VALU_DEP_2) | instskip(NEXT) | instid1(VALU_DEP_2)
	v_cmp_eq_u32_e32 vcc_lo, 0, v116
	v_min_u32_e32 v97, 32, v10
	v_lshrrev_b32_e32 v10, 24, v13
	s_delay_alu instid0(VALU_DEP_2) | instskip(SKIP_1) | instid1(VALU_DEP_2)
	v_subrev_nc_u32_e32 v113, 29, v97
	v_sub_nc_u32_e32 v97, 30, v97
	v_lshlrev_b64_e32 v[46:47], v113, v[10:11]
	v_and_b32_e32 v113, 0x80000000, v13
	s_delay_alu instid0(VALU_DEP_3) | instskip(NEXT) | instid1(VALU_DEP_1)
	v_cndmask_b32_e32 v97, v116, v97, vcc_lo
	v_lshl_add_u32 v97, v97, 23, v113
	s_delay_alu instid0(VALU_DEP_4) | instskip(NEXT) | instid1(VALU_DEP_1)
	v_and_b32_e32 v116, 3, v46
	v_cndmask_b32_e32 v113, v34, v116, vcc_lo
	v_cmp_lt_i64_e32 vcc_lo, -1, v[12:13]
	s_delay_alu instid0(VALU_DEP_2) | instskip(SKIP_3) | instid1(VALU_DEP_4)
	v_lshl_or_b32 v97, v113, 21, v97
	v_and_b32_e32 v113, 0x7c000000, v13
	v_cndmask_b32_e32 v116, 0xff800000, v62, vcc_lo
	v_cmp_eq_u32_e32 vcc_lo, 0, v34
	v_add_nc_u32_e32 v97, 0x38000000, v97
	s_delay_alu instid0(VALU_DEP_3) | instskip(SKIP_1) | instid1(VALU_DEP_2)
	v_cndmask_b32_e32 v34, 0x7f800001, v116, vcc_lo
	v_cmp_eq_u32_e32 vcc_lo, 0x7c000000, v113
	v_cndmask_b32_e32 v34, v97, v34, vcc_lo
	v_cmp_ne_u32_e32 vcc_lo, 0x80, v10
	s_delay_alu instid0(VALU_DEP_2) | instskip(SKIP_1) | instid1(VALU_DEP_2)
	v_cndmask_b32_e32 v10, 0x80000000, v34, vcc_lo
	v_cmp_lt_u64_e32 vcc_lo, s[12:13], v[12:13]
	v_dual_mov_b32 v13, v35 :: v_dual_cndmask_b32 v10, 0, v10
	s_delay_alu instid0(VALU_DEP_1) | instskip(NEXT) | instid1(VALU_DEP_1)
	v_add_f32_e32 v11, v10, v11
                                        ; implicit-def: $vgpr10
	v_and_b32_e32 v12, 0x7f800000, v11
	v_and_b32_e32 v34, 0x7fffff, v11
	s_delay_alu instid0(VALU_DEP_2) | instskip(SKIP_2) | instid1(SALU_CYCLE_1)
	v_cmp_ne_u64_e32 vcc_lo, 0x7f800000, v[12:13]
	v_lshrrev_b32_e32 v12, 24, v11
	s_and_saveexec_b32 s11, vcc_lo
	s_xor_b32 s40, exec_lo, s11
	s_cbranch_execz .LBB2_1139
; %bb.1126:                             ;   in Loop: Header=BB2_129 Depth=2
	v_and_b32_e32 v46, 0x7fffffff, v11
	v_mov_b32_e32 v47, v35
	v_and_b32_e32 v97, 0x80, v12
                                        ; implicit-def: $vgpr10
	s_mov_b32 s11, exec_lo
	s_delay_alu instid0(VALU_DEP_2)
	v_cmpx_gt_u64_e32 0x47600001, v[46:47]
	s_xor_b32 s41, exec_lo, s11
	s_cbranch_execz .LBB2_1136
; %bb.1127:                             ;   in Loop: Header=BB2_129 Depth=2
	v_mov_b32_e32 v10, 0
	s_mov_b32 s42, exec_lo
	v_cmpx_ne_u32_e32 0, v11
	s_cbranch_execz .LBB2_1135
; %bb.1128:                             ;   in Loop: Header=BB2_129 Depth=2
	v_bfe_u32 v113, v11, 23, 8
	v_or_b32_e32 v12, 0x800000, v34
	s_delay_alu instid0(VALU_DEP_2) | instskip(SKIP_1) | instid1(VALU_DEP_2)
	v_sub_nc_u32_e32 v10, 0x71, v113
	v_cmp_gt_u32_e32 vcc_lo, 0x72, v113
	v_cndmask_b32_e32 v10, 0, v10, vcc_lo
	v_cmp_eq_u32_e32 vcc_lo, 0, v113
	s_delay_alu instid0(VALU_DEP_2) | instskip(NEXT) | instid1(VALU_DEP_1)
	v_cndmask_b32_e64 v116, v10, 0x70, vcc_lo
	v_dual_cndmask_b32 v34, v12, v34, vcc_lo :: v_dual_add_nc_u32 v10, 21, v116
	v_add_nc_u32_e32 v13, 20, v116
	s_delay_alu instid0(VALU_DEP_2) | instskip(NEXT) | instid1(VALU_DEP_2)
	v_lshlrev_b64_e64 v[10:11], v10, -1
	v_lshlrev_b64_e64 v[12:13], v13, 1
	s_delay_alu instid0(VALU_DEP_2) | instskip(NEXT) | instid1(VALU_DEP_3)
	v_bfi_b32 v47, v11, 0, 0
	v_bfi_b32 v46, v10, 0, v34
	v_lshrrev_b64 v[10:11], v116, v[34:35]
	s_delay_alu instid0(VALU_DEP_2) | instskip(NEXT) | instid1(VALU_DEP_2)
	v_cmp_eq_u64_e64 s11, v[46:47], v[12:13]
	v_mov_b64_e32 v[12:13], v[10:11]
	s_and_saveexec_b32 s43, s11
; %bb.1129:                             ;   in Loop: Header=BB2_129 Depth=2
	v_bfe_u32 v34, v10, 21, 1
	s_delay_alu instid0(VALU_DEP_1) | instskip(NEXT) | instid1(VALU_DEP_1)
	v_add_nc_u64_e32 v[12:13], v[10:11], v[34:35]
	v_add_nc_u64_e32 v[12:13], -1, v[12:13]
; %bb.1130:                             ;   in Loop: Header=BB2_129 Depth=2
	s_or_b32 exec_lo, exec_lo, s43
	v_add_nc_u32_e32 v11, 0xffffff81, v113
	v_lshrrev_b32_e32 v13, 23, v10
	s_mov_b32 s11, exec_lo
	s_delay_alu instid0(VALU_DEP_2) | instskip(NEXT) | instid1(VALU_DEP_1)
	v_cndmask_b32_e64 v11, v11, 0xffffff82, vcc_lo
	v_add3_u32 v13, v116, v11, v13
	v_and_b32_e32 v11, 0x1fffff, v12
                                        ; implicit-def: $vgpr12
	s_delay_alu instid0(VALU_DEP_1) | instskip(NEXT) | instid1(VALU_DEP_1)
	v_dual_add_nc_u32 v113, 14, v13 :: v_dual_add_nc_u32 v34, v11, v10
                                        ; implicit-def: $vgpr10_vgpr11
	v_cmpx_ne_u32_e32 0, v113
	s_xor_b32 s11, exec_lo, s11
; %bb.1131:                             ;   in Loop: Header=BB2_129 Depth=2
	s_delay_alu instid0(VALU_DEP_2) | instskip(SKIP_1) | instid1(VALU_DEP_1)
	v_cmp_lt_u64_e32 vcc_lo, 0xffffff, v[34:35]
	v_add_nc_u32_e32 v10, 15, v13
	v_cndmask_b32_e32 v12, v113, v10, vcc_lo
	v_cndmask_b32_e64 v10, 0, 1, vcc_lo
	s_delay_alu instid0(VALU_DEP_1)
	v_lshrrev_b64 v[10:11], v10, v[34:35]
; %bb.1132:                             ;   in Loop: Header=BB2_129 Depth=2
	s_and_not1_saveexec_b32 s11, s11
; %bb.1133:                             ;   in Loop: Header=BB2_129 Depth=2
	v_mov_b64_e32 v[10:11], v[34:35]
	v_bfe_u32 v12, v34, 23, 1
; %bb.1134:                             ;   in Loop: Header=BB2_129 Depth=2
	s_or_b32 exec_lo, exec_lo, s11
	s_delay_alu instid0(VALU_DEP_2) | instskip(NEXT) | instid1(VALU_DEP_2)
	v_lshrrev_b64 v[10:11], 21, v[10:11]
	v_cmp_gt_i32_e32 vcc_lo, 32, v12
	v_min_i32_e32 v13, 31, v12
	v_cmp_eq_u32_e64 s11, 0, v12
	s_delay_alu instid0(VALU_DEP_2) | instskip(SKIP_1) | instid1(VALU_DEP_2)
	v_dual_cndmask_b32 v11, 0, v11, vcc_lo :: v_dual_lshlrev_b32 v13, 2, v13
	v_cndmask_b32_e32 v10, 3, v10, vcc_lo
	v_and_b32_e32 v13, 0xfc, v13
	s_delay_alu instid0(VALU_DEP_2) | instskip(NEXT) | instid1(VALU_DEP_2)
	v_cmp_eq_u64_e32 vcc_lo, 0, v[10:11]
	v_and_or_b32 v10, v10, 3, v13
	s_and_b32 s11, s11, vcc_lo
	s_delay_alu instid0(VALU_DEP_1) | instid1(SALU_CYCLE_1)
	v_cndmask_b32_e64 v10, v10, 0, s11
	s_delay_alu instid0(VALU_DEP_1)
	v_or_b32_e32 v10, v10, v97
.LBB2_1135:                             ;   in Loop: Header=BB2_129 Depth=2
	s_or_b32 exec_lo, exec_lo, s42
                                        ; implicit-def: $vgpr97
.LBB2_1136:                             ;   in Loop: Header=BB2_129 Depth=2
	s_and_not1_saveexec_b32 s11, s41
; %bb.1137:                             ;   in Loop: Header=BB2_129 Depth=2
	v_or_b32_e32 v10, 0x7b, v97
; %bb.1138:                             ;   in Loop: Header=BB2_129 Depth=2
	s_or_b32 exec_lo, exec_lo, s11
                                        ; implicit-def: $vgpr11
                                        ; implicit-def: $vgpr12
.LBB2_1139:                             ;   in Loop: Header=BB2_129 Depth=2
	s_and_not1_saveexec_b32 s11, s40
	s_cbranch_execz .LBB2_128
; %bb.1140:                             ;   in Loop: Header=BB2_129 Depth=2
	s_mov_b32 s40, exec_lo
                                        ; implicit-def: $vgpr10
	v_cmpx_ne_u64_e32 0, v[34:35]
	s_xor_b32 s40, exec_lo, s40
; %bb.1141:                             ;   in Loop: Header=BB2_129 Depth=2
	v_or_b32_e32 v10, 0x7f, v12
                                        ; implicit-def: $vgpr11
; %bb.1142:                             ;   in Loop: Header=BB2_129 Depth=2
	s_and_not1_saveexec_b32 s40, s40
	s_cbranch_execz .LBB2_127
; %bb.1143:                             ;   in Loop: Header=BB2_129 Depth=2
	v_cmp_lt_i32_e32 vcc_lo, -1, v11
	v_cndmask_b32_e32 v10, 0xfc, v63, vcc_lo
	s_branch .LBB2_127
.LBB2_1144:                             ;   in Loop: Header=BB2_129 Depth=2
	s_mov_b32 s40, -1
	s_mov_b32 s41, exec_lo
	v_cmpx_eq_u16_e32 0x80, v98
; %bb.1145:                             ;   in Loop: Header=BB2_129 Depth=2
	s_xor_b32 s40, exec_lo, -1
; %bb.1146:                             ;   in Loop: Header=BB2_129 Depth=2
	s_or_b32 exec_lo, exec_lo, s41
	s_delay_alu instid0(SALU_CYCLE_1)
	s_and_b32 s40, s40, exec_lo
                                        ; implicit-def: $vgpr98
	s_or_saveexec_b32 s11, s11
	v_bfrev_b32_e32 v97, 1
	s_xor_b32 exec_lo, exec_lo, s11
	s_cbranch_execz .LBB2_629
.LBB2_1147:                             ;   in Loop: Header=BB2_129 Depth=2
	v_cmp_ne_u16_e32 vcc_lo, 0, v98
	v_mov_b32_e32 v97, 0
	s_and_not1_b32 s40, s40, exec_lo
	s_and_b32 s41, vcc_lo, exec_lo
	s_delay_alu instid0(SALU_CYCLE_1)
	s_or_b32 s40, s40, s41
	s_or_b32 exec_lo, exec_lo, s11
	s_and_saveexec_b32 s11, s40
	s_cbranch_execnz .LBB2_630
	s_branch .LBB2_631
.LBB2_1148:                             ;   in Loop: Header=BB2_129 Depth=2
	s_mov_b32 s40, -1
	s_mov_b32 s41, exec_lo
	v_cmpx_eq_u16_e32 0x80, v96
; %bb.1149:                             ;   in Loop: Header=BB2_129 Depth=2
	s_xor_b32 s40, exec_lo, -1
; %bb.1150:                             ;   in Loop: Header=BB2_129 Depth=2
	s_or_b32 exec_lo, exec_lo, s41
	s_delay_alu instid0(SALU_CYCLE_1)
	s_and_b32 s40, s40, exec_lo
	s_or_saveexec_b32 s11, s11
	v_bfrev_b32_e32 v30, 1
	s_xor_b32 exec_lo, exec_lo, s11
	s_cbranch_execz .LBB2_663
.LBB2_1151:                             ;   in Loop: Header=BB2_129 Depth=2
	v_cmp_ne_u16_e32 vcc_lo, 0, v96
	v_mov_b32_e32 v30, 0
	s_and_not1_b32 s40, s40, exec_lo
	s_and_b32 s41, vcc_lo, exec_lo
	s_delay_alu instid0(SALU_CYCLE_1)
	s_or_b32 s40, s40, s41
	s_or_b32 exec_lo, exec_lo, s11
	s_and_saveexec_b32 s11, s40
	s_cbranch_execnz .LBB2_664
	s_branch .LBB2_665
.LBB2_1152:                             ;   in Loop: Header=BB2_129 Depth=2
	s_mov_b32 s40, -1
	s_mov_b32 s41, exec_lo
	v_cmpx_eq_u16_e32 0x80, v98
; %bb.1153:                             ;   in Loop: Header=BB2_129 Depth=2
	s_xor_b32 s40, exec_lo, -1
; %bb.1154:                             ;   in Loop: Header=BB2_129 Depth=2
	s_or_b32 exec_lo, exec_lo, s41
	s_delay_alu instid0(SALU_CYCLE_1)
	s_and_b32 s40, s40, exec_lo
                                        ; implicit-def: $vgpr98
	s_or_saveexec_b32 s11, s11
	v_bfrev_b32_e32 v97, 1
	s_xor_b32 exec_lo, exec_lo, s11
	s_cbranch_execz .LBB2_697
.LBB2_1155:                             ;   in Loop: Header=BB2_129 Depth=2
	v_cmp_ne_u16_e32 vcc_lo, 0, v98
	v_mov_b32_e32 v97, 0
	s_and_not1_b32 s40, s40, exec_lo
	s_and_b32 s41, vcc_lo, exec_lo
	s_delay_alu instid0(SALU_CYCLE_1)
	s_or_b32 s40, s40, s41
	s_or_b32 exec_lo, exec_lo, s11
	s_and_saveexec_b32 s11, s40
	s_cbranch_execnz .LBB2_698
	s_branch .LBB2_699
.LBB2_1156:                             ;   in Loop: Header=BB2_129 Depth=2
	s_mov_b32 s40, -1
	s_mov_b32 s41, exec_lo
	v_cmpx_eq_u16_e32 0x80, v97
; %bb.1157:                             ;   in Loop: Header=BB2_129 Depth=2
	s_xor_b32 s40, exec_lo, -1
; %bb.1158:                             ;   in Loop: Header=BB2_129 Depth=2
	s_or_b32 exec_lo, exec_lo, s41
	s_delay_alu instid0(SALU_CYCLE_1)
	s_and_b32 s40, s40, exec_lo
                                        ; implicit-def: $vgpr97
	s_or_saveexec_b32 s11, s11
	v_bfrev_b32_e32 v99, 1
	s_xor_b32 exec_lo, exec_lo, s11
	s_cbranch_execz .LBB2_761
.LBB2_1159:                             ;   in Loop: Header=BB2_129 Depth=2
	v_cmp_ne_u16_e32 vcc_lo, 0, v97
	v_mov_b32_e32 v99, 0
	s_and_not1_b32 s40, s40, exec_lo
	s_and_b32 s41, vcc_lo, exec_lo
	s_delay_alu instid0(SALU_CYCLE_1)
	s_or_b32 s40, s40, s41
	s_or_b32 exec_lo, exec_lo, s11
	v_mov_b32_e32 v97, v35
	s_and_saveexec_b32 s11, s40
	s_cbranch_execnz .LBB2_762
	s_branch .LBB2_763
.LBB2_1160:                             ;   in Loop: Header=BB2_129 Depth=2
	s_mov_b32 s40, -1
	s_mov_b32 s41, exec_lo
	v_cmpx_eq_u16_e32 0x80, v98
; %bb.1161:                             ;   in Loop: Header=BB2_129 Depth=2
	s_xor_b32 s40, exec_lo, -1
; %bb.1162:                             ;   in Loop: Header=BB2_129 Depth=2
	s_or_b32 exec_lo, exec_lo, s41
	s_delay_alu instid0(SALU_CYCLE_1)
	s_and_b32 s40, s40, exec_lo
	s_or_saveexec_b32 s11, s11
	v_bfrev_b32_e32 v30, 1
	s_xor_b32 exec_lo, exec_lo, s11
	s_cbranch_execz .LBB2_795
.LBB2_1163:                             ;   in Loop: Header=BB2_129 Depth=2
	v_cmp_ne_u16_e32 vcc_lo, 0, v98
	v_mov_b32_e32 v30, 0
	s_and_not1_b32 s40, s40, exec_lo
	s_and_b32 s41, vcc_lo, exec_lo
	s_delay_alu instid0(SALU_CYCLE_1)
	s_or_b32 s40, s40, s41
	s_or_b32 exec_lo, exec_lo, s11
	s_and_saveexec_b32 s11, s40
	s_cbranch_execnz .LBB2_796
	s_branch .LBB2_797
.LBB2_1164:                             ;   in Loop: Header=BB2_129 Depth=2
	s_mov_b32 s40, -1
	s_mov_b32 s41, exec_lo
	v_cmpx_eq_u16_e32 0x80, v98
; %bb.1165:                             ;   in Loop: Header=BB2_129 Depth=2
	s_xor_b32 s40, exec_lo, -1
; %bb.1166:                             ;   in Loop: Header=BB2_129 Depth=2
	s_or_b32 exec_lo, exec_lo, s41
	s_delay_alu instid0(SALU_CYCLE_1)
	s_and_b32 s40, s40, exec_lo
                                        ; implicit-def: $vgpr98
	s_or_saveexec_b32 s11, s11
	v_bfrev_b32_e32 v97, 1
	s_xor_b32 exec_lo, exec_lo, s11
	s_cbranch_execz .LBB2_829
.LBB2_1167:                             ;   in Loop: Header=BB2_129 Depth=2
	v_cmp_ne_u16_e32 vcc_lo, 0, v98
	v_mov_b32_e32 v97, 0
	s_and_not1_b32 s40, s40, exec_lo
	s_and_b32 s41, vcc_lo, exec_lo
	s_delay_alu instid0(SALU_CYCLE_1)
	s_or_b32 s40, s40, s41
	s_or_b32 exec_lo, exec_lo, s11
	s_and_saveexec_b32 s11, s40
	s_cbranch_execnz .LBB2_830
	s_branch .LBB2_831
.LBB2_1168:                             ;   in Loop: Header=BB2_129 Depth=2
	s_mov_b32 s40, -1
	s_mov_b32 s41, exec_lo
	v_cmpx_eq_u16_e32 0x80, v96
; %bb.1169:                             ;   in Loop: Header=BB2_129 Depth=2
	s_xor_b32 s40, exec_lo, -1
; %bb.1170:                             ;   in Loop: Header=BB2_129 Depth=2
	s_or_b32 exec_lo, exec_lo, s41
	s_delay_alu instid0(SALU_CYCLE_1)
	s_and_b32 s40, s40, exec_lo
                                        ; implicit-def: $vgpr96
	s_or_saveexec_b32 s11, s11
	v_bfrev_b32_e32 v11, 1
	s_xor_b32 exec_lo, exec_lo, s11
	s_cbranch_execz .LBB2_893
.LBB2_1171:                             ;   in Loop: Header=BB2_129 Depth=2
	v_cmp_ne_u16_e32 vcc_lo, 0, v96
	v_mov_b32_e32 v11, 0
	s_and_not1_b32 s40, s40, exec_lo
	s_and_b32 s41, vcc_lo, exec_lo
	s_delay_alu instid0(SALU_CYCLE_1)
	s_or_b32 s40, s40, s41
	s_or_b32 exec_lo, exec_lo, s11
	s_and_saveexec_b32 s11, s40
	s_cbranch_execnz .LBB2_894
	s_branch .LBB2_895
.LBB2_1172:                             ;   in Loop: Header=BB2_129 Depth=2
	s_mov_b32 s40, -1
	s_mov_b32 s41, exec_lo
	v_cmpx_eq_u16_e32 0x80, v10
; %bb.1173:                             ;   in Loop: Header=BB2_129 Depth=2
	s_xor_b32 s40, exec_lo, -1
; %bb.1174:                             ;   in Loop: Header=BB2_129 Depth=2
	s_or_b32 exec_lo, exec_lo, s41
	s_delay_alu instid0(SALU_CYCLE_1)
	s_and_b32 s40, s40, exec_lo
	s_or_saveexec_b32 s11, s11
	v_bfrev_b32_e32 v11, 1
	s_xor_b32 exec_lo, exec_lo, s11
	s_cbranch_execz .LBB2_927
.LBB2_1175:                             ;   in Loop: Header=BB2_129 Depth=2
	v_cmp_ne_u16_e32 vcc_lo, 0, v10
	v_mov_b32_e32 v11, 0
	s_and_not1_b32 s40, s40, exec_lo
	s_and_b32 s41, vcc_lo, exec_lo
	s_delay_alu instid0(SALU_CYCLE_1)
	s_or_b32 s40, s40, s41
	s_or_b32 exec_lo, exec_lo, s11
	s_and_saveexec_b32 s11, s40
	s_cbranch_execnz .LBB2_928
	s_branch .LBB2_929
.LBB2_1176:                             ;   in Loop: Header=BB2_129 Depth=2
	s_mov_b32 s40, -1
	s_mov_b32 s41, exec_lo
	v_cmpx_eq_u16_e32 0x80, v97
; %bb.1177:                             ;   in Loop: Header=BB2_129 Depth=2
	s_xor_b32 s40, exec_lo, -1
; %bb.1178:                             ;   in Loop: Header=BB2_129 Depth=2
	s_or_b32 exec_lo, exec_lo, s41
	s_delay_alu instid0(SALU_CYCLE_1)
	s_and_b32 s40, s40, exec_lo
                                        ; implicit-def: $vgpr97
	s_or_saveexec_b32 s11, s11
	v_bfrev_b32_e32 v96, 1
	s_xor_b32 exec_lo, exec_lo, s11
	s_cbranch_execz .LBB2_961
.LBB2_1179:                             ;   in Loop: Header=BB2_129 Depth=2
	v_cmp_ne_u16_e32 vcc_lo, 0, v97
	v_mov_b32_e32 v96, 0
	s_and_not1_b32 s40, s40, exec_lo
	s_and_b32 s41, vcc_lo, exec_lo
	s_delay_alu instid0(SALU_CYCLE_1)
	s_or_b32 s40, s40, s41
	s_or_b32 exec_lo, exec_lo, s11
	s_and_saveexec_b32 s11, s40
	s_cbranch_execnz .LBB2_962
	s_branch .LBB2_963
.LBB2_1180:                             ;   in Loop: Header=BB2_129 Depth=2
	s_mov_b32 s40, -1
	s_mov_b32 s41, exec_lo
	v_cmpx_eq_u16_e32 0x80, v11
; %bb.1181:                             ;   in Loop: Header=BB2_129 Depth=2
	s_xor_b32 s40, exec_lo, -1
; %bb.1182:                             ;   in Loop: Header=BB2_129 Depth=2
	s_or_b32 exec_lo, exec_lo, s41
	s_delay_alu instid0(SALU_CYCLE_1)
	s_and_b32 s40, s40, exec_lo
                                        ; implicit-def: $vgpr11
	s_or_saveexec_b32 s11, s11
	v_bfrev_b32_e32 v97, 1
	s_xor_b32 exec_lo, exec_lo, s11
	s_cbranch_execz .LBB2_1025
.LBB2_1183:                             ;   in Loop: Header=BB2_129 Depth=2
	v_cmp_ne_u16_e32 vcc_lo, 0, v11
	v_mov_b32_e32 v97, 0
	s_and_not1_b32 s40, s40, exec_lo
	s_and_b32 s41, vcc_lo, exec_lo
	s_delay_alu instid0(SALU_CYCLE_1)
	s_or_b32 s40, s40, s41
	s_or_b32 exec_lo, exec_lo, s11
	v_mov_b32_e32 v11, v35
	s_and_saveexec_b32 s11, s40
	s_cbranch_execnz .LBB2_1026
	s_branch .LBB2_1027
.LBB2_1184:                             ;   in Loop: Header=BB2_129 Depth=2
	s_mov_b32 s40, -1
	s_mov_b32 s41, exec_lo
	v_cmpx_eq_u16_e32 0x80, v96
; %bb.1185:                             ;   in Loop: Header=BB2_129 Depth=2
	s_xor_b32 s40, exec_lo, -1
; %bb.1186:                             ;   in Loop: Header=BB2_129 Depth=2
	s_or_b32 exec_lo, exec_lo, s41
	s_delay_alu instid0(SALU_CYCLE_1)
	s_and_b32 s40, s40, exec_lo
	s_or_saveexec_b32 s11, s11
	v_bfrev_b32_e32 v97, 1
	s_xor_b32 exec_lo, exec_lo, s11
	s_cbranch_execz .LBB2_1059
.LBB2_1187:                             ;   in Loop: Header=BB2_129 Depth=2
	v_cmp_ne_u16_e32 vcc_lo, 0, v96
	v_mov_b32_e32 v97, 0
	s_and_not1_b32 s40, s40, exec_lo
	s_and_b32 s41, vcc_lo, exec_lo
	s_delay_alu instid0(SALU_CYCLE_1)
	s_or_b32 s40, s40, s41
	s_or_b32 exec_lo, exec_lo, s11
	s_and_saveexec_b32 s11, s40
	s_cbranch_execnz .LBB2_1060
	s_branch .LBB2_1061
.LBB2_1188:                             ;   in Loop: Header=BB2_129 Depth=2
	s_mov_b32 s40, -1
	s_mov_b32 s41, exec_lo
	v_cmpx_eq_u16_e32 0x80, v97
; %bb.1189:                             ;   in Loop: Header=BB2_129 Depth=2
	s_xor_b32 s40, exec_lo, -1
; %bb.1190:                             ;   in Loop: Header=BB2_129 Depth=2
	s_or_b32 exec_lo, exec_lo, s41
	s_delay_alu instid0(SALU_CYCLE_1)
	s_and_b32 s40, s40, exec_lo
                                        ; implicit-def: $vgpr97
	s_or_saveexec_b32 s11, s11
	v_bfrev_b32_e32 v96, 1
	s_xor_b32 exec_lo, exec_lo, s11
	s_cbranch_execz .LBB2_1093
.LBB2_1191:                             ;   in Loop: Header=BB2_129 Depth=2
	v_cmp_ne_u16_e32 vcc_lo, 0, v97
	v_mov_b32_e32 v96, 0
	s_and_not1_b32 s40, s40, exec_lo
	s_and_b32 s41, vcc_lo, exec_lo
	s_delay_alu instid0(SALU_CYCLE_1)
	s_or_b32 s40, s40, s41
	s_or_b32 exec_lo, exec_lo, s11
	s_and_saveexec_b32 s11, s40
	s_cbranch_execnz .LBB2_1094
	s_branch .LBB2_1095
.LBB2_1192:                             ;   in Loop: Header=BB2_49 Depth=1
	s_or_b32 exec_lo, exec_lo, s27
.LBB2_1193:                             ;   in Loop: Header=BB2_49 Depth=1
	s_delay_alu instid0(SALU_CYCLE_1) | instskip(SKIP_3) | instid1(VALU_DEP_1)
	s_or_b32 exec_lo, exec_lo, s25
	v_and_b32_e32 v10, 15, v67
	s_mov_b32 s26, 0
	s_mov_b32 s11, exec_lo
                                        ; implicit-def: $vgpr30
	v_dual_cndmask_b32 v72, v69, v10, s10 :: v_dual_mov_b32 v69, 0
	s_delay_alu instid0(VALU_DEP_1)
	v_cmpx_ne_u32_e32 0, v72
	s_cbranch_execz .LBB2_2263
; %bb.1194:                             ;   in Loop: Header=BB2_49 Depth=1
	v_cmp_lt_i32_e32 vcc_lo, 0, v102
	s_mov_b32 s25, exec_lo
	v_cndmask_b32_e32 v10, 0, v36, vcc_lo
	s_delay_alu instid0(VALU_DEP_1) | instskip(NEXT) | instid1(VALU_DEP_1)
	v_sub_nc_u32_e32 v10, v10, v102
	v_lshl_or_b32 v10, v10, 5, v58
	s_delay_alu instid0(VALU_DEP_1) | instskip(NEXT) | instid1(VALU_DEP_1)
	v_ashrrev_i32_e32 v11, 31, v10
	v_lshrrev_b32_e32 v11, 27, v11
	s_delay_alu instid0(VALU_DEP_1) | instskip(NEXT) | instid1(VALU_DEP_1)
	v_add_nc_u32_e32 v11, v10, v11
	v_and_b32_e32 v12, 0xffffffe0, v11
	s_delay_alu instid0(VALU_DEP_1) | instskip(SKIP_1) | instid1(VALU_DEP_2)
	v_sub_nc_u32_e32 v102, v10, v12
	v_and_b32_e32 v12, 0x1f0, v67
	v_dual_lshlrev_b32 v10, 4, v102 :: v_dual_ashrrev_i32 v11, 5, v11
	s_delay_alu instid0(VALU_DEP_1) | instskip(NEXT) | instid1(VALU_DEP_3)
	v_lshl_add_u32 v10, v11, 9, v10
	v_dual_cndmask_b32 v12, 0, v12, s10 :: v_dual_sub_nc_u32 v103, 0, v11
	s_delay_alu instid0(VALU_DEP_2) | instskip(NEXT) | instid1(VALU_DEP_2)
	v_sub_nc_u32_e32 v112, v72, v10
	v_and_or_b32 v69, 0x3ffffe00, v67, v12
	s_delay_alu instid0(VALU_DEP_2)
	v_cmpx_lt_i32_e32 15, v112
	s_cbranch_execz .LBB2_2262
; %bb.1195:                             ;   in Loop: Header=BB2_49 Depth=1
	s_trap 2
	ds_load_b64 v[12:13], v0
	v_add_nc_u32_e32 v10, v10, v69
	s_delay_alu instid0(VALU_DEP_1) | instskip(NEXT) | instid1(VALU_DEP_1)
	v_ashrrev_i32_e32 v11, 31, v10
	v_add_nc_u64_e32 v[82:83], v[10:11], v[70:71]
	v_add_nc_u64_e32 v[84:85], v[10:11], v[80:81]
	s_wait_dscnt 0x0
	v_readfirstlane_b32 s26, v12
	v_readfirstlane_b32 s27, v13
	v_add_nc_u64_e32 v[86:87], v[12:13], v[10:11]
	s_and_b32 s28, s26, 3
	s_bfe_i32 s10, s26, 0x80000
	s_clz_i32_u32 s41, s28
	s_bfe_u32 s29, s26, 0x50002
	s_min_u32 s41, s41, 32
	s_and_b32 s40, s26, 0x7c
	s_sub_co_i32 s44, s41, 29
	s_lshl_b32 s42, s26, 24
	s_sext_i32_i8 s43, s26
	s_lshl_b64 s[26:27], s[26:27], s44
	s_and_b32 s42, s42, 0x80000000
	s_sub_co_i32 s27, 30, s41
	s_and_b32 s26, s26, 3
	s_cmp_gt_i32 s43, -1
	s_cselect_b32 s41, s22, 0xff800000
	s_cmp_eq_u32 s28, 0
	s_cselect_b32 s41, s41, 0x7f800001
	s_cmp_eq_u32 s29, 0
	s_cselect_b32 s27, s27, s29
	s_cselect_b32 s26, s26, s28
	s_lshl_b32 s27, s27, 23
	s_lshl_b32 s26, s26, 21
	s_add_co_i32 s27, s27, s42
	s_delay_alu instid0(SALU_CYCLE_1) | instskip(NEXT) | instid1(SALU_CYCLE_1)
	s_or_b32 s26, s27, s26
	s_add_co_i32 s27, s26, 0x38000000
	s_cmp_eq_u32 s40, 0x7c
	s_mov_b32 s26, 0
	s_cselect_b32 s27, s41, s27
	s_and_b32 s28, s10, 0xff
	s_branch .LBB2_1198
.LBB2_1196:                             ;   in Loop: Header=BB2_1198 Depth=2
	s_or_b32 exec_lo, exec_lo, s29
.LBB2_1197:                             ;   in Loop: Header=BB2_1198 Depth=2
	s_delay_alu instid0(SALU_CYCLE_1)
	s_or_b32 exec_lo, exec_lo, s10
	v_lshl_or_b32 v11, v101, 8, v100
	v_dual_lshlrev_b32 v12, 16, v44 :: v_dual_lshlrev_b32 v13, 24, v30
	v_lshl_or_b32 v30, v115, 8, v113
	v_dual_lshlrev_b32 v34, 16, v118 :: v_dual_lshlrev_b32 v97, 24, v41
	;; [unrolled: 2-line block ×3, first 2 shown]
	v_dual_lshlrev_b32 v114, 24, v10 :: v_dual_lshlrev_b32 v96, 16, v96
	v_lshl_or_b32 v98, v99, 8, v98
	v_or3_b32 v11, v11, v12, v13
	v_or3_b32 v10, v30, v34, v97
	;; [unrolled: 1-line block ×3, first 2 shown]
	v_sub_nc_u32_e32 v112, v112, v48
	v_or3_b32 v13, v98, v96, v114
	v_add_nc_u64_e32 v[82:83], v[82:83], v[48:49]
	v_add_nc_u64_e32 v[86:87], v[86:87], v[48:49]
	v_sub_nc_u32_e32 v103, v103, v36
	v_cmp_gt_i32_e32 vcc_lo, 16, v112
	global_store_b128 v[84:85], v[10:13], off th:TH_STORE_NT
	s_wait_xcnt 0x0
	v_add_nc_u64_e32 v[84:85], v[84:85], v[48:49]
	s_or_b32 s26, vcc_lo, s26
	s_delay_alu instid0(SALU_CYCLE_1)
	s_and_not1_b32 exec_lo, exec_lo, s26
	s_cbranch_execz .LBB2_2261
.LBB2_1198:                             ;   Parent Loop BB2_49 Depth=1
                                        ; =>  This Inner Loop Header: Depth=2
	s_cmp_lt_i32 s28, 0x80
	s_cbranch_scc1 .LBB2_1202
; %bb.1199:                             ;   in Loop: Header=BB2_1198 Depth=2
	s_and_b32 s10, 0xffff, s28
	s_delay_alu instid0(SALU_CYCLE_1)
	s_cmp_eq_u32 s10, 0x80
	s_mov_b32 s10, -1
	s_cbranch_scc0 .LBB2_1201
; %bb.1200:                             ;   in Loop: Header=BB2_1198 Depth=2
	s_mov_b32 s10, 0
.LBB2_1201:                             ;   in Loop: Header=BB2_1198 Depth=2
	s_brev_b32 s29, 1
	s_branch .LBB2_1204
.LBB2_1202:                             ;   in Loop: Header=BB2_1198 Depth=2
	s_mov_b32 s10, 0
	s_brev_b32 s29, 1
	s_cbranch_execz .LBB2_1204
; %bb.1203:                             ;   in Loop: Header=BB2_1198 Depth=2
	s_and_b32 s10, 0xffff, s28
	s_mov_b32 s29, 0
	s_cmp_lg_u32 s10, 0
	s_cselect_b32 s10, -1, 0
.LBB2_1204:                             ;   in Loop: Header=BB2_1198 Depth=2
	s_delay_alu instid0(SALU_CYCLE_1)
	s_and_not1_b32 vcc_lo, exec_lo, s10
	s_cbranch_vccnz .LBB2_1206
; %bb.1205:                             ;   in Loop: Header=BB2_1198 Depth=2
	s_mov_b32 s29, s27
.LBB2_1206:                             ;   in Loop: Header=BB2_1198 Depth=2
	global_load_b128 v[10:13], v[82:83], off th:TH_LOAD_NT
	s_wait_loadcnt 0x0
	v_and_b32_e32 v30, 0xff, v10
	s_delay_alu instid0(VALU_DEP_1)
	v_cmp_ne_u16_e32 vcc_lo, 0, v30
	v_mov_b32_e32 v30, 0
	s_wait_xcnt 0x0
	s_and_saveexec_b32 s10, vcc_lo
	s_cbranch_execz .LBB2_1216
; %bb.1207:                             ;   in Loop: Header=BB2_1198 Depth=2
	v_bfe_i32 v96, v10, 0, 8
	v_bfrev_b32_e32 v30, 1
	s_mov_b32 s40, exec_lo
	s_delay_alu instid0(VALU_DEP_2)
	v_cmpx_ne_u16_e32 0xff80, v96
	s_cbranch_execz .LBB2_1215
; %bb.1208:                             ;   in Loop: Header=BB2_1198 Depth=2
	v_and_b32_e32 v30, 0x7c, v10
	v_and_b32_e32 v34, 3, v10
	s_delay_alu instid0(VALU_DEP_2) | instskip(SKIP_1) | instid1(SALU_CYCLE_1)
	v_cmp_ne_u32_e32 vcc_lo, 0x7c, v30
                                        ; implicit-def: $vgpr30
	s_and_saveexec_b32 s41, vcc_lo
	s_xor_b32 s41, exec_lo, s41
	s_cbranch_execz .LBB2_1212
; %bb.1209:                             ;   in Loop: Header=BB2_1198 Depth=2
	v_bfe_u32 v30, v10, 2, 5
	s_mov_b32 s42, exec_lo
	s_delay_alu instid0(VALU_DEP_1)
	v_cmpx_eq_u32_e32 0, v30
; %bb.1210:                             ;   in Loop: Header=BB2_1198 Depth=2
	v_clz_i32_u32_e32 v30, v34
	s_delay_alu instid0(VALU_DEP_1) | instskip(NEXT) | instid1(VALU_DEP_1)
	v_min_u32_e32 v30, 32, v30
	v_subrev_nc_u32_e32 v34, 29, v30
	s_delay_alu instid0(VALU_DEP_1) | instskip(NEXT) | instid1(VALU_DEP_1)
	v_lshlrev_b64_e32 v[96:97], v34, v[10:11]
	v_dual_sub_nc_u32 v30, 30, v30 :: v_dual_bitop2_b32 v34, 3, v96 bitop3:0x40
; %bb.1211:                             ;   in Loop: Header=BB2_1198 Depth=2
	s_or_b32 exec_lo, exec_lo, s42
	v_lshlrev_b32_e32 v96, 24, v10
	s_delay_alu instid0(VALU_DEP_1) | instskip(NEXT) | instid1(VALU_DEP_1)
	v_and_b32_e32 v96, 0x80000000, v96
	v_lshl_add_u32 v30, v30, 23, v96
                                        ; implicit-def: $vgpr96
	s_delay_alu instid0(VALU_DEP_1) | instskip(NEXT) | instid1(VALU_DEP_1)
	v_lshl_or_b32 v30, v34, 21, v30
                                        ; implicit-def: $vgpr34
	v_add_nc_u32_e32 v30, 0x38000000, v30
.LBB2_1212:                             ;   in Loop: Header=BB2_1198 Depth=2
	s_and_not1_saveexec_b32 s41, s41
; %bb.1213:                             ;   in Loop: Header=BB2_1198 Depth=2
	v_cmp_lt_i16_e32 vcc_lo, -1, v96
	v_cndmask_b32_e32 v30, 0xff800000, v62, vcc_lo
	v_cmp_eq_u32_e32 vcc_lo, 0, v34
	s_delay_alu instid0(VALU_DEP_2)
	v_cndmask_b32_e32 v30, 0x7f800001, v30, vcc_lo
; %bb.1214:                             ;   in Loop: Header=BB2_1198 Depth=2
	s_or_b32 exec_lo, exec_lo, s41
.LBB2_1215:                             ;   in Loop: Header=BB2_1198 Depth=2
	s_delay_alu instid0(SALU_CYCLE_1)
	s_or_b32 exec_lo, exec_lo, s40
.LBB2_1216:                             ;   in Loop: Header=BB2_1198 Depth=2
	s_delay_alu instid0(SALU_CYCLE_1) | instskip(NEXT) | instid1(VALU_DEP_1)
	s_or_b32 exec_lo, exec_lo, s10
	v_dual_mul_f32 v96, s29, v30 :: v_dual_mov_b32 v99, v35
                                        ; implicit-def: $vgpr101
	s_mov_b32 s10, exec_lo
	s_delay_alu instid0(VALU_DEP_1) | instskip(SKIP_2) | instid1(VALU_DEP_3)
	v_and_b32_e32 v98, 0x7f800000, v96
	v_and_b32_e32 v34, 0x7fffff, v96
	v_lshrrev_b32_e32 v30, 24, v96
	v_cmpx_ne_u64_e32 0x7f800000, v[98:99]
	s_xor_b32 s40, exec_lo, s10
	s_cbranch_execz .LBB2_1230
; %bb.1217:                             ;   in Loop: Header=BB2_1198 Depth=2
	v_and_b32_e32 v98, 0x7fffffff, v96
	v_mov_b32_e32 v99, v35
	v_and_b32_e32 v30, 0x80, v30
                                        ; implicit-def: $vgpr101
	s_mov_b32 s10, exec_lo
	s_delay_alu instid0(VALU_DEP_2)
	v_cmpx_gt_u64_e32 0x47600001, v[98:99]
	s_xor_b32 s41, exec_lo, s10
	s_cbranch_execz .LBB2_1227
; %bb.1218:                             ;   in Loop: Header=BB2_1198 Depth=2
	v_mov_b32_e32 v101, 0
	s_mov_b32 s42, exec_lo
	v_cmpx_ne_u32_e32 0, v96
	s_cbranch_execz .LBB2_1226
; %bb.1219:                             ;   in Loop: Header=BB2_1198 Depth=2
	v_bfe_u32 v100, v96, 23, 8
	v_or_b32_e32 v98, 0x800000, v34
	s_delay_alu instid0(VALU_DEP_2) | instskip(SKIP_1) | instid1(VALU_DEP_2)
	v_sub_nc_u32_e32 v96, 0x71, v100
	v_cmp_gt_u32_e32 vcc_lo, 0x72, v100
	v_cndmask_b32_e32 v96, 0, v96, vcc_lo
	v_cmp_eq_u32_e32 vcc_lo, 0, v100
	s_delay_alu instid0(VALU_DEP_2) | instskip(NEXT) | instid1(VALU_DEP_1)
	v_cndmask_b32_e64 v101, v96, 0x70, vcc_lo
	v_dual_cndmask_b32 v34, v98, v34, vcc_lo :: v_dual_add_nc_u32 v96, 21, v101
	v_add_nc_u32_e32 v99, 20, v101
	s_delay_alu instid0(VALU_DEP_2) | instskip(NEXT) | instid1(VALU_DEP_2)
	v_lshlrev_b64_e64 v[96:97], v96, -1
	v_lshlrev_b64_e64 v[98:99], v99, 1
	s_delay_alu instid0(VALU_DEP_2) | instskip(NEXT) | instid1(VALU_DEP_3)
	v_bfi_b32 v115, v97, 0, 0
	v_bfi_b32 v114, v96, 0, v34
	v_lshrrev_b64 v[96:97], v101, v[34:35]
	s_delay_alu instid0(VALU_DEP_2) | instskip(NEXT) | instid1(VALU_DEP_2)
	v_cmp_eq_u64_e64 s10, v[114:115], v[98:99]
	v_mov_b64_e32 v[98:99], v[96:97]
	s_and_saveexec_b32 s43, s10
; %bb.1220:                             ;   in Loop: Header=BB2_1198 Depth=2
	v_bfe_u32 v34, v96, 21, 1
	s_delay_alu instid0(VALU_DEP_1) | instskip(NEXT) | instid1(VALU_DEP_1)
	v_add_nc_u64_e32 v[98:99], v[96:97], v[34:35]
	v_add_nc_u64_e32 v[98:99], -1, v[98:99]
; %bb.1221:                             ;   in Loop: Header=BB2_1198 Depth=2
	s_or_b32 exec_lo, exec_lo, s43
	v_add_nc_u32_e32 v34, 0xffffff81, v100
	v_lshrrev_b32_e32 v97, 23, v96
	s_mov_b32 s10, exec_lo
	s_delay_alu instid0(VALU_DEP_2) | instskip(NEXT) | instid1(VALU_DEP_1)
	v_cndmask_b32_e64 v34, v34, 0xffffff82, vcc_lo
	v_add3_u32 v99, v101, v34, v97
	v_and_b32_e32 v34, 0x1fffff, v98
                                        ; implicit-def: $vgpr98
	s_delay_alu instid0(VALU_DEP_1) | instskip(NEXT) | instid1(VALU_DEP_1)
	v_dual_add_nc_u32 v100, 14, v99 :: v_dual_add_nc_u32 v34, v34, v96
                                        ; implicit-def: $vgpr96_vgpr97
	v_cmpx_ne_u32_e32 0, v100
	s_xor_b32 s10, exec_lo, s10
; %bb.1222:                             ;   in Loop: Header=BB2_1198 Depth=2
	s_delay_alu instid0(VALU_DEP_2) | instskip(SKIP_1) | instid1(VALU_DEP_1)
	v_cmp_lt_u64_e32 vcc_lo, 0xffffff, v[34:35]
	v_add_nc_u32_e32 v96, 15, v99
	v_cndmask_b32_e32 v98, v100, v96, vcc_lo
	v_cndmask_b32_e64 v96, 0, 1, vcc_lo
	s_delay_alu instid0(VALU_DEP_1)
	v_lshrrev_b64 v[96:97], v96, v[34:35]
; %bb.1223:                             ;   in Loop: Header=BB2_1198 Depth=2
	s_and_not1_saveexec_b32 s10, s10
; %bb.1224:                             ;   in Loop: Header=BB2_1198 Depth=2
	v_mov_b64_e32 v[96:97], v[34:35]
	v_bfe_u32 v98, v34, 23, 1
; %bb.1225:                             ;   in Loop: Header=BB2_1198 Depth=2
	s_or_b32 exec_lo, exec_lo, s10
	s_delay_alu instid0(VALU_DEP_2) | instskip(NEXT) | instid1(VALU_DEP_2)
	v_lshrrev_b64 v[96:97], 21, v[96:97]
	v_cmp_gt_i32_e32 vcc_lo, 32, v98
	v_min_i32_e32 v34, 31, v98
	v_cmp_eq_u32_e64 s10, 0, v98
	s_delay_alu instid0(VALU_DEP_2) | instskip(SKIP_1) | instid1(VALU_DEP_2)
	v_dual_cndmask_b32 v97, 0, v97 :: v_dual_lshlrev_b32 v34, 2, v34
	v_cndmask_b32_e32 v96, 3, v96, vcc_lo
	v_and_b32_e32 v34, 0xfc, v34
	s_delay_alu instid0(VALU_DEP_2) | instskip(NEXT) | instid1(VALU_DEP_2)
	v_cmp_eq_u64_e32 vcc_lo, 0, v[96:97]
	v_and_or_b32 v34, v96, 3, v34
	s_and_b32 s10, s10, vcc_lo
	s_delay_alu instid0(VALU_DEP_1) | instid1(SALU_CYCLE_1)
	v_cndmask_b32_e64 v34, v34, 0, s10
	s_delay_alu instid0(VALU_DEP_1)
	v_or_b32_e32 v101, v34, v30
.LBB2_1226:                             ;   in Loop: Header=BB2_1198 Depth=2
	s_or_b32 exec_lo, exec_lo, s42
                                        ; implicit-def: $vgpr30
.LBB2_1227:                             ;   in Loop: Header=BB2_1198 Depth=2
	s_and_not1_saveexec_b32 s10, s41
; %bb.1228:                             ;   in Loop: Header=BB2_1198 Depth=2
	v_or_b32_e32 v101, 0x7b, v30
; %bb.1229:                             ;   in Loop: Header=BB2_1198 Depth=2
	s_or_b32 exec_lo, exec_lo, s10
                                        ; implicit-def: $vgpr96
                                        ; implicit-def: $vgpr30
.LBB2_1230:                             ;   in Loop: Header=BB2_1198 Depth=2
	s_and_not1_saveexec_b32 s10, s40
	s_cbranch_execz .LBB2_1236
; %bb.1231:                             ;   in Loop: Header=BB2_1198 Depth=2
	s_mov_b32 s40, exec_lo
                                        ; implicit-def: $vgpr101
	v_cmpx_ne_u64_e32 0, v[34:35]
	s_xor_b32 s40, exec_lo, s40
; %bb.1232:                             ;   in Loop: Header=BB2_1198 Depth=2
	v_or_b32_e32 v101, 0x7f, v30
                                        ; implicit-def: $vgpr96
; %bb.1233:                             ;   in Loop: Header=BB2_1198 Depth=2
	s_and_not1_saveexec_b32 s40, s40
; %bb.1234:                             ;   in Loop: Header=BB2_1198 Depth=2
	v_cmp_lt_i32_e32 vcc_lo, -1, v96
	v_cndmask_b32_e32 v101, 0xfc, v63, vcc_lo
; %bb.1235:                             ;   in Loop: Header=BB2_1198 Depth=2
	s_or_b32 exec_lo, exec_lo, s40
.LBB2_1236:                             ;   in Loop: Header=BB2_1198 Depth=2
	s_delay_alu instid0(SALU_CYCLE_1) | instskip(SKIP_3) | instid1(VALU_DEP_2)
	s_or_b32 exec_lo, exec_lo, s10
	v_lshrrev_b16 v34, 8, v10
	v_mov_b32_e32 v96, 0
	s_mov_b32 s10, exec_lo
	v_cmpx_ne_u16_e32 0, v34
	s_cbranch_execz .LBB2_1246
; %bb.1237:                             ;   in Loop: Header=BB2_1198 Depth=2
	v_bfrev_b32_e32 v96, 1
	s_mov_b32 s40, exec_lo
	v_cmpx_ne_u16_e32 0x80, v34
	s_cbranch_execz .LBB2_1245
; %bb.1238:                             ;   in Loop: Header=BB2_1198 Depth=2
	v_and_b32_e32 v97, 0xffff, v34
	s_delay_alu instid0(VALU_DEP_1) | instskip(SKIP_1) | instid1(VALU_DEP_2)
	v_and_b32_e32 v96, 0x7c, v97
	v_and_b32_e32 v30, 3, v97
	v_cmp_ne_u32_e32 vcc_lo, 0x7c, v96
                                        ; implicit-def: $vgpr96
	s_and_saveexec_b32 s41, vcc_lo
	s_delay_alu instid0(SALU_CYCLE_1)
	s_xor_b32 s41, exec_lo, s41
	s_cbranch_execz .LBB2_1242
; %bb.1239:                             ;   in Loop: Header=BB2_1198 Depth=2
	v_bfe_u32 v96, v97, 2, 5
	s_mov_b32 s42, exec_lo
	s_delay_alu instid0(VALU_DEP_1)
	v_cmpx_eq_u32_e32 0, v96
; %bb.1240:                             ;   in Loop: Header=BB2_1198 Depth=2
	v_clz_i32_u32_e32 v30, v30
	s_delay_alu instid0(VALU_DEP_1) | instskip(NEXT) | instid1(VALU_DEP_1)
	v_min_u32_e32 v30, 32, v30
	v_subrev_nc_u32_e32 v96, 29, v30
	s_delay_alu instid0(VALU_DEP_1) | instskip(SKIP_1) | instid1(VALU_DEP_2)
	v_lshlrev_b64_e32 v[98:99], v96, v[34:35]
	v_sub_nc_u32_e32 v96, 30, v30
	v_and_b32_e32 v30, 3, v98
; %bb.1241:                             ;   in Loop: Header=BB2_1198 Depth=2
	s_or_b32 exec_lo, exec_lo, s42
	v_lshlrev_b32_e32 v34, 16, v10
	s_delay_alu instid0(VALU_DEP_1) | instskip(NEXT) | instid1(VALU_DEP_1)
	v_and_b32_e32 v34, 0x80000000, v34
	v_lshl_add_u32 v34, v96, 23, v34
	s_delay_alu instid0(VALU_DEP_1) | instskip(NEXT) | instid1(VALU_DEP_1)
	v_lshl_or_b32 v30, v30, 21, v34
	v_add_nc_u32_e32 v96, 0x38000000, v30
                                        ; implicit-def: $vgpr30
.LBB2_1242:                             ;   in Loop: Header=BB2_1198 Depth=2
	s_and_not1_saveexec_b32 s41, s41
; %bb.1243:                             ;   in Loop: Header=BB2_1198 Depth=2
	v_cmp_lt_i16_e32 vcc_lo, -1, v10
	v_cndmask_b32_e32 v34, 0xff800000, v62, vcc_lo
	v_cmp_eq_u32_e32 vcc_lo, 0, v30
	s_delay_alu instid0(VALU_DEP_2)
	v_cndmask_b32_e32 v96, 0x7f800001, v34, vcc_lo
; %bb.1244:                             ;   in Loop: Header=BB2_1198 Depth=2
	s_or_b32 exec_lo, exec_lo, s41
.LBB2_1245:                             ;   in Loop: Header=BB2_1198 Depth=2
	s_delay_alu instid0(SALU_CYCLE_1)
	s_or_b32 exec_lo, exec_lo, s40
.LBB2_1246:                             ;   in Loop: Header=BB2_1198 Depth=2
	s_delay_alu instid0(SALU_CYCLE_1) | instskip(NEXT) | instid1(VALU_DEP_1)
	s_or_b32 exec_lo, exec_lo, s10
	v_dual_mul_f32 v96, s29, v96 :: v_dual_mov_b32 v99, v35
                                        ; implicit-def: $vgpr113
	s_mov_b32 s10, exec_lo
	s_delay_alu instid0(VALU_DEP_1) | instskip(SKIP_2) | instid1(VALU_DEP_3)
	v_and_b32_e32 v98, 0x7f800000, v96
	v_and_b32_e32 v34, 0x7fffff, v96
	v_lshrrev_b32_e32 v30, 24, v96
	v_cmpx_ne_u64_e32 0x7f800000, v[98:99]
	s_xor_b32 s40, exec_lo, s10
	s_cbranch_execz .LBB2_1260
; %bb.1247:                             ;   in Loop: Header=BB2_1198 Depth=2
	v_and_b32_e32 v98, 0x7fffffff, v96
	v_mov_b32_e32 v99, v35
	v_and_b32_e32 v30, 0x80, v30
                                        ; implicit-def: $vgpr113
	s_mov_b32 s10, exec_lo
	s_delay_alu instid0(VALU_DEP_2)
	v_cmpx_gt_u64_e32 0x47600001, v[98:99]
	s_xor_b32 s41, exec_lo, s10
	s_cbranch_execz .LBB2_1257
; %bb.1248:                             ;   in Loop: Header=BB2_1198 Depth=2
	v_mov_b32_e32 v113, 0
	s_mov_b32 s42, exec_lo
	v_cmpx_ne_u32_e32 0, v96
	s_cbranch_execz .LBB2_1256
; %bb.1249:                             ;   in Loop: Header=BB2_1198 Depth=2
	v_bfe_u32 v100, v96, 23, 8
	v_or_b32_e32 v98, 0x800000, v34
	s_delay_alu instid0(VALU_DEP_2) | instskip(SKIP_1) | instid1(VALU_DEP_2)
	v_sub_nc_u32_e32 v96, 0x71, v100
	v_cmp_gt_u32_e32 vcc_lo, 0x72, v100
	v_cndmask_b32_e32 v96, 0, v96, vcc_lo
	v_cmp_eq_u32_e32 vcc_lo, 0, v100
	s_delay_alu instid0(VALU_DEP_2) | instskip(NEXT) | instid1(VALU_DEP_1)
	v_cndmask_b32_e64 v113, v96, 0x70, vcc_lo
	v_dual_cndmask_b32 v34, v98, v34, vcc_lo :: v_dual_add_nc_u32 v96, 21, v113
	v_add_nc_u32_e32 v99, 20, v113
	s_delay_alu instid0(VALU_DEP_2) | instskip(NEXT) | instid1(VALU_DEP_2)
	v_lshlrev_b64_e64 v[96:97], v96, -1
	v_lshlrev_b64_e64 v[98:99], v99, 1
	s_delay_alu instid0(VALU_DEP_2) | instskip(NEXT) | instid1(VALU_DEP_3)
	v_bfi_b32 v115, v97, 0, 0
	v_bfi_b32 v114, v96, 0, v34
	v_lshrrev_b64 v[96:97], v113, v[34:35]
	s_delay_alu instid0(VALU_DEP_2) | instskip(NEXT) | instid1(VALU_DEP_2)
	v_cmp_eq_u64_e64 s10, v[114:115], v[98:99]
	v_mov_b64_e32 v[98:99], v[96:97]
	s_and_saveexec_b32 s43, s10
; %bb.1250:                             ;   in Loop: Header=BB2_1198 Depth=2
	v_bfe_u32 v34, v96, 21, 1
	s_delay_alu instid0(VALU_DEP_1) | instskip(NEXT) | instid1(VALU_DEP_1)
	v_add_nc_u64_e32 v[98:99], v[96:97], v[34:35]
	v_add_nc_u64_e32 v[98:99], -1, v[98:99]
; %bb.1251:                             ;   in Loop: Header=BB2_1198 Depth=2
	s_or_b32 exec_lo, exec_lo, s43
	v_add_nc_u32_e32 v34, 0xffffff81, v100
	v_lshrrev_b32_e32 v97, 23, v96
	s_mov_b32 s10, exec_lo
	s_delay_alu instid0(VALU_DEP_2) | instskip(NEXT) | instid1(VALU_DEP_1)
	v_cndmask_b32_e64 v34, v34, 0xffffff82, vcc_lo
	v_add3_u32 v99, v113, v34, v97
	v_and_b32_e32 v34, 0x1fffff, v98
                                        ; implicit-def: $vgpr98
	s_delay_alu instid0(VALU_DEP_1) | instskip(NEXT) | instid1(VALU_DEP_1)
	v_dual_add_nc_u32 v100, 14, v99 :: v_dual_add_nc_u32 v34, v34, v96
                                        ; implicit-def: $vgpr96_vgpr97
	v_cmpx_ne_u32_e32 0, v100
	s_xor_b32 s10, exec_lo, s10
; %bb.1252:                             ;   in Loop: Header=BB2_1198 Depth=2
	s_delay_alu instid0(VALU_DEP_2) | instskip(SKIP_1) | instid1(VALU_DEP_1)
	v_cmp_lt_u64_e32 vcc_lo, 0xffffff, v[34:35]
	v_add_nc_u32_e32 v96, 15, v99
	v_cndmask_b32_e32 v98, v100, v96, vcc_lo
	v_cndmask_b32_e64 v96, 0, 1, vcc_lo
	s_delay_alu instid0(VALU_DEP_1)
	v_lshrrev_b64 v[96:97], v96, v[34:35]
; %bb.1253:                             ;   in Loop: Header=BB2_1198 Depth=2
	s_and_not1_saveexec_b32 s10, s10
; %bb.1254:                             ;   in Loop: Header=BB2_1198 Depth=2
	v_mov_b64_e32 v[96:97], v[34:35]
	v_bfe_u32 v98, v34, 23, 1
; %bb.1255:                             ;   in Loop: Header=BB2_1198 Depth=2
	s_or_b32 exec_lo, exec_lo, s10
	s_delay_alu instid0(VALU_DEP_2) | instskip(NEXT) | instid1(VALU_DEP_2)
	v_lshrrev_b64 v[96:97], 21, v[96:97]
	v_cmp_gt_i32_e32 vcc_lo, 32, v98
	v_min_i32_e32 v34, 31, v98
	v_cmp_eq_u32_e64 s10, 0, v98
	s_delay_alu instid0(VALU_DEP_2) | instskip(SKIP_1) | instid1(VALU_DEP_2)
	v_dual_cndmask_b32 v97, 0, v97 :: v_dual_lshlrev_b32 v34, 2, v34
	v_cndmask_b32_e32 v96, 3, v96, vcc_lo
	v_and_b32_e32 v34, 0xfc, v34
	s_delay_alu instid0(VALU_DEP_2) | instskip(NEXT) | instid1(VALU_DEP_2)
	v_cmp_eq_u64_e32 vcc_lo, 0, v[96:97]
	v_and_or_b32 v34, v96, 3, v34
	s_and_b32 s10, s10, vcc_lo
	s_delay_alu instid0(VALU_DEP_1) | instid1(SALU_CYCLE_1)
	v_cndmask_b32_e64 v34, v34, 0, s10
	s_delay_alu instid0(VALU_DEP_1)
	v_or_b32_e32 v113, v34, v30
.LBB2_1256:                             ;   in Loop: Header=BB2_1198 Depth=2
	s_or_b32 exec_lo, exec_lo, s42
                                        ; implicit-def: $vgpr30
.LBB2_1257:                             ;   in Loop: Header=BB2_1198 Depth=2
	s_and_not1_saveexec_b32 s10, s41
; %bb.1258:                             ;   in Loop: Header=BB2_1198 Depth=2
	v_or_b32_e32 v113, 0x7b, v30
; %bb.1259:                             ;   in Loop: Header=BB2_1198 Depth=2
	s_or_b32 exec_lo, exec_lo, s10
                                        ; implicit-def: $vgpr96
                                        ; implicit-def: $vgpr30
.LBB2_1260:                             ;   in Loop: Header=BB2_1198 Depth=2
	s_and_not1_saveexec_b32 s10, s40
	s_cbranch_execz .LBB2_1266
; %bb.1261:                             ;   in Loop: Header=BB2_1198 Depth=2
	s_mov_b32 s40, exec_lo
                                        ; implicit-def: $vgpr113
	v_cmpx_ne_u64_e32 0, v[34:35]
	s_xor_b32 s40, exec_lo, s40
; %bb.1262:                             ;   in Loop: Header=BB2_1198 Depth=2
	v_or_b32_e32 v113, 0x7f, v30
                                        ; implicit-def: $vgpr96
; %bb.1263:                             ;   in Loop: Header=BB2_1198 Depth=2
	s_and_not1_saveexec_b32 s40, s40
; %bb.1264:                             ;   in Loop: Header=BB2_1198 Depth=2
	v_cmp_lt_i32_e32 vcc_lo, -1, v96
	v_cndmask_b32_e32 v113, 0xfc, v63, vcc_lo
; %bb.1265:                             ;   in Loop: Header=BB2_1198 Depth=2
	s_or_b32 exec_lo, exec_lo, s40
.LBB2_1266:                             ;   in Loop: Header=BB2_1198 Depth=2
	s_delay_alu instid0(SALU_CYCLE_1) | instskip(SKIP_2) | instid1(VALU_DEP_1)
	s_or_b32 exec_lo, exec_lo, s10
	v_dual_lshrrev_b32 v30, 16, v10 :: v_dual_mov_b32 v34, 0
	s_mov_b32 s10, exec_lo
	v_and_b32_e32 v96, 0xff, v30
	s_delay_alu instid0(VALU_DEP_1)
	v_cmpx_ne_u16_e32 0, v96
	s_cbranch_execz .LBB2_1276
; %bb.1267:                             ;   in Loop: Header=BB2_1198 Depth=2
	v_bfrev_b32_e32 v34, 1
	s_mov_b32 s40, exec_lo
	v_cmpx_ne_u16_e32 0x80, v96
	s_cbranch_execz .LBB2_1275
; %bb.1268:                             ;   in Loop: Header=BB2_1198 Depth=2
	v_and_b32_e32 v34, 0x7c0000, v10
	v_bfe_u32 v96, v10, 16, 2
	s_delay_alu instid0(VALU_DEP_2) | instskip(SKIP_1) | instid1(SALU_CYCLE_1)
	v_cmp_ne_u32_e32 vcc_lo, 0x7c0000, v34
                                        ; implicit-def: $vgpr34
	s_and_saveexec_b32 s41, vcc_lo
	s_xor_b32 s41, exec_lo, s41
	s_cbranch_execz .LBB2_1272
; %bb.1269:                             ;   in Loop: Header=BB2_1198 Depth=2
	v_bfe_u32 v34, v10, 18, 5
	s_mov_b32 s42, exec_lo
	s_delay_alu instid0(VALU_DEP_1)
	v_cmpx_eq_u32_e32 0, v34
; %bb.1270:                             ;   in Loop: Header=BB2_1198 Depth=2
	v_clz_i32_u32_e32 v34, v96
	s_delay_alu instid0(VALU_DEP_1) | instskip(NEXT) | instid1(VALU_DEP_1)
	v_min_u32_e32 v34, 32, v34
	v_subrev_nc_u32_e32 v96, 29, v34
	s_delay_alu instid0(VALU_DEP_1) | instskip(NEXT) | instid1(VALU_DEP_1)
	v_lshlrev_b64_e32 v[96:97], v96, v[30:31]
	v_dual_sub_nc_u32 v34, 30, v34 :: v_dual_bitop2_b32 v96, 3, v96 bitop3:0x40
; %bb.1271:                             ;   in Loop: Header=BB2_1198 Depth=2
	s_or_b32 exec_lo, exec_lo, s42
	v_lshlrev_b32_e32 v30, 24, v30
	s_delay_alu instid0(VALU_DEP_1) | instskip(NEXT) | instid1(VALU_DEP_1)
	v_and_b32_e32 v30, 0x80000000, v30
	v_lshl_add_u32 v30, v34, 23, v30
	s_delay_alu instid0(VALU_DEP_1) | instskip(NEXT) | instid1(VALU_DEP_1)
	v_lshl_or_b32 v30, v96, 21, v30
                                        ; implicit-def: $vgpr96
	v_add_nc_u32_e32 v34, 0x38000000, v30
                                        ; implicit-def: $vgpr30
.LBB2_1272:                             ;   in Loop: Header=BB2_1198 Depth=2
	s_and_not1_saveexec_b32 s41, s41
; %bb.1273:                             ;   in Loop: Header=BB2_1198 Depth=2
	v_bfe_i32 v30, v30, 0, 8
	s_delay_alu instid0(VALU_DEP_1) | instskip(SKIP_2) | instid1(VALU_DEP_2)
	v_cmp_lt_i16_e32 vcc_lo, -1, v30
	v_cndmask_b32_e32 v30, 0xff800000, v62, vcc_lo
	v_cmp_eq_u32_e32 vcc_lo, 0, v96
	v_cndmask_b32_e32 v34, 0x7f800001, v30, vcc_lo
; %bb.1274:                             ;   in Loop: Header=BB2_1198 Depth=2
	s_or_b32 exec_lo, exec_lo, s41
.LBB2_1275:                             ;   in Loop: Header=BB2_1198 Depth=2
	s_delay_alu instid0(SALU_CYCLE_1)
	s_or_b32 exec_lo, exec_lo, s40
.LBB2_1276:                             ;   in Loop: Header=BB2_1198 Depth=2
	s_delay_alu instid0(SALU_CYCLE_1) | instskip(NEXT) | instid1(VALU_DEP_1)
	s_or_b32 exec_lo, exec_lo, s10
	v_dual_mul_f32 v96, s29, v34 :: v_dual_mov_b32 v99, v35
                                        ; implicit-def: $vgpr115
	s_mov_b32 s10, exec_lo
	s_delay_alu instid0(VALU_DEP_1) | instskip(SKIP_2) | instid1(VALU_DEP_3)
	v_and_b32_e32 v98, 0x7f800000, v96
	v_and_b32_e32 v34, 0x7fffff, v96
	v_lshrrev_b32_e32 v30, 24, v96
	v_cmpx_ne_u64_e32 0x7f800000, v[98:99]
	s_xor_b32 s40, exec_lo, s10
	s_cbranch_execz .LBB2_1290
; %bb.1277:                             ;   in Loop: Header=BB2_1198 Depth=2
	v_and_b32_e32 v98, 0x7fffffff, v96
	v_mov_b32_e32 v99, v35
	v_and_b32_e32 v30, 0x80, v30
                                        ; implicit-def: $vgpr115
	s_mov_b32 s10, exec_lo
	s_delay_alu instid0(VALU_DEP_2)
	v_cmpx_gt_u64_e32 0x47600001, v[98:99]
	s_xor_b32 s41, exec_lo, s10
	s_cbranch_execz .LBB2_1287
; %bb.1278:                             ;   in Loop: Header=BB2_1198 Depth=2
	v_mov_b32_e32 v115, 0
	s_mov_b32 s42, exec_lo
	v_cmpx_ne_u32_e32 0, v96
	s_cbranch_execz .LBB2_1286
; %bb.1279:                             ;   in Loop: Header=BB2_1198 Depth=2
	v_bfe_u32 v100, v96, 23, 8
	v_or_b32_e32 v98, 0x800000, v34
	s_delay_alu instid0(VALU_DEP_2) | instskip(SKIP_1) | instid1(VALU_DEP_2)
	v_sub_nc_u32_e32 v96, 0x71, v100
	v_cmp_gt_u32_e32 vcc_lo, 0x72, v100
	v_cndmask_b32_e32 v96, 0, v96, vcc_lo
	v_cmp_eq_u32_e32 vcc_lo, 0, v100
	s_delay_alu instid0(VALU_DEP_2) | instskip(SKIP_1) | instid1(VALU_DEP_2)
	v_cndmask_b32_e64 v114, v96, 0x70, vcc_lo
	v_cndmask_b32_e32 v34, v98, v34, vcc_lo
	v_dual_add_nc_u32 v96, 21, v114 :: v_dual_add_nc_u32 v99, 20, v114
	s_delay_alu instid0(VALU_DEP_1) | instskip(NEXT) | instid1(VALU_DEP_2)
	v_lshlrev_b64_e64 v[96:97], v96, -1
	v_lshlrev_b64_e64 v[98:99], v99, 1
	s_delay_alu instid0(VALU_DEP_2) | instskip(NEXT) | instid1(VALU_DEP_3)
	v_bfi_b32 v117, v97, 0, 0
	v_bfi_b32 v116, v96, 0, v34
	v_lshrrev_b64 v[96:97], v114, v[34:35]
	s_delay_alu instid0(VALU_DEP_2) | instskip(NEXT) | instid1(VALU_DEP_2)
	v_cmp_eq_u64_e64 s10, v[116:117], v[98:99]
	v_mov_b64_e32 v[98:99], v[96:97]
	s_and_saveexec_b32 s43, s10
; %bb.1280:                             ;   in Loop: Header=BB2_1198 Depth=2
	v_bfe_u32 v34, v96, 21, 1
	s_delay_alu instid0(VALU_DEP_1) | instskip(NEXT) | instid1(VALU_DEP_1)
	v_add_nc_u64_e32 v[98:99], v[96:97], v[34:35]
	v_add_nc_u64_e32 v[98:99], -1, v[98:99]
; %bb.1281:                             ;   in Loop: Header=BB2_1198 Depth=2
	s_or_b32 exec_lo, exec_lo, s43
	v_add_nc_u32_e32 v34, 0xffffff81, v100
	v_lshrrev_b32_e32 v97, 23, v96
	s_mov_b32 s10, exec_lo
	s_delay_alu instid0(VALU_DEP_2) | instskip(NEXT) | instid1(VALU_DEP_1)
	v_cndmask_b32_e64 v34, v34, 0xffffff82, vcc_lo
	v_add3_u32 v99, v114, v34, v97
	v_and_b32_e32 v34, 0x1fffff, v98
                                        ; implicit-def: $vgpr98
	s_delay_alu instid0(VALU_DEP_1) | instskip(NEXT) | instid1(VALU_DEP_1)
	v_dual_add_nc_u32 v100, 14, v99 :: v_dual_add_nc_u32 v34, v34, v96
                                        ; implicit-def: $vgpr96_vgpr97
	v_cmpx_ne_u32_e32 0, v100
	s_xor_b32 s10, exec_lo, s10
; %bb.1282:                             ;   in Loop: Header=BB2_1198 Depth=2
	s_delay_alu instid0(VALU_DEP_2) | instskip(SKIP_1) | instid1(VALU_DEP_1)
	v_cmp_lt_u64_e32 vcc_lo, 0xffffff, v[34:35]
	v_add_nc_u32_e32 v96, 15, v99
	v_cndmask_b32_e32 v98, v100, v96, vcc_lo
	v_cndmask_b32_e64 v96, 0, 1, vcc_lo
	s_delay_alu instid0(VALU_DEP_1)
	v_lshrrev_b64 v[96:97], v96, v[34:35]
; %bb.1283:                             ;   in Loop: Header=BB2_1198 Depth=2
	s_and_not1_saveexec_b32 s10, s10
; %bb.1284:                             ;   in Loop: Header=BB2_1198 Depth=2
	v_mov_b64_e32 v[96:97], v[34:35]
	v_bfe_u32 v98, v34, 23, 1
; %bb.1285:                             ;   in Loop: Header=BB2_1198 Depth=2
	s_or_b32 exec_lo, exec_lo, s10
	s_delay_alu instid0(VALU_DEP_2) | instskip(NEXT) | instid1(VALU_DEP_2)
	v_lshrrev_b64 v[96:97], 21, v[96:97]
	v_cmp_gt_i32_e32 vcc_lo, 32, v98
	v_min_i32_e32 v34, 31, v98
	v_cmp_eq_u32_e64 s10, 0, v98
	s_delay_alu instid0(VALU_DEP_2) | instskip(SKIP_1) | instid1(VALU_DEP_2)
	v_dual_cndmask_b32 v97, 0, v97 :: v_dual_lshlrev_b32 v34, 2, v34
	v_cndmask_b32_e32 v96, 3, v96, vcc_lo
	v_and_b32_e32 v34, 0xfc, v34
	s_delay_alu instid0(VALU_DEP_2) | instskip(NEXT) | instid1(VALU_DEP_2)
	v_cmp_eq_u64_e32 vcc_lo, 0, v[96:97]
	v_and_or_b32 v34, v96, 3, v34
	s_and_b32 s10, s10, vcc_lo
	s_delay_alu instid0(VALU_DEP_1) | instid1(SALU_CYCLE_1)
	v_cndmask_b32_e64 v34, v34, 0, s10
	s_delay_alu instid0(VALU_DEP_1)
	v_or_b32_e32 v115, v34, v30
.LBB2_1286:                             ;   in Loop: Header=BB2_1198 Depth=2
	s_or_b32 exec_lo, exec_lo, s42
                                        ; implicit-def: $vgpr30
.LBB2_1287:                             ;   in Loop: Header=BB2_1198 Depth=2
	s_and_not1_saveexec_b32 s10, s41
; %bb.1288:                             ;   in Loop: Header=BB2_1198 Depth=2
	v_or_b32_e32 v115, 0x7b, v30
; %bb.1289:                             ;   in Loop: Header=BB2_1198 Depth=2
	s_or_b32 exec_lo, exec_lo, s10
                                        ; implicit-def: $vgpr96
                                        ; implicit-def: $vgpr30
.LBB2_1290:                             ;   in Loop: Header=BB2_1198 Depth=2
	s_and_not1_saveexec_b32 s10, s40
	s_cbranch_execz .LBB2_1296
; %bb.1291:                             ;   in Loop: Header=BB2_1198 Depth=2
	s_mov_b32 s40, exec_lo
                                        ; implicit-def: $vgpr115
	v_cmpx_ne_u64_e32 0, v[34:35]
	s_xor_b32 s40, exec_lo, s40
; %bb.1292:                             ;   in Loop: Header=BB2_1198 Depth=2
	v_or_b32_e32 v115, 0x7f, v30
                                        ; implicit-def: $vgpr96
; %bb.1293:                             ;   in Loop: Header=BB2_1198 Depth=2
	s_and_not1_saveexec_b32 s40, s40
; %bb.1294:                             ;   in Loop: Header=BB2_1198 Depth=2
	v_cmp_lt_i32_e32 vcc_lo, -1, v96
	v_cndmask_b32_e32 v115, 0xfc, v63, vcc_lo
; %bb.1295:                             ;   in Loop: Header=BB2_1198 Depth=2
	s_or_b32 exec_lo, exec_lo, s40
.LBB2_1296:                             ;   in Loop: Header=BB2_1198 Depth=2
	s_delay_alu instid0(SALU_CYCLE_1)
	s_or_b32 exec_lo, exec_lo, s10
	v_mov_b32_e32 v34, 0
	s_mov_b32 s10, exec_lo
	v_cmpx_lt_u32_e32 0xffffff, v10
	s_cbranch_execz .LBB2_1306
; %bb.1297:                             ;   in Loop: Header=BB2_1198 Depth=2
	v_lshrrev_b32_e32 v30, 24, v10
	v_bfrev_b32_e32 v34, 1
	s_mov_b32 s40, exec_lo
	s_delay_alu instid0(VALU_DEP_2)
	v_cmpx_ne_u32_e32 0x80, v30
	s_cbranch_execz .LBB2_1305
; %bb.1298:                             ;   in Loop: Header=BB2_1198 Depth=2
	v_and_b32_e32 v34, 0x7c000000, v10
	v_bfe_u32 v96, v10, 24, 2
	s_delay_alu instid0(VALU_DEP_2) | instskip(SKIP_1) | instid1(SALU_CYCLE_1)
	v_cmp_ne_u32_e32 vcc_lo, 0x7c000000, v34
                                        ; implicit-def: $vgpr34
	s_and_saveexec_b32 s41, vcc_lo
	s_xor_b32 s41, exec_lo, s41
	s_cbranch_execz .LBB2_1302
; %bb.1299:                             ;   in Loop: Header=BB2_1198 Depth=2
	v_bfe_u32 v34, v10, 26, 5
	s_mov_b32 s42, exec_lo
	s_delay_alu instid0(VALU_DEP_1)
	v_cmpx_eq_u32_e32 0, v34
; %bb.1300:                             ;   in Loop: Header=BB2_1198 Depth=2
	v_clz_i32_u32_e32 v34, v96
	s_delay_alu instid0(VALU_DEP_1) | instskip(NEXT) | instid1(VALU_DEP_1)
	v_min_u32_e32 v34, 32, v34
	v_subrev_nc_u32_e32 v96, 29, v34
	s_delay_alu instid0(VALU_DEP_1) | instskip(NEXT) | instid1(VALU_DEP_1)
	v_lshlrev_b64_e32 v[96:97], v96, v[30:31]
	v_dual_sub_nc_u32 v34, 30, v34 :: v_dual_bitop2_b32 v96, 3, v96 bitop3:0x40
; %bb.1301:                             ;   in Loop: Header=BB2_1198 Depth=2
	s_or_b32 exec_lo, exec_lo, s42
	v_and_b32_e32 v30, 0x80000000, v10
	s_delay_alu instid0(VALU_DEP_1) | instskip(NEXT) | instid1(VALU_DEP_1)
	v_lshl_add_u32 v30, v34, 23, v30
	v_lshl_or_b32 v30, v96, 21, v30
                                        ; implicit-def: $vgpr96
	s_delay_alu instid0(VALU_DEP_1)
	v_add_nc_u32_e32 v34, 0x38000000, v30
.LBB2_1302:                             ;   in Loop: Header=BB2_1198 Depth=2
	s_and_not1_saveexec_b32 s41, s41
; %bb.1303:                             ;   in Loop: Header=BB2_1198 Depth=2
	v_cmp_lt_i32_e32 vcc_lo, -1, v10
	v_cndmask_b32_e32 v30, 0xff800000, v62, vcc_lo
	v_cmp_eq_u32_e32 vcc_lo, 0, v96
	s_delay_alu instid0(VALU_DEP_2)
	v_cndmask_b32_e32 v34, 0x7f800001, v30, vcc_lo
; %bb.1304:                             ;   in Loop: Header=BB2_1198 Depth=2
	s_or_b32 exec_lo, exec_lo, s41
.LBB2_1305:                             ;   in Loop: Header=BB2_1198 Depth=2
	s_delay_alu instid0(SALU_CYCLE_1)
	s_or_b32 exec_lo, exec_lo, s40
.LBB2_1306:                             ;   in Loop: Header=BB2_1198 Depth=2
	s_delay_alu instid0(SALU_CYCLE_1) | instskip(NEXT) | instid1(VALU_DEP_1)
	s_or_b32 exec_lo, exec_lo, s10
	v_dual_mul_f32 v96, s29, v34 :: v_dual_mov_b32 v99, v35
                                        ; implicit-def: $vgpr118
	s_mov_b32 s10, exec_lo
	s_delay_alu instid0(VALU_DEP_1) | instskip(SKIP_2) | instid1(VALU_DEP_3)
	v_and_b32_e32 v98, 0x7f800000, v96
	v_and_b32_e32 v34, 0x7fffff, v96
	v_lshrrev_b32_e32 v30, 24, v96
	v_cmpx_ne_u64_e32 0x7f800000, v[98:99]
	s_xor_b32 s40, exec_lo, s10
	s_cbranch_execz .LBB2_1320
; %bb.1307:                             ;   in Loop: Header=BB2_1198 Depth=2
	v_and_b32_e32 v98, 0x7fffffff, v96
	v_mov_b32_e32 v99, v35
	v_and_b32_e32 v30, 0x80, v30
                                        ; implicit-def: $vgpr118
	s_mov_b32 s10, exec_lo
	s_delay_alu instid0(VALU_DEP_2)
	v_cmpx_gt_u64_e32 0x47600001, v[98:99]
	s_xor_b32 s41, exec_lo, s10
	s_cbranch_execz .LBB2_1317
; %bb.1308:                             ;   in Loop: Header=BB2_1198 Depth=2
	v_mov_b32_e32 v118, 0
	s_mov_b32 s42, exec_lo
	v_cmpx_ne_u32_e32 0, v96
	s_cbranch_execz .LBB2_1316
; %bb.1309:                             ;   in Loop: Header=BB2_1198 Depth=2
	v_bfe_u32 v100, v96, 23, 8
	v_or_b32_e32 v98, 0x800000, v34
	s_delay_alu instid0(VALU_DEP_2) | instskip(SKIP_1) | instid1(VALU_DEP_2)
	v_sub_nc_u32_e32 v96, 0x71, v100
	v_cmp_gt_u32_e32 vcc_lo, 0x72, v100
	v_cndmask_b32_e32 v96, 0, v96, vcc_lo
	v_cmp_eq_u32_e32 vcc_lo, 0, v100
	s_delay_alu instid0(VALU_DEP_2) | instskip(SKIP_1) | instid1(VALU_DEP_2)
	v_cndmask_b32_e64 v114, v96, 0x70, vcc_lo
	v_cndmask_b32_e32 v34, v98, v34, vcc_lo
	v_dual_add_nc_u32 v96, 21, v114 :: v_dual_add_nc_u32 v99, 20, v114
	s_delay_alu instid0(VALU_DEP_1) | instskip(NEXT) | instid1(VALU_DEP_2)
	v_lshlrev_b64_e64 v[96:97], v96, -1
	v_lshlrev_b64_e64 v[98:99], v99, 1
	s_delay_alu instid0(VALU_DEP_2) | instskip(NEXT) | instid1(VALU_DEP_3)
	v_bfi_b32 v117, v97, 0, 0
	v_bfi_b32 v116, v96, 0, v34
	v_lshrrev_b64 v[96:97], v114, v[34:35]
	s_delay_alu instid0(VALU_DEP_2) | instskip(NEXT) | instid1(VALU_DEP_2)
	v_cmp_eq_u64_e64 s10, v[116:117], v[98:99]
	v_mov_b64_e32 v[98:99], v[96:97]
	s_and_saveexec_b32 s43, s10
; %bb.1310:                             ;   in Loop: Header=BB2_1198 Depth=2
	v_bfe_u32 v34, v96, 21, 1
	s_delay_alu instid0(VALU_DEP_1) | instskip(NEXT) | instid1(VALU_DEP_1)
	v_add_nc_u64_e32 v[98:99], v[96:97], v[34:35]
	v_add_nc_u64_e32 v[98:99], -1, v[98:99]
; %bb.1311:                             ;   in Loop: Header=BB2_1198 Depth=2
	s_or_b32 exec_lo, exec_lo, s43
	v_add_nc_u32_e32 v34, 0xffffff81, v100
	v_lshrrev_b32_e32 v97, 23, v96
	s_mov_b32 s10, exec_lo
	s_delay_alu instid0(VALU_DEP_2) | instskip(NEXT) | instid1(VALU_DEP_1)
	v_cndmask_b32_e64 v34, v34, 0xffffff82, vcc_lo
	v_add3_u32 v99, v114, v34, v97
	v_and_b32_e32 v34, 0x1fffff, v98
                                        ; implicit-def: $vgpr98
	s_delay_alu instid0(VALU_DEP_1) | instskip(NEXT) | instid1(VALU_DEP_1)
	v_dual_add_nc_u32 v100, 14, v99 :: v_dual_add_nc_u32 v34, v34, v96
                                        ; implicit-def: $vgpr96_vgpr97
	v_cmpx_ne_u32_e32 0, v100
	s_xor_b32 s10, exec_lo, s10
; %bb.1312:                             ;   in Loop: Header=BB2_1198 Depth=2
	s_delay_alu instid0(VALU_DEP_2) | instskip(SKIP_1) | instid1(VALU_DEP_1)
	v_cmp_lt_u64_e32 vcc_lo, 0xffffff, v[34:35]
	v_add_nc_u32_e32 v96, 15, v99
	v_cndmask_b32_e32 v98, v100, v96, vcc_lo
	v_cndmask_b32_e64 v96, 0, 1, vcc_lo
	s_delay_alu instid0(VALU_DEP_1)
	v_lshrrev_b64 v[96:97], v96, v[34:35]
; %bb.1313:                             ;   in Loop: Header=BB2_1198 Depth=2
	s_and_not1_saveexec_b32 s10, s10
; %bb.1314:                             ;   in Loop: Header=BB2_1198 Depth=2
	v_mov_b64_e32 v[96:97], v[34:35]
	v_bfe_u32 v98, v34, 23, 1
; %bb.1315:                             ;   in Loop: Header=BB2_1198 Depth=2
	s_or_b32 exec_lo, exec_lo, s10
	s_delay_alu instid0(VALU_DEP_2) | instskip(NEXT) | instid1(VALU_DEP_2)
	v_lshrrev_b64 v[96:97], 21, v[96:97]
	v_cmp_gt_i32_e32 vcc_lo, 32, v98
	v_min_i32_e32 v34, 31, v98
	v_cmp_eq_u32_e64 s10, 0, v98
	s_delay_alu instid0(VALU_DEP_2) | instskip(SKIP_1) | instid1(VALU_DEP_2)
	v_dual_cndmask_b32 v97, 0, v97 :: v_dual_lshlrev_b32 v34, 2, v34
	v_cndmask_b32_e32 v96, 3, v96, vcc_lo
	v_and_b32_e32 v34, 0xfc, v34
	s_delay_alu instid0(VALU_DEP_2) | instskip(NEXT) | instid1(VALU_DEP_2)
	v_cmp_eq_u64_e32 vcc_lo, 0, v[96:97]
	v_and_or_b32 v34, v96, 3, v34
	s_and_b32 s10, s10, vcc_lo
	s_delay_alu instid0(VALU_DEP_1) | instid1(SALU_CYCLE_1)
	v_cndmask_b32_e64 v34, v34, 0, s10
	s_delay_alu instid0(VALU_DEP_1)
	v_or_b32_e32 v118, v34, v30
.LBB2_1316:                             ;   in Loop: Header=BB2_1198 Depth=2
	s_or_b32 exec_lo, exec_lo, s42
                                        ; implicit-def: $vgpr30
.LBB2_1317:                             ;   in Loop: Header=BB2_1198 Depth=2
	s_and_not1_saveexec_b32 s10, s41
; %bb.1318:                             ;   in Loop: Header=BB2_1198 Depth=2
	v_or_b32_e32 v118, 0x7b, v30
; %bb.1319:                             ;   in Loop: Header=BB2_1198 Depth=2
	s_or_b32 exec_lo, exec_lo, s10
                                        ; implicit-def: $vgpr96
                                        ; implicit-def: $vgpr30
.LBB2_1320:                             ;   in Loop: Header=BB2_1198 Depth=2
	s_and_not1_saveexec_b32 s10, s40
	s_cbranch_execz .LBB2_1326
; %bb.1321:                             ;   in Loop: Header=BB2_1198 Depth=2
	s_mov_b32 s40, exec_lo
                                        ; implicit-def: $vgpr118
	v_cmpx_ne_u64_e32 0, v[34:35]
	s_xor_b32 s40, exec_lo, s40
; %bb.1322:                             ;   in Loop: Header=BB2_1198 Depth=2
	v_or_b32_e32 v118, 0x7f, v30
                                        ; implicit-def: $vgpr96
; %bb.1323:                             ;   in Loop: Header=BB2_1198 Depth=2
	s_and_not1_saveexec_b32 s40, s40
; %bb.1324:                             ;   in Loop: Header=BB2_1198 Depth=2
	v_cmp_lt_i32_e32 vcc_lo, -1, v96
	v_cndmask_b32_e32 v118, 0xfc, v63, vcc_lo
; %bb.1325:                             ;   in Loop: Header=BB2_1198 Depth=2
	s_or_b32 exec_lo, exec_lo, s40
.LBB2_1326:                             ;   in Loop: Header=BB2_1198 Depth=2
	s_delay_alu instid0(SALU_CYCLE_1) | instskip(SKIP_3) | instid1(VALU_DEP_2)
	s_or_b32 exec_lo, exec_lo, s10
	v_and_b32_e32 v96, 0xff, v11
	v_dual_mov_b32 v34, v11 :: v_dual_mov_b32 v30, 0
	s_mov_b32 s10, exec_lo
	v_cmpx_ne_u16_e32 0, v96
	s_cbranch_execz .LBB2_1336
; %bb.1327:                             ;   in Loop: Header=BB2_1198 Depth=2
	v_bfrev_b32_e32 v30, 1
	s_mov_b32 s40, exec_lo
	v_cmpx_ne_u16_e32 0x80, v96
	s_cbranch_execz .LBB2_1335
; %bb.1328:                             ;   in Loop: Header=BB2_1198 Depth=2
	v_and_b32_e32 v30, 0x7c, v11
	v_and_b32_e32 v96, 3, v11
	s_delay_alu instid0(VALU_DEP_2) | instskip(SKIP_1) | instid1(SALU_CYCLE_1)
	v_cmp_ne_u32_e32 vcc_lo, 0x7c, v30
                                        ; implicit-def: $vgpr30
	s_and_saveexec_b32 s41, vcc_lo
	s_xor_b32 s41, exec_lo, s41
	s_cbranch_execz .LBB2_1332
; %bb.1329:                             ;   in Loop: Header=BB2_1198 Depth=2
	v_bfe_u32 v30, v11, 2, 5
	s_mov_b32 s42, exec_lo
	s_delay_alu instid0(VALU_DEP_1)
	v_cmpx_eq_u32_e32 0, v30
; %bb.1330:                             ;   in Loop: Header=BB2_1198 Depth=2
	v_clz_i32_u32_e32 v30, v96
	s_delay_alu instid0(VALU_DEP_1) | instskip(NEXT) | instid1(VALU_DEP_1)
	v_min_u32_e32 v30, 32, v30
	v_subrev_nc_u32_e32 v96, 29, v30
	s_delay_alu instid0(VALU_DEP_1) | instskip(NEXT) | instid1(VALU_DEP_1)
	v_lshlrev_b64_e32 v[96:97], v96, v[34:35]
	v_dual_sub_nc_u32 v30, 30, v30 :: v_dual_bitop2_b32 v96, 3, v96 bitop3:0x40
; %bb.1331:                             ;   in Loop: Header=BB2_1198 Depth=2
	s_or_b32 exec_lo, exec_lo, s42
	v_lshlrev_b32_e32 v97, 24, v11
	s_delay_alu instid0(VALU_DEP_1) | instskip(NEXT) | instid1(VALU_DEP_1)
	v_and_b32_e32 v97, 0x80000000, v97
	v_lshl_add_u32 v30, v30, 23, v97
	s_delay_alu instid0(VALU_DEP_1) | instskip(NEXT) | instid1(VALU_DEP_1)
	v_lshl_or_b32 v30, v96, 21, v30
                                        ; implicit-def: $vgpr96
	v_add_nc_u32_e32 v30, 0x38000000, v30
.LBB2_1332:                             ;   in Loop: Header=BB2_1198 Depth=2
	s_and_not1_saveexec_b32 s41, s41
; %bb.1333:                             ;   in Loop: Header=BB2_1198 Depth=2
	v_bfe_i32 v30, v11, 0, 8
	s_delay_alu instid0(VALU_DEP_1) | instskip(SKIP_2) | instid1(VALU_DEP_2)
	v_cmp_lt_i16_e32 vcc_lo, -1, v30
	v_cndmask_b32_e32 v30, 0xff800000, v62, vcc_lo
	v_cmp_eq_u32_e32 vcc_lo, 0, v96
	v_cndmask_b32_e32 v30, 0x7f800001, v30, vcc_lo
; %bb.1334:                             ;   in Loop: Header=BB2_1198 Depth=2
	s_or_b32 exec_lo, exec_lo, s41
.LBB2_1335:                             ;   in Loop: Header=BB2_1198 Depth=2
	s_delay_alu instid0(SALU_CYCLE_1)
	s_or_b32 exec_lo, exec_lo, s40
.LBB2_1336:                             ;   in Loop: Header=BB2_1198 Depth=2
	s_delay_alu instid0(SALU_CYCLE_1) | instskip(NEXT) | instid1(VALU_DEP_1)
	s_or_b32 exec_lo, exec_lo, s10
	v_dual_mul_f32 v98, s29, v30 :: v_dual_mov_b32 v117, v35
	v_mov_b32_e32 v97, v35
                                        ; implicit-def: $vgpr100
	s_mov_b32 s10, exec_lo
	s_delay_alu instid0(VALU_DEP_2) | instskip(SKIP_2) | instid1(VALU_DEP_3)
	v_and_b32_e32 v116, 0x7f800000, v98
	v_and_b32_e32 v96, 0x7fffff, v98
	v_lshrrev_b32_e32 v30, 24, v98
	v_cmpx_ne_u64_e32 0x7f800000, v[116:117]
	s_xor_b32 s40, exec_lo, s10
	s_cbranch_execz .LBB2_1350
; %bb.1337:                             ;   in Loop: Header=BB2_1198 Depth=2
	v_and_b32_e32 v116, 0x7fffffff, v98
	v_mov_b32_e32 v117, v35
	v_and_b32_e32 v30, 0x80, v30
                                        ; implicit-def: $vgpr100
	s_mov_b32 s10, exec_lo
	s_delay_alu instid0(VALU_DEP_2)
	v_cmpx_gt_u64_e32 0x47600001, v[116:117]
	s_xor_b32 s41, exec_lo, s10
	s_cbranch_execz .LBB2_1347
; %bb.1338:                             ;   in Loop: Header=BB2_1198 Depth=2
	v_mov_b32_e32 v100, 0
	s_mov_b32 s42, exec_lo
	v_cmpx_ne_u32_e32 0, v98
	s_cbranch_execz .LBB2_1346
; %bb.1339:                             ;   in Loop: Header=BB2_1198 Depth=2
	v_bfe_u32 v100, v98, 23, 8
	v_or_b32_e32 v116, 0x800000, v96
	s_delay_alu instid0(VALU_DEP_2) | instskip(SKIP_1) | instid1(VALU_DEP_2)
	v_sub_nc_u32_e32 v98, 0x71, v100
	v_cmp_gt_u32_e32 vcc_lo, 0x72, v100
	v_cndmask_b32_e32 v98, 0, v98, vcc_lo
	v_cmp_eq_u32_e32 vcc_lo, 0, v100
	v_cndmask_b32_e32 v96, v116, v96, vcc_lo
	s_delay_alu instid0(VALU_DEP_3) | instskip(NEXT) | instid1(VALU_DEP_1)
	v_cndmask_b32_e64 v114, v98, 0x70, vcc_lo
	v_dual_add_nc_u32 v98, 21, v114 :: v_dual_add_nc_u32 v117, 20, v114
	s_delay_alu instid0(VALU_DEP_1) | instskip(NEXT) | instid1(VALU_DEP_2)
	v_lshlrev_b64_e64 v[98:99], v98, -1
	v_lshlrev_b64_e64 v[116:117], v117, 1
	s_delay_alu instid0(VALU_DEP_2) | instskip(SKIP_1) | instid1(VALU_DEP_4)
	v_bfi_b32 v98, v98, 0, v96
	v_lshrrev_b64 v[96:97], v114, v[96:97]
	v_bfi_b32 v99, v99, 0, 0
	s_delay_alu instid0(VALU_DEP_1) | instskip(NEXT) | instid1(VALU_DEP_3)
	v_cmp_eq_u64_e64 s10, v[98:99], v[116:117]
	v_mov_b64_e32 v[98:99], v[96:97]
	s_and_saveexec_b32 s43, s10
; %bb.1340:                             ;   in Loop: Header=BB2_1198 Depth=2
	v_bfe_u32 v98, v96, 21, 1
	v_mov_b32_e32 v99, v35
	s_delay_alu instid0(VALU_DEP_1) | instskip(NEXT) | instid1(VALU_DEP_1)
	v_add_nc_u64_e32 v[98:99], v[96:97], v[98:99]
	v_add_nc_u64_e32 v[98:99], -1, v[98:99]
; %bb.1341:                             ;   in Loop: Header=BB2_1198 Depth=2
	s_or_b32 exec_lo, exec_lo, s43
	v_add_nc_u32_e32 v97, 0xffffff81, v100
	v_lshrrev_b32_e32 v99, 23, v96
	s_mov_b32 s10, exec_lo
	s_delay_alu instid0(VALU_DEP_2) | instskip(NEXT) | instid1(VALU_DEP_1)
	v_cndmask_b32_e64 v97, v97, 0xffffff82, vcc_lo
	v_add3_u32 v99, v114, v97, v99
	v_and_b32_e32 v97, 0x1fffff, v98
                                        ; implicit-def: $vgpr98
	s_delay_alu instid0(VALU_DEP_1) | instskip(SKIP_1) | instid1(VALU_DEP_2)
	v_dual_add_nc_u32 v100, 14, v99 :: v_dual_add_nc_u32 v96, v97, v96
	v_mov_b32_e32 v97, v35
	v_cmpx_ne_u32_e32 0, v100
	s_xor_b32 s10, exec_lo, s10
; %bb.1342:                             ;   in Loop: Header=BB2_1198 Depth=2
	s_delay_alu instid0(VALU_DEP_2) | instskip(SKIP_2) | instid1(VALU_DEP_2)
	v_cmp_lt_u64_e32 vcc_lo, 0xffffff, v[96:97]
	v_add_nc_u32_e32 v98, 15, v99
	v_cndmask_b32_e64 v99, 0, 1, vcc_lo
	v_cndmask_b32_e32 v98, v100, v98, vcc_lo
	s_delay_alu instid0(VALU_DEP_2)
	v_lshrrev_b64 v[96:97], v99, v[96:97]
; %bb.1343:                             ;   in Loop: Header=BB2_1198 Depth=2
	s_and_not1_saveexec_b32 s10, s10
; %bb.1344:                             ;   in Loop: Header=BB2_1198 Depth=2
	s_delay_alu instid0(VALU_DEP_1)
	v_bfe_u32 v98, v96, 23, 1
; %bb.1345:                             ;   in Loop: Header=BB2_1198 Depth=2
	s_or_b32 exec_lo, exec_lo, s10
	s_delay_alu instid0(VALU_DEP_2) | instskip(NEXT) | instid1(VALU_DEP_2)
	v_lshrrev_b64 v[96:97], 21, v[96:97]
	v_cmp_gt_i32_e32 vcc_lo, 32, v98
	v_min_i32_e32 v99, 31, v98
	v_cmp_eq_u32_e64 s10, 0, v98
	s_delay_alu instid0(VALU_DEP_2) | instskip(SKIP_1) | instid1(VALU_DEP_2)
	v_dual_cndmask_b32 v97, 0, v97, vcc_lo :: v_dual_lshlrev_b32 v99, 2, v99
	v_cndmask_b32_e32 v96, 3, v96, vcc_lo
	v_and_b32_e32 v99, 0xfc, v99
	s_delay_alu instid0(VALU_DEP_2) | instskip(NEXT) | instid1(VALU_DEP_2)
	v_cmp_eq_u64_e32 vcc_lo, 0, v[96:97]
	v_and_or_b32 v96, v96, 3, v99
	s_and_b32 s10, s10, vcc_lo
	s_delay_alu instid0(VALU_DEP_1) | instid1(SALU_CYCLE_1)
	v_cndmask_b32_e64 v96, v96, 0, s10
	s_delay_alu instid0(VALU_DEP_1)
	v_or_b32_e32 v100, v96, v30
.LBB2_1346:                             ;   in Loop: Header=BB2_1198 Depth=2
	s_or_b32 exec_lo, exec_lo, s42
                                        ; implicit-def: $vgpr30
.LBB2_1347:                             ;   in Loop: Header=BB2_1198 Depth=2
	s_and_not1_saveexec_b32 s10, s41
; %bb.1348:                             ;   in Loop: Header=BB2_1198 Depth=2
	v_or_b32_e32 v100, 0x7b, v30
; %bb.1349:                             ;   in Loop: Header=BB2_1198 Depth=2
	s_or_b32 exec_lo, exec_lo, s10
                                        ; implicit-def: $vgpr98
                                        ; implicit-def: $vgpr96_vgpr97
                                        ; implicit-def: $vgpr30
.LBB2_1350:                             ;   in Loop: Header=BB2_1198 Depth=2
	s_and_not1_saveexec_b32 s10, s40
	s_cbranch_execz .LBB2_1356
; %bb.1351:                             ;   in Loop: Header=BB2_1198 Depth=2
	s_mov_b32 s40, exec_lo
                                        ; implicit-def: $vgpr100
	v_cmpx_ne_u64_e32 0, v[96:97]
	s_xor_b32 s40, exec_lo, s40
; %bb.1352:                             ;   in Loop: Header=BB2_1198 Depth=2
	v_or_b32_e32 v100, 0x7f, v30
                                        ; implicit-def: $vgpr98
; %bb.1353:                             ;   in Loop: Header=BB2_1198 Depth=2
	s_and_not1_saveexec_b32 s40, s40
; %bb.1354:                             ;   in Loop: Header=BB2_1198 Depth=2
	v_cmp_lt_i32_e32 vcc_lo, -1, v98
	v_cndmask_b32_e32 v100, 0xfc, v63, vcc_lo
; %bb.1355:                             ;   in Loop: Header=BB2_1198 Depth=2
	s_or_b32 exec_lo, exec_lo, s40
.LBB2_1356:                             ;   in Loop: Header=BB2_1198 Depth=2
	s_delay_alu instid0(SALU_CYCLE_1) | instskip(SKIP_3) | instid1(VALU_DEP_2)
	s_or_b32 exec_lo, exec_lo, s10
	v_lshrrev_b16 v96, 8, v34
	v_mov_b32_e32 v97, 0
	s_mov_b32 s10, exec_lo
	v_cmpx_ne_u16_e32 0, v96
	s_cbranch_execz .LBB2_1366
; %bb.1357:                             ;   in Loop: Header=BB2_1198 Depth=2
	v_bfrev_b32_e32 v97, 1
	s_mov_b32 s40, exec_lo
	v_cmpx_ne_u16_e32 0x80, v96
	s_cbranch_execz .LBB2_1365
; %bb.1358:                             ;   in Loop: Header=BB2_1198 Depth=2
	v_and_b32_e32 v98, 0xffff, v96
	s_delay_alu instid0(VALU_DEP_1) | instskip(SKIP_1) | instid1(VALU_DEP_2)
	v_and_b32_e32 v97, 0x7c, v98
	v_and_b32_e32 v30, 3, v98
	v_cmp_ne_u32_e32 vcc_lo, 0x7c, v97
                                        ; implicit-def: $vgpr97
	s_and_saveexec_b32 s41, vcc_lo
	s_delay_alu instid0(SALU_CYCLE_1)
	s_xor_b32 s41, exec_lo, s41
	s_cbranch_execz .LBB2_1362
; %bb.1359:                             ;   in Loop: Header=BB2_1198 Depth=2
	v_bfe_u32 v97, v98, 2, 5
	s_mov_b32 s42, exec_lo
	s_delay_alu instid0(VALU_DEP_1)
	v_cmpx_eq_u32_e32 0, v97
; %bb.1360:                             ;   in Loop: Header=BB2_1198 Depth=2
	v_clz_i32_u32_e32 v30, v30
	v_mov_b32_e32 v97, v35
	s_delay_alu instid0(VALU_DEP_2) | instskip(NEXT) | instid1(VALU_DEP_1)
	v_min_u32_e32 v30, 32, v30
	v_subrev_nc_u32_e32 v98, 29, v30
	s_delay_alu instid0(VALU_DEP_1) | instskip(NEXT) | instid1(VALU_DEP_1)
	v_lshlrev_b64_e32 v[96:97], v98, v[96:97]
	v_dual_sub_nc_u32 v97, 30, v30 :: v_dual_bitop2_b32 v30, 3, v96 bitop3:0x40
; %bb.1361:                             ;   in Loop: Header=BB2_1198 Depth=2
	s_or_b32 exec_lo, exec_lo, s42
	v_lshlrev_b32_e32 v34, 16, v34
	s_delay_alu instid0(VALU_DEP_1) | instskip(NEXT) | instid1(VALU_DEP_1)
	v_and_b32_e32 v34, 0x80000000, v34
	v_lshl_add_u32 v34, v97, 23, v34
	s_delay_alu instid0(VALU_DEP_1) | instskip(NEXT) | instid1(VALU_DEP_1)
	v_lshl_or_b32 v30, v30, 21, v34
	v_add_nc_u32_e32 v97, 0x38000000, v30
                                        ; implicit-def: $vgpr30
.LBB2_1362:                             ;   in Loop: Header=BB2_1198 Depth=2
	s_and_not1_saveexec_b32 s41, s41
; %bb.1363:                             ;   in Loop: Header=BB2_1198 Depth=2
	v_cmp_lt_i16_e32 vcc_lo, -1, v34
	v_cndmask_b32_e32 v34, 0xff800000, v62, vcc_lo
	v_cmp_eq_u32_e32 vcc_lo, 0, v30
	s_delay_alu instid0(VALU_DEP_2)
	v_cndmask_b32_e32 v97, 0x7f800001, v34, vcc_lo
; %bb.1364:                             ;   in Loop: Header=BB2_1198 Depth=2
	s_or_b32 exec_lo, exec_lo, s41
.LBB2_1365:                             ;   in Loop: Header=BB2_1198 Depth=2
	s_delay_alu instid0(SALU_CYCLE_1)
	s_or_b32 exec_lo, exec_lo, s40
.LBB2_1366:                             ;   in Loop: Header=BB2_1198 Depth=2
	s_delay_alu instid0(SALU_CYCLE_1) | instskip(NEXT) | instid1(VALU_DEP_1)
	s_or_b32 exec_lo, exec_lo, s10
	v_dual_mul_f32 v96, s29, v97 :: v_dual_mov_b32 v99, v35
                                        ; implicit-def: $vgpr44
	s_mov_b32 s10, exec_lo
	s_delay_alu instid0(VALU_DEP_1) | instskip(SKIP_2) | instid1(VALU_DEP_3)
	v_and_b32_e32 v98, 0x7f800000, v96
	v_and_b32_e32 v34, 0x7fffff, v96
	v_lshrrev_b32_e32 v30, 24, v96
	v_cmpx_ne_u64_e32 0x7f800000, v[98:99]
	s_xor_b32 s40, exec_lo, s10
	s_cbranch_execz .LBB2_1380
; %bb.1367:                             ;   in Loop: Header=BB2_1198 Depth=2
	v_and_b32_e32 v98, 0x7fffffff, v96
	v_mov_b32_e32 v99, v35
	v_and_b32_e32 v30, 0x80, v30
                                        ; implicit-def: $vgpr44
	s_mov_b32 s10, exec_lo
	s_delay_alu instid0(VALU_DEP_2)
	v_cmpx_gt_u64_e32 0x47600001, v[98:99]
	s_xor_b32 s41, exec_lo, s10
	s_cbranch_execz .LBB2_1377
; %bb.1368:                             ;   in Loop: Header=BB2_1198 Depth=2
	v_mov_b32_e32 v44, 0
	s_mov_b32 s42, exec_lo
	v_cmpx_ne_u32_e32 0, v96
	s_cbranch_execz .LBB2_1376
; %bb.1369:                             ;   in Loop: Header=BB2_1198 Depth=2
	v_bfe_u32 v114, v96, 23, 8
	v_or_b32_e32 v98, 0x800000, v34
	s_delay_alu instid0(VALU_DEP_2) | instskip(SKIP_1) | instid1(VALU_DEP_2)
	v_sub_nc_u32_e32 v96, 0x71, v114
	v_cmp_gt_u32_e32 vcc_lo, 0x72, v114
	v_cndmask_b32_e32 v96, 0, v96, vcc_lo
	v_cmp_eq_u32_e32 vcc_lo, 0, v114
	v_cndmask_b32_e32 v34, v98, v34, vcc_lo
	s_delay_alu instid0(VALU_DEP_3) | instskip(NEXT) | instid1(VALU_DEP_1)
	v_cndmask_b32_e64 v116, v96, 0x70, vcc_lo
	v_dual_add_nc_u32 v96, 21, v116 :: v_dual_add_nc_u32 v99, 20, v116
	s_delay_alu instid0(VALU_DEP_1) | instskip(NEXT) | instid1(VALU_DEP_2)
	v_lshlrev_b64_e64 v[96:97], v96, -1
	v_lshlrev_b64_e64 v[98:99], v99, 1
	s_delay_alu instid0(VALU_DEP_2) | instskip(NEXT) | instid1(VALU_DEP_3)
	v_bfi_b32 v41, v97, 0, 0
	v_bfi_b32 v40, v96, 0, v34
	v_lshrrev_b64 v[96:97], v116, v[34:35]
	s_delay_alu instid0(VALU_DEP_2) | instskip(NEXT) | instid1(VALU_DEP_2)
	v_cmp_eq_u64_e64 s10, v[40:41], v[98:99]
	v_mov_b64_e32 v[98:99], v[96:97]
	s_and_saveexec_b32 s43, s10
; %bb.1370:                             ;   in Loop: Header=BB2_1198 Depth=2
	v_bfe_u32 v34, v96, 21, 1
	s_delay_alu instid0(VALU_DEP_1) | instskip(NEXT) | instid1(VALU_DEP_1)
	v_add_nc_u64_e32 v[98:99], v[96:97], v[34:35]
	v_add_nc_u64_e32 v[98:99], -1, v[98:99]
; %bb.1371:                             ;   in Loop: Header=BB2_1198 Depth=2
	s_or_b32 exec_lo, exec_lo, s43
	v_add_nc_u32_e32 v34, 0xffffff81, v114
	v_lshrrev_b32_e32 v97, 23, v96
	s_mov_b32 s10, exec_lo
	s_delay_alu instid0(VALU_DEP_2) | instskip(NEXT) | instid1(VALU_DEP_1)
	v_cndmask_b32_e64 v34, v34, 0xffffff82, vcc_lo
	v_add3_u32 v99, v116, v34, v97
	v_and_b32_e32 v34, 0x1fffff, v98
                                        ; implicit-def: $vgpr98
	s_delay_alu instid0(VALU_DEP_1) | instskip(NEXT) | instid1(VALU_DEP_1)
	v_dual_add_nc_u32 v114, 14, v99 :: v_dual_add_nc_u32 v34, v34, v96
                                        ; implicit-def: $vgpr96_vgpr97
	v_cmpx_ne_u32_e32 0, v114
	s_xor_b32 s10, exec_lo, s10
; %bb.1372:                             ;   in Loop: Header=BB2_1198 Depth=2
	s_delay_alu instid0(VALU_DEP_2) | instskip(SKIP_1) | instid1(VALU_DEP_1)
	v_cmp_lt_u64_e32 vcc_lo, 0xffffff, v[34:35]
	v_add_nc_u32_e32 v96, 15, v99
	v_cndmask_b32_e32 v98, v114, v96, vcc_lo
	v_cndmask_b32_e64 v96, 0, 1, vcc_lo
	s_delay_alu instid0(VALU_DEP_1)
	v_lshrrev_b64 v[96:97], v96, v[34:35]
; %bb.1373:                             ;   in Loop: Header=BB2_1198 Depth=2
	s_and_not1_saveexec_b32 s10, s10
; %bb.1374:                             ;   in Loop: Header=BB2_1198 Depth=2
	v_mov_b64_e32 v[96:97], v[34:35]
	v_bfe_u32 v98, v34, 23, 1
; %bb.1375:                             ;   in Loop: Header=BB2_1198 Depth=2
	s_or_b32 exec_lo, exec_lo, s10
	s_delay_alu instid0(VALU_DEP_2) | instskip(NEXT) | instid1(VALU_DEP_2)
	v_lshrrev_b64 v[96:97], 21, v[96:97]
	v_cmp_gt_i32_e32 vcc_lo, 32, v98
	v_min_i32_e32 v34, 31, v98
	v_cmp_eq_u32_e64 s10, 0, v98
	s_delay_alu instid0(VALU_DEP_2) | instskip(SKIP_1) | instid1(VALU_DEP_2)
	v_dual_cndmask_b32 v97, 0, v97 :: v_dual_lshlrev_b32 v34, 2, v34
	v_cndmask_b32_e32 v96, 3, v96, vcc_lo
	v_and_b32_e32 v34, 0xfc, v34
	s_delay_alu instid0(VALU_DEP_2) | instskip(NEXT) | instid1(VALU_DEP_2)
	v_cmp_eq_u64_e32 vcc_lo, 0, v[96:97]
	v_and_or_b32 v34, v96, 3, v34
	s_and_b32 s10, s10, vcc_lo
	s_delay_alu instid0(VALU_DEP_1) | instid1(SALU_CYCLE_1)
	v_cndmask_b32_e64 v34, v34, 0, s10
	s_delay_alu instid0(VALU_DEP_1)
	v_or_b32_e32 v44, v34, v30
.LBB2_1376:                             ;   in Loop: Header=BB2_1198 Depth=2
	s_or_b32 exec_lo, exec_lo, s42
                                        ; implicit-def: $vgpr30
.LBB2_1377:                             ;   in Loop: Header=BB2_1198 Depth=2
	s_and_not1_saveexec_b32 s10, s41
; %bb.1378:                             ;   in Loop: Header=BB2_1198 Depth=2
	v_or_b32_e32 v44, 0x7b, v30
; %bb.1379:                             ;   in Loop: Header=BB2_1198 Depth=2
	s_or_b32 exec_lo, exec_lo, s10
                                        ; implicit-def: $vgpr96
                                        ; implicit-def: $vgpr30
.LBB2_1380:                             ;   in Loop: Header=BB2_1198 Depth=2
	s_and_not1_saveexec_b32 s10, s40
	s_cbranch_execz .LBB2_1386
; %bb.1381:                             ;   in Loop: Header=BB2_1198 Depth=2
	s_mov_b32 s40, exec_lo
                                        ; implicit-def: $vgpr44
	v_cmpx_ne_u64_e32 0, v[34:35]
	s_xor_b32 s40, exec_lo, s40
; %bb.1382:                             ;   in Loop: Header=BB2_1198 Depth=2
	v_or_b32_e32 v44, 0x7f, v30
                                        ; implicit-def: $vgpr96
; %bb.1383:                             ;   in Loop: Header=BB2_1198 Depth=2
	s_and_not1_saveexec_b32 s40, s40
; %bb.1384:                             ;   in Loop: Header=BB2_1198 Depth=2
	v_cmp_lt_i32_e32 vcc_lo, -1, v96
	v_cndmask_b32_e32 v44, 0xfc, v63, vcc_lo
; %bb.1385:                             ;   in Loop: Header=BB2_1198 Depth=2
	s_or_b32 exec_lo, exec_lo, s40
.LBB2_1386:                             ;   in Loop: Header=BB2_1198 Depth=2
	s_delay_alu instid0(SALU_CYCLE_1) | instskip(SKIP_2) | instid1(VALU_DEP_1)
	s_or_b32 exec_lo, exec_lo, s10
	v_dual_lshrrev_b32 v30, 16, v11 :: v_dual_mov_b32 v34, 0
	s_mov_b32 s10, exec_lo
	v_and_b32_e32 v96, 0xff, v30
	s_delay_alu instid0(VALU_DEP_1)
	v_cmpx_ne_u16_e32 0, v96
	s_cbranch_execz .LBB2_1396
; %bb.1387:                             ;   in Loop: Header=BB2_1198 Depth=2
	v_bfrev_b32_e32 v34, 1
	s_mov_b32 s40, exec_lo
	v_cmpx_ne_u16_e32 0x80, v96
	s_cbranch_execz .LBB2_1395
; %bb.1388:                             ;   in Loop: Header=BB2_1198 Depth=2
	v_and_b32_e32 v34, 0x7c0000, v11
	v_bfe_u32 v96, v11, 16, 2
	s_delay_alu instid0(VALU_DEP_2) | instskip(SKIP_1) | instid1(SALU_CYCLE_1)
	v_cmp_ne_u32_e32 vcc_lo, 0x7c0000, v34
                                        ; implicit-def: $vgpr34
	s_and_saveexec_b32 s41, vcc_lo
	s_xor_b32 s41, exec_lo, s41
	s_cbranch_execz .LBB2_1392
; %bb.1389:                             ;   in Loop: Header=BB2_1198 Depth=2
	v_bfe_u32 v34, v11, 18, 5
	s_mov_b32 s42, exec_lo
	s_delay_alu instid0(VALU_DEP_1)
	v_cmpx_eq_u32_e32 0, v34
; %bb.1390:                             ;   in Loop: Header=BB2_1198 Depth=2
	v_clz_i32_u32_e32 v34, v96
	s_delay_alu instid0(VALU_DEP_1) | instskip(NEXT) | instid1(VALU_DEP_1)
	v_min_u32_e32 v34, 32, v34
	v_subrev_nc_u32_e32 v96, 29, v34
	s_delay_alu instid0(VALU_DEP_1) | instskip(NEXT) | instid1(VALU_DEP_1)
	v_lshlrev_b64_e32 v[96:97], v96, v[30:31]
	v_dual_sub_nc_u32 v34, 30, v34 :: v_dual_bitop2_b32 v96, 3, v96 bitop3:0x40
; %bb.1391:                             ;   in Loop: Header=BB2_1198 Depth=2
	s_or_b32 exec_lo, exec_lo, s42
	v_lshlrev_b32_e32 v30, 24, v30
	s_delay_alu instid0(VALU_DEP_1) | instskip(NEXT) | instid1(VALU_DEP_1)
	v_and_b32_e32 v30, 0x80000000, v30
	v_lshl_add_u32 v30, v34, 23, v30
	s_delay_alu instid0(VALU_DEP_1) | instskip(NEXT) | instid1(VALU_DEP_1)
	v_lshl_or_b32 v30, v96, 21, v30
                                        ; implicit-def: $vgpr96
	v_add_nc_u32_e32 v34, 0x38000000, v30
                                        ; implicit-def: $vgpr30
.LBB2_1392:                             ;   in Loop: Header=BB2_1198 Depth=2
	s_and_not1_saveexec_b32 s41, s41
; %bb.1393:                             ;   in Loop: Header=BB2_1198 Depth=2
	v_bfe_i32 v30, v30, 0, 8
	s_delay_alu instid0(VALU_DEP_1) | instskip(SKIP_2) | instid1(VALU_DEP_2)
	v_cmp_lt_i16_e32 vcc_lo, -1, v30
	v_cndmask_b32_e32 v30, 0xff800000, v62, vcc_lo
	v_cmp_eq_u32_e32 vcc_lo, 0, v96
	v_cndmask_b32_e32 v34, 0x7f800001, v30, vcc_lo
; %bb.1394:                             ;   in Loop: Header=BB2_1198 Depth=2
	s_or_b32 exec_lo, exec_lo, s41
.LBB2_1395:                             ;   in Loop: Header=BB2_1198 Depth=2
	s_delay_alu instid0(SALU_CYCLE_1)
	s_or_b32 exec_lo, exec_lo, s40
.LBB2_1396:                             ;   in Loop: Header=BB2_1198 Depth=2
	s_delay_alu instid0(SALU_CYCLE_1) | instskip(NEXT) | instid1(VALU_DEP_1)
	s_or_b32 exec_lo, exec_lo, s10
	v_dual_mul_f32 v96, s29, v34 :: v_dual_mov_b32 v99, v35
                                        ; implicit-def: $vgpr46
	s_mov_b32 s10, exec_lo
	s_delay_alu instid0(VALU_DEP_1) | instskip(SKIP_2) | instid1(VALU_DEP_3)
	v_and_b32_e32 v98, 0x7f800000, v96
	v_and_b32_e32 v34, 0x7fffff, v96
	v_lshrrev_b32_e32 v30, 24, v96
	v_cmpx_ne_u64_e32 0x7f800000, v[98:99]
	s_xor_b32 s40, exec_lo, s10
	s_cbranch_execz .LBB2_1410
; %bb.1397:                             ;   in Loop: Header=BB2_1198 Depth=2
	v_and_b32_e32 v98, 0x7fffffff, v96
	v_mov_b32_e32 v99, v35
	v_and_b32_e32 v30, 0x80, v30
                                        ; implicit-def: $vgpr46
	s_mov_b32 s10, exec_lo
	s_delay_alu instid0(VALU_DEP_2)
	v_cmpx_gt_u64_e32 0x47600001, v[98:99]
	s_xor_b32 s41, exec_lo, s10
	s_cbranch_execz .LBB2_1407
; %bb.1398:                             ;   in Loop: Header=BB2_1198 Depth=2
	v_mov_b32_e32 v46, 0
	s_mov_b32 s42, exec_lo
	v_cmpx_ne_u32_e32 0, v96
	s_cbranch_execz .LBB2_1406
; %bb.1399:                             ;   in Loop: Header=BB2_1198 Depth=2
	v_bfe_u32 v114, v96, 23, 8
	v_or_b32_e32 v98, 0x800000, v34
	s_delay_alu instid0(VALU_DEP_2) | instskip(SKIP_1) | instid1(VALU_DEP_2)
	v_sub_nc_u32_e32 v96, 0x71, v114
	v_cmp_gt_u32_e32 vcc_lo, 0x72, v114
	v_cndmask_b32_e32 v96, 0, v96, vcc_lo
	v_cmp_eq_u32_e32 vcc_lo, 0, v114
	v_cndmask_b32_e32 v34, v98, v34, vcc_lo
	s_delay_alu instid0(VALU_DEP_3) | instskip(NEXT) | instid1(VALU_DEP_1)
	v_cndmask_b32_e64 v116, v96, 0x70, vcc_lo
	v_dual_add_nc_u32 v96, 21, v116 :: v_dual_add_nc_u32 v99, 20, v116
	s_delay_alu instid0(VALU_DEP_1) | instskip(NEXT) | instid1(VALU_DEP_2)
	v_lshlrev_b64_e64 v[96:97], v96, -1
	v_lshlrev_b64_e64 v[98:99], v99, 1
	s_delay_alu instid0(VALU_DEP_2) | instskip(NEXT) | instid1(VALU_DEP_3)
	v_bfi_b32 v41, v97, 0, 0
	v_bfi_b32 v40, v96, 0, v34
	v_lshrrev_b64 v[96:97], v116, v[34:35]
	s_delay_alu instid0(VALU_DEP_2) | instskip(NEXT) | instid1(VALU_DEP_2)
	v_cmp_eq_u64_e64 s10, v[40:41], v[98:99]
	v_mov_b64_e32 v[98:99], v[96:97]
	s_and_saveexec_b32 s43, s10
; %bb.1400:                             ;   in Loop: Header=BB2_1198 Depth=2
	v_bfe_u32 v34, v96, 21, 1
	s_delay_alu instid0(VALU_DEP_1) | instskip(NEXT) | instid1(VALU_DEP_1)
	v_add_nc_u64_e32 v[98:99], v[96:97], v[34:35]
	v_add_nc_u64_e32 v[98:99], -1, v[98:99]
; %bb.1401:                             ;   in Loop: Header=BB2_1198 Depth=2
	s_or_b32 exec_lo, exec_lo, s43
	v_add_nc_u32_e32 v34, 0xffffff81, v114
	v_lshrrev_b32_e32 v97, 23, v96
	s_mov_b32 s10, exec_lo
	s_delay_alu instid0(VALU_DEP_2) | instskip(NEXT) | instid1(VALU_DEP_1)
	v_cndmask_b32_e64 v34, v34, 0xffffff82, vcc_lo
	v_add3_u32 v99, v116, v34, v97
	v_and_b32_e32 v34, 0x1fffff, v98
                                        ; implicit-def: $vgpr98
	s_delay_alu instid0(VALU_DEP_1) | instskip(NEXT) | instid1(VALU_DEP_1)
	v_dual_add_nc_u32 v114, 14, v99 :: v_dual_add_nc_u32 v34, v34, v96
                                        ; implicit-def: $vgpr96_vgpr97
	v_cmpx_ne_u32_e32 0, v114
	s_xor_b32 s10, exec_lo, s10
; %bb.1402:                             ;   in Loop: Header=BB2_1198 Depth=2
	s_delay_alu instid0(VALU_DEP_2) | instskip(SKIP_1) | instid1(VALU_DEP_1)
	v_cmp_lt_u64_e32 vcc_lo, 0xffffff, v[34:35]
	v_add_nc_u32_e32 v96, 15, v99
	v_cndmask_b32_e32 v98, v114, v96, vcc_lo
	v_cndmask_b32_e64 v96, 0, 1, vcc_lo
	s_delay_alu instid0(VALU_DEP_1)
	v_lshrrev_b64 v[96:97], v96, v[34:35]
; %bb.1403:                             ;   in Loop: Header=BB2_1198 Depth=2
	s_and_not1_saveexec_b32 s10, s10
; %bb.1404:                             ;   in Loop: Header=BB2_1198 Depth=2
	v_mov_b64_e32 v[96:97], v[34:35]
	v_bfe_u32 v98, v34, 23, 1
; %bb.1405:                             ;   in Loop: Header=BB2_1198 Depth=2
	s_or_b32 exec_lo, exec_lo, s10
	s_delay_alu instid0(VALU_DEP_2) | instskip(NEXT) | instid1(VALU_DEP_2)
	v_lshrrev_b64 v[96:97], 21, v[96:97]
	v_cmp_gt_i32_e32 vcc_lo, 32, v98
	v_min_i32_e32 v34, 31, v98
	v_cmp_eq_u32_e64 s10, 0, v98
	s_delay_alu instid0(VALU_DEP_2) | instskip(SKIP_1) | instid1(VALU_DEP_2)
	v_dual_cndmask_b32 v97, 0, v97 :: v_dual_lshlrev_b32 v34, 2, v34
	v_cndmask_b32_e32 v96, 3, v96, vcc_lo
	v_and_b32_e32 v34, 0xfc, v34
	s_delay_alu instid0(VALU_DEP_2) | instskip(NEXT) | instid1(VALU_DEP_2)
	v_cmp_eq_u64_e32 vcc_lo, 0, v[96:97]
	v_and_or_b32 v34, v96, 3, v34
	s_and_b32 s10, s10, vcc_lo
	s_delay_alu instid0(VALU_DEP_1) | instid1(SALU_CYCLE_1)
	v_cndmask_b32_e64 v34, v34, 0, s10
	s_delay_alu instid0(VALU_DEP_1)
	v_or_b32_e32 v46, v34, v30
.LBB2_1406:                             ;   in Loop: Header=BB2_1198 Depth=2
	s_or_b32 exec_lo, exec_lo, s42
                                        ; implicit-def: $vgpr30
.LBB2_1407:                             ;   in Loop: Header=BB2_1198 Depth=2
	s_and_not1_saveexec_b32 s10, s41
; %bb.1408:                             ;   in Loop: Header=BB2_1198 Depth=2
	v_or_b32_e32 v46, 0x7b, v30
; %bb.1409:                             ;   in Loop: Header=BB2_1198 Depth=2
	s_or_b32 exec_lo, exec_lo, s10
                                        ; implicit-def: $vgpr96
                                        ; implicit-def: $vgpr30
.LBB2_1410:                             ;   in Loop: Header=BB2_1198 Depth=2
	s_and_not1_saveexec_b32 s10, s40
	s_cbranch_execz .LBB2_1416
; %bb.1411:                             ;   in Loop: Header=BB2_1198 Depth=2
	s_mov_b32 s40, exec_lo
                                        ; implicit-def: $vgpr46
	v_cmpx_ne_u64_e32 0, v[34:35]
	s_xor_b32 s40, exec_lo, s40
; %bb.1412:                             ;   in Loop: Header=BB2_1198 Depth=2
	v_or_b32_e32 v46, 0x7f, v30
                                        ; implicit-def: $vgpr96
; %bb.1413:                             ;   in Loop: Header=BB2_1198 Depth=2
	s_and_not1_saveexec_b32 s40, s40
; %bb.1414:                             ;   in Loop: Header=BB2_1198 Depth=2
	v_cmp_lt_i32_e32 vcc_lo, -1, v96
	v_cndmask_b32_e32 v46, 0xfc, v63, vcc_lo
; %bb.1415:                             ;   in Loop: Header=BB2_1198 Depth=2
	s_or_b32 exec_lo, exec_lo, s40
.LBB2_1416:                             ;   in Loop: Header=BB2_1198 Depth=2
	s_delay_alu instid0(SALU_CYCLE_1)
	s_or_b32 exec_lo, exec_lo, s10
	v_mov_b32_e32 v34, 0
	s_mov_b32 s10, exec_lo
	v_cmpx_lt_u64_e64 s[12:13], v[10:11]
	s_cbranch_execz .LBB2_1426
; %bb.1417:                             ;   in Loop: Header=BB2_1198 Depth=2
	v_lshrrev_b32_e32 v30, 24, v11
	v_bfrev_b32_e32 v34, 1
	s_mov_b32 s40, exec_lo
	s_delay_alu instid0(VALU_DEP_2)
	v_cmpx_ne_u32_e32 0x80, v30
	s_cbranch_execz .LBB2_1425
; %bb.1418:                             ;   in Loop: Header=BB2_1198 Depth=2
	v_and_b32_e32 v34, 0x7c000000, v11
	v_bfe_u32 v96, v11, 24, 2
	s_delay_alu instid0(VALU_DEP_2) | instskip(SKIP_1) | instid1(SALU_CYCLE_1)
	v_cmp_ne_u32_e32 vcc_lo, 0x7c000000, v34
                                        ; implicit-def: $vgpr34
	s_and_saveexec_b32 s41, vcc_lo
	s_xor_b32 s41, exec_lo, s41
	s_cbranch_execz .LBB2_1422
; %bb.1419:                             ;   in Loop: Header=BB2_1198 Depth=2
	v_bfe_u32 v34, v11, 26, 5
	s_mov_b32 s42, exec_lo
	s_delay_alu instid0(VALU_DEP_1)
	v_cmpx_eq_u32_e32 0, v34
; %bb.1420:                             ;   in Loop: Header=BB2_1198 Depth=2
	v_clz_i32_u32_e32 v34, v96
	s_delay_alu instid0(VALU_DEP_1) | instskip(NEXT) | instid1(VALU_DEP_1)
	v_min_u32_e32 v34, 32, v34
	v_subrev_nc_u32_e32 v96, 29, v34
	s_delay_alu instid0(VALU_DEP_1) | instskip(NEXT) | instid1(VALU_DEP_1)
	v_lshlrev_b64_e32 v[96:97], v96, v[30:31]
	v_dual_sub_nc_u32 v34, 30, v34 :: v_dual_bitop2_b32 v96, 3, v96 bitop3:0x40
; %bb.1421:                             ;   in Loop: Header=BB2_1198 Depth=2
	s_or_b32 exec_lo, exec_lo, s42
	v_and_b32_e32 v30, 0x80000000, v11
	s_delay_alu instid0(VALU_DEP_1) | instskip(NEXT) | instid1(VALU_DEP_1)
	v_lshl_add_u32 v30, v34, 23, v30
	v_lshl_or_b32 v30, v96, 21, v30
                                        ; implicit-def: $vgpr96
	s_delay_alu instid0(VALU_DEP_1)
	v_add_nc_u32_e32 v34, 0x38000000, v30
.LBB2_1422:                             ;   in Loop: Header=BB2_1198 Depth=2
	s_and_not1_saveexec_b32 s41, s41
; %bb.1423:                             ;   in Loop: Header=BB2_1198 Depth=2
	v_cmp_lt_i64_e32 vcc_lo, -1, v[10:11]
	v_cndmask_b32_e32 v10, 0xff800000, v62, vcc_lo
	v_cmp_eq_u32_e32 vcc_lo, 0, v96
	s_delay_alu instid0(VALU_DEP_2)
	v_cndmask_b32_e32 v34, 0x7f800001, v10, vcc_lo
; %bb.1424:                             ;   in Loop: Header=BB2_1198 Depth=2
	s_or_b32 exec_lo, exec_lo, s41
.LBB2_1425:                             ;   in Loop: Header=BB2_1198 Depth=2
	s_delay_alu instid0(SALU_CYCLE_1)
	s_or_b32 exec_lo, exec_lo, s40
.LBB2_1426:                             ;   in Loop: Header=BB2_1198 Depth=2
	s_delay_alu instid0(SALU_CYCLE_1) | instskip(NEXT) | instid1(VALU_DEP_1)
	s_or_b32 exec_lo, exec_lo, s10
	v_dual_mul_f32 v10, s29, v34 :: v_dual_mov_b32 v97, v35
                                        ; implicit-def: $vgpr47
	s_mov_b32 s10, exec_lo
	s_delay_alu instid0(VALU_DEP_1) | instskip(SKIP_2) | instid1(VALU_DEP_3)
	v_and_b32_e32 v96, 0x7f800000, v10
	v_and_b32_e32 v34, 0x7fffff, v10
	v_lshrrev_b32_e32 v11, 24, v10
	v_cmpx_ne_u64_e32 0x7f800000, v[96:97]
	s_xor_b32 s40, exec_lo, s10
	s_cbranch_execz .LBB2_1440
; %bb.1427:                             ;   in Loop: Header=BB2_1198 Depth=2
	v_and_b32_e32 v96, 0x7fffffff, v10
	v_mov_b32_e32 v97, v35
	v_and_b32_e32 v30, 0x80, v11
                                        ; implicit-def: $vgpr47
	s_mov_b32 s10, exec_lo
	s_delay_alu instid0(VALU_DEP_2)
	v_cmpx_gt_u64_e32 0x47600001, v[96:97]
	s_xor_b32 s41, exec_lo, s10
	s_cbranch_execz .LBB2_1437
; %bb.1428:                             ;   in Loop: Header=BB2_1198 Depth=2
	v_mov_b32_e32 v47, 0
	s_mov_b32 s42, exec_lo
	v_cmpx_ne_u32_e32 0, v10
	s_cbranch_execz .LBB2_1436
; %bb.1429:                             ;   in Loop: Header=BB2_1198 Depth=2
	v_bfe_u32 v98, v10, 23, 8
	v_or_b32_e32 v96, 0x800000, v34
	s_delay_alu instid0(VALU_DEP_2) | instskip(SKIP_1) | instid1(VALU_DEP_2)
	v_sub_nc_u32_e32 v10, 0x71, v98
	v_cmp_gt_u32_e32 vcc_lo, 0x72, v98
	v_cndmask_b32_e32 v10, 0, v10, vcc_lo
	v_cmp_eq_u32_e32 vcc_lo, 0, v98
	s_delay_alu instid0(VALU_DEP_2) | instskip(NEXT) | instid1(VALU_DEP_1)
	v_cndmask_b32_e64 v99, v10, 0x70, vcc_lo
	v_dual_cndmask_b32 v34, v96, v34, vcc_lo :: v_dual_add_nc_u32 v10, 21, v99
	v_add_nc_u32_e32 v97, 20, v99
	s_delay_alu instid0(VALU_DEP_2) | instskip(NEXT) | instid1(VALU_DEP_2)
	v_lshlrev_b64_e64 v[10:11], v10, -1
	v_lshlrev_b64_e64 v[96:97], v97, 1
	s_delay_alu instid0(VALU_DEP_2) | instskip(NEXT) | instid1(VALU_DEP_3)
	v_bfi_b32 v117, v11, 0, 0
	v_bfi_b32 v116, v10, 0, v34
	v_lshrrev_b64 v[10:11], v99, v[34:35]
	s_delay_alu instid0(VALU_DEP_2) | instskip(NEXT) | instid1(VALU_DEP_2)
	v_cmp_eq_u64_e64 s10, v[116:117], v[96:97]
	v_mov_b64_e32 v[96:97], v[10:11]
	s_and_saveexec_b32 s43, s10
; %bb.1430:                             ;   in Loop: Header=BB2_1198 Depth=2
	v_bfe_u32 v34, v10, 21, 1
	s_delay_alu instid0(VALU_DEP_1) | instskip(NEXT) | instid1(VALU_DEP_1)
	v_add_nc_u64_e32 v[96:97], v[10:11], v[34:35]
	v_add_nc_u64_e32 v[96:97], -1, v[96:97]
; %bb.1431:                             ;   in Loop: Header=BB2_1198 Depth=2
	s_or_b32 exec_lo, exec_lo, s43
	v_add_nc_u32_e32 v11, 0xffffff81, v98
	v_lshrrev_b32_e32 v34, 23, v10
	s_mov_b32 s10, exec_lo
	s_delay_alu instid0(VALU_DEP_2) | instskip(NEXT) | instid1(VALU_DEP_1)
	v_cndmask_b32_e64 v11, v11, 0xffffff82, vcc_lo
	v_add3_u32 v97, v99, v11, v34
	v_and_b32_e32 v11, 0x1fffff, v96
                                        ; implicit-def: $vgpr96
	s_delay_alu instid0(VALU_DEP_1) | instskip(NEXT) | instid1(VALU_DEP_1)
	v_dual_add_nc_u32 v98, 14, v97 :: v_dual_add_nc_u32 v34, v11, v10
                                        ; implicit-def: $vgpr10_vgpr11
	v_cmpx_ne_u32_e32 0, v98
	s_xor_b32 s10, exec_lo, s10
; %bb.1432:                             ;   in Loop: Header=BB2_1198 Depth=2
	s_delay_alu instid0(VALU_DEP_2) | instskip(SKIP_1) | instid1(VALU_DEP_1)
	v_cmp_lt_u64_e32 vcc_lo, 0xffffff, v[34:35]
	v_add_nc_u32_e32 v10, 15, v97
	v_cndmask_b32_e32 v96, v98, v10, vcc_lo
	v_cndmask_b32_e64 v10, 0, 1, vcc_lo
	s_delay_alu instid0(VALU_DEP_1)
	v_lshrrev_b64 v[10:11], v10, v[34:35]
; %bb.1433:                             ;   in Loop: Header=BB2_1198 Depth=2
	s_and_not1_saveexec_b32 s10, s10
; %bb.1434:                             ;   in Loop: Header=BB2_1198 Depth=2
	v_mov_b64_e32 v[10:11], v[34:35]
	v_bfe_u32 v96, v34, 23, 1
; %bb.1435:                             ;   in Loop: Header=BB2_1198 Depth=2
	s_or_b32 exec_lo, exec_lo, s10
	s_delay_alu instid0(VALU_DEP_2) | instskip(NEXT) | instid1(VALU_DEP_2)
	v_lshrrev_b64 v[10:11], 21, v[10:11]
	v_cmp_gt_i32_e32 vcc_lo, 32, v96
	v_min_i32_e32 v34, 31, v96
	v_cmp_eq_u32_e64 s10, 0, v96
	s_delay_alu instid0(VALU_DEP_2) | instskip(SKIP_1) | instid1(VALU_DEP_2)
	v_dual_cndmask_b32 v11, 0, v11 :: v_dual_lshlrev_b32 v34, 2, v34
	v_cndmask_b32_e32 v10, 3, v10, vcc_lo
	v_and_b32_e32 v34, 0xfc, v34
	s_delay_alu instid0(VALU_DEP_2) | instskip(NEXT) | instid1(VALU_DEP_2)
	v_cmp_eq_u64_e32 vcc_lo, 0, v[10:11]
	v_and_or_b32 v10, v10, 3, v34
	s_and_b32 s10, s10, vcc_lo
	s_delay_alu instid0(VALU_DEP_1) | instid1(SALU_CYCLE_1)
	v_cndmask_b32_e64 v10, v10, 0, s10
	s_delay_alu instid0(VALU_DEP_1)
	v_or_b32_e32 v47, v10, v30
.LBB2_1436:                             ;   in Loop: Header=BB2_1198 Depth=2
	s_or_b32 exec_lo, exec_lo, s42
                                        ; implicit-def: $vgpr30
.LBB2_1437:                             ;   in Loop: Header=BB2_1198 Depth=2
	s_and_not1_saveexec_b32 s10, s41
; %bb.1438:                             ;   in Loop: Header=BB2_1198 Depth=2
	v_or_b32_e32 v47, 0x7b, v30
; %bb.1439:                             ;   in Loop: Header=BB2_1198 Depth=2
	s_or_b32 exec_lo, exec_lo, s10
                                        ; implicit-def: $vgpr10
                                        ; implicit-def: $vgpr11
.LBB2_1440:                             ;   in Loop: Header=BB2_1198 Depth=2
	s_and_not1_saveexec_b32 s10, s40
	s_cbranch_execz .LBB2_1446
; %bb.1441:                             ;   in Loop: Header=BB2_1198 Depth=2
	s_mov_b32 s40, exec_lo
                                        ; implicit-def: $vgpr47
	v_cmpx_ne_u64_e32 0, v[34:35]
	s_xor_b32 s40, exec_lo, s40
; %bb.1442:                             ;   in Loop: Header=BB2_1198 Depth=2
	v_or_b32_e32 v47, 0x7f, v11
                                        ; implicit-def: $vgpr10
; %bb.1443:                             ;   in Loop: Header=BB2_1198 Depth=2
	s_and_not1_saveexec_b32 s40, s40
; %bb.1444:                             ;   in Loop: Header=BB2_1198 Depth=2
	v_cmp_lt_i32_e32 vcc_lo, -1, v10
	v_cndmask_b32_e32 v47, 0xfc, v63, vcc_lo
; %bb.1445:                             ;   in Loop: Header=BB2_1198 Depth=2
	s_or_b32 exec_lo, exec_lo, s40
.LBB2_1446:                             ;   in Loop: Header=BB2_1198 Depth=2
	s_delay_alu instid0(SALU_CYCLE_1) | instskip(SKIP_1) | instid1(VALU_DEP_1)
	s_or_b32 exec_lo, exec_lo, s10
	v_and_b32_e32 v10, 0xff, v12
	v_cmp_ne_u16_e32 vcc_lo, 0, v10
	v_mov_b32_e32 v10, 0
	s_and_saveexec_b32 s10, vcc_lo
	s_cbranch_execz .LBB2_1456
; %bb.1447:                             ;   in Loop: Header=BB2_1198 Depth=2
	v_bfe_i32 v30, v12, 0, 8
	v_bfrev_b32_e32 v10, 1
	s_mov_b32 s40, exec_lo
	s_delay_alu instid0(VALU_DEP_2)
	v_cmpx_ne_u16_e32 0xff80, v30
	s_cbranch_execz .LBB2_1455
; %bb.1448:                             ;   in Loop: Header=BB2_1198 Depth=2
	v_and_b32_e32 v10, 0x7c, v12
	v_and_b32_e32 v11, 3, v12
	s_delay_alu instid0(VALU_DEP_2) | instskip(SKIP_1) | instid1(SALU_CYCLE_1)
	v_cmp_ne_u32_e32 vcc_lo, 0x7c, v10
                                        ; implicit-def: $vgpr10
	s_and_saveexec_b32 s41, vcc_lo
	s_xor_b32 s41, exec_lo, s41
	s_cbranch_execz .LBB2_1452
; %bb.1449:                             ;   in Loop: Header=BB2_1198 Depth=2
	v_bfe_u32 v10, v12, 2, 5
	s_mov_b32 s42, exec_lo
	s_delay_alu instid0(VALU_DEP_1)
	v_cmpx_eq_u32_e32 0, v10
; %bb.1450:                             ;   in Loop: Header=BB2_1198 Depth=2
	v_clz_i32_u32_e32 v10, v11
	s_delay_alu instid0(VALU_DEP_1) | instskip(NEXT) | instid1(VALU_DEP_1)
	v_min_u32_e32 v10, 32, v10
	v_subrev_nc_u32_e32 v11, 29, v10
	s_delay_alu instid0(VALU_DEP_1) | instskip(NEXT) | instid1(VALU_DEP_1)
	v_lshlrev_b64_e32 v[96:97], v11, v[12:13]
	v_dual_sub_nc_u32 v10, 30, v10 :: v_dual_bitop2_b32 v11, 3, v96 bitop3:0x40
; %bb.1451:                             ;   in Loop: Header=BB2_1198 Depth=2
	s_or_b32 exec_lo, exec_lo, s42
	v_lshlrev_b32_e32 v30, 24, v12
	s_delay_alu instid0(VALU_DEP_1) | instskip(NEXT) | instid1(VALU_DEP_1)
	v_and_b32_e32 v30, 0x80000000, v30
	v_lshl_add_u32 v10, v10, 23, v30
                                        ; implicit-def: $vgpr30
	s_delay_alu instid0(VALU_DEP_1) | instskip(NEXT) | instid1(VALU_DEP_1)
	v_lshl_or_b32 v10, v11, 21, v10
                                        ; implicit-def: $vgpr11
	v_add_nc_u32_e32 v10, 0x38000000, v10
.LBB2_1452:                             ;   in Loop: Header=BB2_1198 Depth=2
	s_and_not1_saveexec_b32 s41, s41
; %bb.1453:                             ;   in Loop: Header=BB2_1198 Depth=2
	v_cmp_lt_i16_e32 vcc_lo, -1, v30
	v_cndmask_b32_e32 v10, 0xff800000, v62, vcc_lo
	v_cmp_eq_u32_e32 vcc_lo, 0, v11
	s_delay_alu instid0(VALU_DEP_2)
	v_cndmask_b32_e32 v10, 0x7f800001, v10, vcc_lo
; %bb.1454:                             ;   in Loop: Header=BB2_1198 Depth=2
	s_or_b32 exec_lo, exec_lo, s41
.LBB2_1455:                             ;   in Loop: Header=BB2_1198 Depth=2
	s_delay_alu instid0(SALU_CYCLE_1)
	s_or_b32 exec_lo, exec_lo, s40
.LBB2_1456:                             ;   in Loop: Header=BB2_1198 Depth=2
	s_delay_alu instid0(SALU_CYCLE_1) | instskip(NEXT) | instid1(VALU_DEP_1)
	s_or_b32 exec_lo, exec_lo, s10
	v_dual_mul_f32 v10, s29, v10 :: v_dual_mov_b32 v97, v35
                                        ; implicit-def: $vgpr116
	s_mov_b32 s10, exec_lo
	s_delay_alu instid0(VALU_DEP_1) | instskip(SKIP_2) | instid1(VALU_DEP_3)
	v_and_b32_e32 v96, 0x7f800000, v10
	v_and_b32_e32 v34, 0x7fffff, v10
	v_lshrrev_b32_e32 v11, 24, v10
	v_cmpx_ne_u64_e32 0x7f800000, v[96:97]
	s_xor_b32 s40, exec_lo, s10
	s_cbranch_execz .LBB2_1470
; %bb.1457:                             ;   in Loop: Header=BB2_1198 Depth=2
	v_and_b32_e32 v96, 0x7fffffff, v10
	v_mov_b32_e32 v97, v35
	v_and_b32_e32 v30, 0x80, v11
                                        ; implicit-def: $vgpr116
	s_mov_b32 s10, exec_lo
	s_delay_alu instid0(VALU_DEP_2)
	v_cmpx_gt_u64_e32 0x47600001, v[96:97]
	s_xor_b32 s41, exec_lo, s10
	s_cbranch_execz .LBB2_1467
; %bb.1458:                             ;   in Loop: Header=BB2_1198 Depth=2
	v_mov_b32_e32 v116, 0
	s_mov_b32 s42, exec_lo
	v_cmpx_ne_u32_e32 0, v10
	s_cbranch_execz .LBB2_1466
; %bb.1459:                             ;   in Loop: Header=BB2_1198 Depth=2
	v_bfe_u32 v98, v10, 23, 8
	v_or_b32_e32 v96, 0x800000, v34
	s_delay_alu instid0(VALU_DEP_2) | instskip(SKIP_1) | instid1(VALU_DEP_2)
	v_sub_nc_u32_e32 v10, 0x71, v98
	v_cmp_gt_u32_e32 vcc_lo, 0x72, v98
	v_cndmask_b32_e32 v10, 0, v10, vcc_lo
	v_cmp_eq_u32_e32 vcc_lo, 0, v98
	s_delay_alu instid0(VALU_DEP_2) | instskip(NEXT) | instid1(VALU_DEP_1)
	v_cndmask_b32_e64 v99, v10, 0x70, vcc_lo
	v_dual_cndmask_b32 v34, v96, v34, vcc_lo :: v_dual_add_nc_u32 v10, 21, v99
	v_add_nc_u32_e32 v97, 20, v99
	s_delay_alu instid0(VALU_DEP_2) | instskip(NEXT) | instid1(VALU_DEP_2)
	v_lshlrev_b64_e64 v[10:11], v10, -1
	v_lshlrev_b64_e64 v[96:97], v97, 1
	s_delay_alu instid0(VALU_DEP_2) | instskip(NEXT) | instid1(VALU_DEP_3)
	v_bfi_b32 v117, v11, 0, 0
	v_bfi_b32 v116, v10, 0, v34
	v_lshrrev_b64 v[10:11], v99, v[34:35]
	s_delay_alu instid0(VALU_DEP_2) | instskip(NEXT) | instid1(VALU_DEP_2)
	v_cmp_eq_u64_e64 s10, v[116:117], v[96:97]
	v_mov_b64_e32 v[96:97], v[10:11]
	s_and_saveexec_b32 s43, s10
; %bb.1460:                             ;   in Loop: Header=BB2_1198 Depth=2
	v_bfe_u32 v34, v10, 21, 1
	s_delay_alu instid0(VALU_DEP_1) | instskip(NEXT) | instid1(VALU_DEP_1)
	v_add_nc_u64_e32 v[96:97], v[10:11], v[34:35]
	v_add_nc_u64_e32 v[96:97], -1, v[96:97]
; %bb.1461:                             ;   in Loop: Header=BB2_1198 Depth=2
	s_or_b32 exec_lo, exec_lo, s43
	v_add_nc_u32_e32 v11, 0xffffff81, v98
	v_lshrrev_b32_e32 v34, 23, v10
	s_mov_b32 s10, exec_lo
	s_delay_alu instid0(VALU_DEP_2) | instskip(NEXT) | instid1(VALU_DEP_1)
	v_cndmask_b32_e64 v11, v11, 0xffffff82, vcc_lo
	v_add3_u32 v97, v99, v11, v34
	v_and_b32_e32 v11, 0x1fffff, v96
                                        ; implicit-def: $vgpr96
	s_delay_alu instid0(VALU_DEP_1) | instskip(NEXT) | instid1(VALU_DEP_1)
	v_dual_add_nc_u32 v98, 14, v97 :: v_dual_add_nc_u32 v34, v11, v10
                                        ; implicit-def: $vgpr10_vgpr11
	v_cmpx_ne_u32_e32 0, v98
	s_xor_b32 s10, exec_lo, s10
; %bb.1462:                             ;   in Loop: Header=BB2_1198 Depth=2
	s_delay_alu instid0(VALU_DEP_2) | instskip(SKIP_1) | instid1(VALU_DEP_1)
	v_cmp_lt_u64_e32 vcc_lo, 0xffffff, v[34:35]
	v_add_nc_u32_e32 v10, 15, v97
	v_cndmask_b32_e32 v96, v98, v10, vcc_lo
	v_cndmask_b32_e64 v10, 0, 1, vcc_lo
	s_delay_alu instid0(VALU_DEP_1)
	v_lshrrev_b64 v[10:11], v10, v[34:35]
; %bb.1463:                             ;   in Loop: Header=BB2_1198 Depth=2
	s_and_not1_saveexec_b32 s10, s10
; %bb.1464:                             ;   in Loop: Header=BB2_1198 Depth=2
	v_mov_b64_e32 v[10:11], v[34:35]
	v_bfe_u32 v96, v34, 23, 1
; %bb.1465:                             ;   in Loop: Header=BB2_1198 Depth=2
	s_or_b32 exec_lo, exec_lo, s10
	s_delay_alu instid0(VALU_DEP_2) | instskip(NEXT) | instid1(VALU_DEP_2)
	v_lshrrev_b64 v[10:11], 21, v[10:11]
	v_cmp_gt_i32_e32 vcc_lo, 32, v96
	v_min_i32_e32 v34, 31, v96
	v_cmp_eq_u32_e64 s10, 0, v96
	s_delay_alu instid0(VALU_DEP_2) | instskip(SKIP_1) | instid1(VALU_DEP_2)
	v_dual_cndmask_b32 v11, 0, v11 :: v_dual_lshlrev_b32 v34, 2, v34
	v_cndmask_b32_e32 v10, 3, v10, vcc_lo
	v_and_b32_e32 v34, 0xfc, v34
	s_delay_alu instid0(VALU_DEP_2) | instskip(NEXT) | instid1(VALU_DEP_2)
	v_cmp_eq_u64_e32 vcc_lo, 0, v[10:11]
	v_and_or_b32 v10, v10, 3, v34
	s_and_b32 s10, s10, vcc_lo
	s_delay_alu instid0(VALU_DEP_1) | instid1(SALU_CYCLE_1)
	v_cndmask_b32_e64 v10, v10, 0, s10
	s_delay_alu instid0(VALU_DEP_1)
	v_or_b32_e32 v116, v10, v30
.LBB2_1466:                             ;   in Loop: Header=BB2_1198 Depth=2
	s_or_b32 exec_lo, exec_lo, s42
                                        ; implicit-def: $vgpr30
.LBB2_1467:                             ;   in Loop: Header=BB2_1198 Depth=2
	s_and_not1_saveexec_b32 s10, s41
; %bb.1468:                             ;   in Loop: Header=BB2_1198 Depth=2
	v_or_b32_e32 v116, 0x7b, v30
; %bb.1469:                             ;   in Loop: Header=BB2_1198 Depth=2
	s_or_b32 exec_lo, exec_lo, s10
                                        ; implicit-def: $vgpr10
                                        ; implicit-def: $vgpr11
.LBB2_1470:                             ;   in Loop: Header=BB2_1198 Depth=2
	s_and_not1_saveexec_b32 s10, s40
	s_cbranch_execz .LBB2_1476
; %bb.1471:                             ;   in Loop: Header=BB2_1198 Depth=2
	s_mov_b32 s40, exec_lo
                                        ; implicit-def: $vgpr116
	v_cmpx_ne_u64_e32 0, v[34:35]
	s_xor_b32 s40, exec_lo, s40
; %bb.1472:                             ;   in Loop: Header=BB2_1198 Depth=2
	v_or_b32_e32 v116, 0x7f, v11
                                        ; implicit-def: $vgpr10
; %bb.1473:                             ;   in Loop: Header=BB2_1198 Depth=2
	s_and_not1_saveexec_b32 s40, s40
; %bb.1474:                             ;   in Loop: Header=BB2_1198 Depth=2
	v_cmp_lt_i32_e32 vcc_lo, -1, v10
	v_cndmask_b32_e32 v116, 0xfc, v63, vcc_lo
; %bb.1475:                             ;   in Loop: Header=BB2_1198 Depth=2
	s_or_b32 exec_lo, exec_lo, s40
.LBB2_1476:                             ;   in Loop: Header=BB2_1198 Depth=2
	s_delay_alu instid0(SALU_CYCLE_1) | instskip(SKIP_3) | instid1(VALU_DEP_2)
	s_or_b32 exec_lo, exec_lo, s10
	v_lshrrev_b16 v34, 8, v12
	v_mov_b32_e32 v11, 0
	s_mov_b32 s10, exec_lo
	v_cmpx_ne_u16_e32 0, v34
	s_cbranch_execz .LBB2_1486
; %bb.1477:                             ;   in Loop: Header=BB2_1198 Depth=2
	v_bfrev_b32_e32 v11, 1
	s_mov_b32 s40, exec_lo
	v_cmpx_ne_u16_e32 0x80, v34
	s_cbranch_execz .LBB2_1485
; %bb.1478:                             ;   in Loop: Header=BB2_1198 Depth=2
	v_and_b32_e32 v30, 0xffff, v34
	s_delay_alu instid0(VALU_DEP_1) | instskip(SKIP_1) | instid1(VALU_DEP_2)
	v_and_b32_e32 v11, 0x7c, v30
	v_and_b32_e32 v10, 3, v30
	v_cmp_ne_u32_e32 vcc_lo, 0x7c, v11
                                        ; implicit-def: $vgpr11
	s_and_saveexec_b32 s41, vcc_lo
	s_delay_alu instid0(SALU_CYCLE_1)
	s_xor_b32 s41, exec_lo, s41
	s_cbranch_execz .LBB2_1482
; %bb.1479:                             ;   in Loop: Header=BB2_1198 Depth=2
	v_bfe_u32 v11, v30, 2, 5
	s_mov_b32 s42, exec_lo
	s_delay_alu instid0(VALU_DEP_1)
	v_cmpx_eq_u32_e32 0, v11
; %bb.1480:                             ;   in Loop: Header=BB2_1198 Depth=2
	v_clz_i32_u32_e32 v10, v10
	s_delay_alu instid0(VALU_DEP_1) | instskip(NEXT) | instid1(VALU_DEP_1)
	v_min_u32_e32 v30, 32, v10
	v_subrev_nc_u32_e32 v10, 29, v30
	s_delay_alu instid0(VALU_DEP_1) | instskip(SKIP_1) | instid1(VALU_DEP_2)
	v_lshlrev_b64_e32 v[10:11], v10, v[34:35]
	v_sub_nc_u32_e32 v11, 30, v30
	v_and_b32_e32 v10, 3, v10
; %bb.1481:                             ;   in Loop: Header=BB2_1198 Depth=2
	s_or_b32 exec_lo, exec_lo, s42
	v_lshlrev_b32_e32 v30, 16, v12
	s_delay_alu instid0(VALU_DEP_1) | instskip(NEXT) | instid1(VALU_DEP_1)
	v_and_b32_e32 v30, 0x80000000, v30
	v_lshl_add_u32 v11, v11, 23, v30
	s_delay_alu instid0(VALU_DEP_1) | instskip(NEXT) | instid1(VALU_DEP_1)
	v_lshl_or_b32 v10, v10, 21, v11
	v_add_nc_u32_e32 v11, 0x38000000, v10
                                        ; implicit-def: $vgpr10
.LBB2_1482:                             ;   in Loop: Header=BB2_1198 Depth=2
	s_and_not1_saveexec_b32 s41, s41
; %bb.1483:                             ;   in Loop: Header=BB2_1198 Depth=2
	v_cmp_lt_i16_e32 vcc_lo, -1, v12
	v_cndmask_b32_e32 v11, 0xff800000, v62, vcc_lo
	v_cmp_eq_u32_e32 vcc_lo, 0, v10
	s_delay_alu instid0(VALU_DEP_2)
	v_cndmask_b32_e32 v11, 0x7f800001, v11, vcc_lo
; %bb.1484:                             ;   in Loop: Header=BB2_1198 Depth=2
	s_or_b32 exec_lo, exec_lo, s41
.LBB2_1485:                             ;   in Loop: Header=BB2_1198 Depth=2
	s_delay_alu instid0(SALU_CYCLE_1)
	s_or_b32 exec_lo, exec_lo, s40
.LBB2_1486:                             ;   in Loop: Header=BB2_1198 Depth=2
	s_delay_alu instid0(SALU_CYCLE_1) | instskip(NEXT) | instid1(VALU_DEP_1)
	s_or_b32 exec_lo, exec_lo, s10
	v_dual_mul_f32 v10, s29, v11 :: v_dual_mov_b32 v97, v35
                                        ; implicit-def: $vgpr40
	s_mov_b32 s10, exec_lo
	s_delay_alu instid0(VALU_DEP_1) | instskip(SKIP_2) | instid1(VALU_DEP_3)
	v_and_b32_e32 v96, 0x7f800000, v10
	v_and_b32_e32 v34, 0x7fffff, v10
	v_lshrrev_b32_e32 v11, 24, v10
	v_cmpx_ne_u64_e32 0x7f800000, v[96:97]
	s_xor_b32 s40, exec_lo, s10
	s_cbranch_execz .LBB2_1500
; %bb.1487:                             ;   in Loop: Header=BB2_1198 Depth=2
	v_and_b32_e32 v96, 0x7fffffff, v10
	v_mov_b32_e32 v97, v35
	v_and_b32_e32 v30, 0x80, v11
                                        ; implicit-def: $vgpr40
	s_mov_b32 s10, exec_lo
	s_delay_alu instid0(VALU_DEP_2)
	v_cmpx_gt_u64_e32 0x47600001, v[96:97]
	s_xor_b32 s41, exec_lo, s10
	s_cbranch_execz .LBB2_1497
; %bb.1488:                             ;   in Loop: Header=BB2_1198 Depth=2
	v_mov_b32_e32 v40, 0
	s_mov_b32 s42, exec_lo
	v_cmpx_ne_u32_e32 0, v10
	s_cbranch_execz .LBB2_1496
; %bb.1489:                             ;   in Loop: Header=BB2_1198 Depth=2
	v_bfe_u32 v98, v10, 23, 8
	v_or_b32_e32 v96, 0x800000, v34
	s_delay_alu instid0(VALU_DEP_2) | instskip(SKIP_1) | instid1(VALU_DEP_2)
	v_sub_nc_u32_e32 v10, 0x71, v98
	v_cmp_gt_u32_e32 vcc_lo, 0x72, v98
	v_cndmask_b32_e32 v10, 0, v10, vcc_lo
	v_cmp_eq_u32_e32 vcc_lo, 0, v98
	s_delay_alu instid0(VALU_DEP_2) | instskip(NEXT) | instid1(VALU_DEP_1)
	v_cndmask_b32_e64 v99, v10, 0x70, vcc_lo
	v_dual_cndmask_b32 v34, v96, v34, vcc_lo :: v_dual_add_nc_u32 v10, 21, v99
	v_add_nc_u32_e32 v97, 20, v99
	s_delay_alu instid0(VALU_DEP_2) | instskip(NEXT) | instid1(VALU_DEP_2)
	v_lshlrev_b64_e64 v[10:11], v10, -1
	v_lshlrev_b64_e64 v[96:97], v97, 1
	s_delay_alu instid0(VALU_DEP_2) | instskip(NEXT) | instid1(VALU_DEP_3)
	v_bfi_b32 v41, v11, 0, 0
	v_bfi_b32 v40, v10, 0, v34
	v_lshrrev_b64 v[10:11], v99, v[34:35]
	s_delay_alu instid0(VALU_DEP_2) | instskip(NEXT) | instid1(VALU_DEP_2)
	v_cmp_eq_u64_e64 s10, v[40:41], v[96:97]
	v_mov_b64_e32 v[96:97], v[10:11]
	s_and_saveexec_b32 s43, s10
; %bb.1490:                             ;   in Loop: Header=BB2_1198 Depth=2
	v_bfe_u32 v34, v10, 21, 1
	s_delay_alu instid0(VALU_DEP_1) | instskip(NEXT) | instid1(VALU_DEP_1)
	v_add_nc_u64_e32 v[96:97], v[10:11], v[34:35]
	v_add_nc_u64_e32 v[96:97], -1, v[96:97]
; %bb.1491:                             ;   in Loop: Header=BB2_1198 Depth=2
	s_or_b32 exec_lo, exec_lo, s43
	v_add_nc_u32_e32 v11, 0xffffff81, v98
	v_lshrrev_b32_e32 v34, 23, v10
	s_mov_b32 s10, exec_lo
	s_delay_alu instid0(VALU_DEP_2) | instskip(NEXT) | instid1(VALU_DEP_1)
	v_cndmask_b32_e64 v11, v11, 0xffffff82, vcc_lo
	v_add3_u32 v97, v99, v11, v34
	v_and_b32_e32 v11, 0x1fffff, v96
                                        ; implicit-def: $vgpr96
	s_delay_alu instid0(VALU_DEP_1) | instskip(NEXT) | instid1(VALU_DEP_1)
	v_dual_add_nc_u32 v98, 14, v97 :: v_dual_add_nc_u32 v34, v11, v10
                                        ; implicit-def: $vgpr10_vgpr11
	v_cmpx_ne_u32_e32 0, v98
	s_xor_b32 s10, exec_lo, s10
; %bb.1492:                             ;   in Loop: Header=BB2_1198 Depth=2
	s_delay_alu instid0(VALU_DEP_2) | instskip(SKIP_1) | instid1(VALU_DEP_1)
	v_cmp_lt_u64_e32 vcc_lo, 0xffffff, v[34:35]
	v_add_nc_u32_e32 v10, 15, v97
	v_cndmask_b32_e32 v96, v98, v10, vcc_lo
	v_cndmask_b32_e64 v10, 0, 1, vcc_lo
	s_delay_alu instid0(VALU_DEP_1)
	v_lshrrev_b64 v[10:11], v10, v[34:35]
; %bb.1493:                             ;   in Loop: Header=BB2_1198 Depth=2
	s_and_not1_saveexec_b32 s10, s10
; %bb.1494:                             ;   in Loop: Header=BB2_1198 Depth=2
	v_mov_b64_e32 v[10:11], v[34:35]
	v_bfe_u32 v96, v34, 23, 1
; %bb.1495:                             ;   in Loop: Header=BB2_1198 Depth=2
	s_or_b32 exec_lo, exec_lo, s10
	s_delay_alu instid0(VALU_DEP_2) | instskip(NEXT) | instid1(VALU_DEP_2)
	v_lshrrev_b64 v[10:11], 21, v[10:11]
	v_cmp_gt_i32_e32 vcc_lo, 32, v96
	v_min_i32_e32 v34, 31, v96
	v_cmp_eq_u32_e64 s10, 0, v96
	s_delay_alu instid0(VALU_DEP_2) | instskip(SKIP_1) | instid1(VALU_DEP_2)
	v_dual_cndmask_b32 v11, 0, v11 :: v_dual_lshlrev_b32 v34, 2, v34
	v_cndmask_b32_e32 v10, 3, v10, vcc_lo
	v_and_b32_e32 v34, 0xfc, v34
	s_delay_alu instid0(VALU_DEP_2) | instskip(NEXT) | instid1(VALU_DEP_2)
	v_cmp_eq_u64_e32 vcc_lo, 0, v[10:11]
	v_and_or_b32 v10, v10, 3, v34
	s_and_b32 s10, s10, vcc_lo
	s_delay_alu instid0(VALU_DEP_1) | instid1(SALU_CYCLE_1)
	v_cndmask_b32_e64 v10, v10, 0, s10
	s_delay_alu instid0(VALU_DEP_1)
	v_or_b32_e32 v40, v10, v30
.LBB2_1496:                             ;   in Loop: Header=BB2_1198 Depth=2
	s_or_b32 exec_lo, exec_lo, s42
                                        ; implicit-def: $vgpr30
.LBB2_1497:                             ;   in Loop: Header=BB2_1198 Depth=2
	s_and_not1_saveexec_b32 s10, s41
; %bb.1498:                             ;   in Loop: Header=BB2_1198 Depth=2
	v_or_b32_e32 v40, 0x7b, v30
; %bb.1499:                             ;   in Loop: Header=BB2_1198 Depth=2
	s_or_b32 exec_lo, exec_lo, s10
                                        ; implicit-def: $vgpr10
                                        ; implicit-def: $vgpr11
.LBB2_1500:                             ;   in Loop: Header=BB2_1198 Depth=2
	s_and_not1_saveexec_b32 s10, s40
	s_cbranch_execz .LBB2_1506
; %bb.1501:                             ;   in Loop: Header=BB2_1198 Depth=2
	s_mov_b32 s40, exec_lo
                                        ; implicit-def: $vgpr40
	v_cmpx_ne_u64_e32 0, v[34:35]
	s_xor_b32 s40, exec_lo, s40
; %bb.1502:                             ;   in Loop: Header=BB2_1198 Depth=2
	v_or_b32_e32 v40, 0x7f, v11
                                        ; implicit-def: $vgpr10
; %bb.1503:                             ;   in Loop: Header=BB2_1198 Depth=2
	s_and_not1_saveexec_b32 s40, s40
; %bb.1504:                             ;   in Loop: Header=BB2_1198 Depth=2
	v_cmp_lt_i32_e32 vcc_lo, -1, v10
	v_cndmask_b32_e32 v40, 0xfc, v63, vcc_lo
; %bb.1505:                             ;   in Loop: Header=BB2_1198 Depth=2
	s_or_b32 exec_lo, exec_lo, s40
.LBB2_1506:                             ;   in Loop: Header=BB2_1198 Depth=2
	s_delay_alu instid0(SALU_CYCLE_1) | instskip(SKIP_2) | instid1(VALU_DEP_1)
	s_or_b32 exec_lo, exec_lo, s10
	v_dual_mov_b32 v11, 0 :: v_dual_lshrrev_b32 v10, 16, v12
	s_mov_b32 s10, exec_lo
	v_and_b32_e32 v30, 0xff, v10
	s_delay_alu instid0(VALU_DEP_1)
	v_cmpx_ne_u16_e32 0, v30
	s_cbranch_execz .LBB2_1516
; %bb.1507:                             ;   in Loop: Header=BB2_1198 Depth=2
	v_bfrev_b32_e32 v11, 1
	s_mov_b32 s40, exec_lo
	v_cmpx_ne_u16_e32 0x80, v30
	s_cbranch_execz .LBB2_1515
; %bb.1508:                             ;   in Loop: Header=BB2_1198 Depth=2
	v_and_b32_e32 v11, 0x7c0000, v12
	v_bfe_u32 v30, v12, 16, 2
	s_delay_alu instid0(VALU_DEP_2) | instskip(SKIP_1) | instid1(SALU_CYCLE_1)
	v_cmp_ne_u32_e32 vcc_lo, 0x7c0000, v11
                                        ; implicit-def: $vgpr11
	s_and_saveexec_b32 s41, vcc_lo
	s_xor_b32 s41, exec_lo, s41
	s_cbranch_execz .LBB2_1512
; %bb.1509:                             ;   in Loop: Header=BB2_1198 Depth=2
	v_bfe_u32 v11, v12, 18, 5
	s_mov_b32 s42, exec_lo
	s_delay_alu instid0(VALU_DEP_1)
	v_cmpx_eq_u32_e32 0, v11
; %bb.1510:                             ;   in Loop: Header=BB2_1198 Depth=2
	v_clz_i32_u32_e32 v11, v30
	s_delay_alu instid0(VALU_DEP_1) | instskip(NEXT) | instid1(VALU_DEP_1)
	v_min_u32_e32 v11, 32, v11
	v_subrev_nc_u32_e32 v30, 29, v11
	s_delay_alu instid0(VALU_DEP_1) | instskip(NEXT) | instid1(VALU_DEP_1)
	v_lshlrev_b64_e32 v[96:97], v30, v[10:11]
	v_dual_sub_nc_u32 v11, 30, v11 :: v_dual_bitop2_b32 v30, 3, v96 bitop3:0x40
; %bb.1511:                             ;   in Loop: Header=BB2_1198 Depth=2
	s_or_b32 exec_lo, exec_lo, s42
	v_lshlrev_b32_e32 v10, 24, v10
	s_delay_alu instid0(VALU_DEP_1) | instskip(NEXT) | instid1(VALU_DEP_1)
	v_and_b32_e32 v10, 0x80000000, v10
	v_lshl_add_u32 v10, v11, 23, v10
	s_delay_alu instid0(VALU_DEP_1) | instskip(NEXT) | instid1(VALU_DEP_1)
	v_lshl_or_b32 v10, v30, 21, v10
                                        ; implicit-def: $vgpr30
	v_add_nc_u32_e32 v11, 0x38000000, v10
                                        ; implicit-def: $vgpr10
.LBB2_1512:                             ;   in Loop: Header=BB2_1198 Depth=2
	s_and_not1_saveexec_b32 s41, s41
; %bb.1513:                             ;   in Loop: Header=BB2_1198 Depth=2
	v_bfe_i32 v10, v10, 0, 8
	s_delay_alu instid0(VALU_DEP_1) | instskip(SKIP_2) | instid1(VALU_DEP_2)
	v_cmp_lt_i16_e32 vcc_lo, -1, v10
	v_cndmask_b32_e32 v10, 0xff800000, v62, vcc_lo
	v_cmp_eq_u32_e32 vcc_lo, 0, v30
	v_cndmask_b32_e32 v11, 0x7f800001, v10, vcc_lo
; %bb.1514:                             ;   in Loop: Header=BB2_1198 Depth=2
	s_or_b32 exec_lo, exec_lo, s41
.LBB2_1515:                             ;   in Loop: Header=BB2_1198 Depth=2
	s_delay_alu instid0(SALU_CYCLE_1)
	s_or_b32 exec_lo, exec_lo, s40
.LBB2_1516:                             ;   in Loop: Header=BB2_1198 Depth=2
	s_delay_alu instid0(SALU_CYCLE_1) | instskip(NEXT) | instid1(VALU_DEP_1)
	s_or_b32 exec_lo, exec_lo, s10
	v_dual_mul_f32 v10, s29, v11 :: v_dual_mov_b32 v97, v35
                                        ; implicit-def: $vgpr43
	s_mov_b32 s10, exec_lo
	s_delay_alu instid0(VALU_DEP_1) | instskip(SKIP_2) | instid1(VALU_DEP_3)
	v_and_b32_e32 v96, 0x7f800000, v10
	v_and_b32_e32 v34, 0x7fffff, v10
	v_lshrrev_b32_e32 v11, 24, v10
	v_cmpx_ne_u64_e32 0x7f800000, v[96:97]
	s_xor_b32 s40, exec_lo, s10
	s_cbranch_execz .LBB2_1530
; %bb.1517:                             ;   in Loop: Header=BB2_1198 Depth=2
	v_and_b32_e32 v96, 0x7fffffff, v10
	v_mov_b32_e32 v97, v35
	v_and_b32_e32 v30, 0x80, v11
                                        ; implicit-def: $vgpr43
	s_mov_b32 s10, exec_lo
	s_delay_alu instid0(VALU_DEP_2)
	v_cmpx_gt_u64_e32 0x47600001, v[96:97]
	s_xor_b32 s41, exec_lo, s10
	s_cbranch_execz .LBB2_1527
; %bb.1518:                             ;   in Loop: Header=BB2_1198 Depth=2
	v_mov_b32_e32 v43, 0
	s_mov_b32 s42, exec_lo
	v_cmpx_ne_u32_e32 0, v10
	s_cbranch_execz .LBB2_1526
; %bb.1519:                             ;   in Loop: Header=BB2_1198 Depth=2
	v_bfe_u32 v98, v10, 23, 8
	v_or_b32_e32 v96, 0x800000, v34
	s_delay_alu instid0(VALU_DEP_2) | instskip(SKIP_1) | instid1(VALU_DEP_2)
	v_sub_nc_u32_e32 v10, 0x71, v98
	v_cmp_gt_u32_e32 vcc_lo, 0x72, v98
	v_cndmask_b32_e32 v10, 0, v10, vcc_lo
	v_cmp_eq_u32_e32 vcc_lo, 0, v98
	s_delay_alu instid0(VALU_DEP_2) | instskip(NEXT) | instid1(VALU_DEP_1)
	v_cndmask_b32_e64 v99, v10, 0x70, vcc_lo
	v_dual_cndmask_b32 v34, v96, v34, vcc_lo :: v_dual_add_nc_u32 v10, 21, v99
	v_add_nc_u32_e32 v97, 20, v99
	s_delay_alu instid0(VALU_DEP_2) | instskip(NEXT) | instid1(VALU_DEP_2)
	v_lshlrev_b64_e64 v[10:11], v10, -1
	v_lshlrev_b64_e64 v[96:97], v97, 1
	s_delay_alu instid0(VALU_DEP_2) | instskip(NEXT) | instid1(VALU_DEP_3)
	v_bfi_b32 v43, v11, 0, 0
	v_bfi_b32 v42, v10, 0, v34
	v_lshrrev_b64 v[10:11], v99, v[34:35]
	s_delay_alu instid0(VALU_DEP_2) | instskip(NEXT) | instid1(VALU_DEP_2)
	v_cmp_eq_u64_e64 s10, v[42:43], v[96:97]
	v_mov_b64_e32 v[96:97], v[10:11]
	s_and_saveexec_b32 s43, s10
; %bb.1520:                             ;   in Loop: Header=BB2_1198 Depth=2
	v_bfe_u32 v34, v10, 21, 1
	s_delay_alu instid0(VALU_DEP_1) | instskip(NEXT) | instid1(VALU_DEP_1)
	v_add_nc_u64_e32 v[96:97], v[10:11], v[34:35]
	v_add_nc_u64_e32 v[96:97], -1, v[96:97]
; %bb.1521:                             ;   in Loop: Header=BB2_1198 Depth=2
	s_or_b32 exec_lo, exec_lo, s43
	v_add_nc_u32_e32 v11, 0xffffff81, v98
	v_lshrrev_b32_e32 v34, 23, v10
	s_mov_b32 s10, exec_lo
	s_delay_alu instid0(VALU_DEP_2) | instskip(NEXT) | instid1(VALU_DEP_1)
	v_cndmask_b32_e64 v11, v11, 0xffffff82, vcc_lo
	v_add3_u32 v97, v99, v11, v34
	v_and_b32_e32 v11, 0x1fffff, v96
                                        ; implicit-def: $vgpr96
	s_delay_alu instid0(VALU_DEP_1) | instskip(NEXT) | instid1(VALU_DEP_1)
	v_dual_add_nc_u32 v98, 14, v97 :: v_dual_add_nc_u32 v34, v11, v10
                                        ; implicit-def: $vgpr10_vgpr11
	v_cmpx_ne_u32_e32 0, v98
	s_xor_b32 s10, exec_lo, s10
; %bb.1522:                             ;   in Loop: Header=BB2_1198 Depth=2
	s_delay_alu instid0(VALU_DEP_2) | instskip(SKIP_1) | instid1(VALU_DEP_1)
	v_cmp_lt_u64_e32 vcc_lo, 0xffffff, v[34:35]
	v_add_nc_u32_e32 v10, 15, v97
	v_cndmask_b32_e32 v96, v98, v10, vcc_lo
	v_cndmask_b32_e64 v10, 0, 1, vcc_lo
	s_delay_alu instid0(VALU_DEP_1)
	v_lshrrev_b64 v[10:11], v10, v[34:35]
; %bb.1523:                             ;   in Loop: Header=BB2_1198 Depth=2
	s_and_not1_saveexec_b32 s10, s10
; %bb.1524:                             ;   in Loop: Header=BB2_1198 Depth=2
	v_mov_b64_e32 v[10:11], v[34:35]
	v_bfe_u32 v96, v34, 23, 1
; %bb.1525:                             ;   in Loop: Header=BB2_1198 Depth=2
	s_or_b32 exec_lo, exec_lo, s10
	s_delay_alu instid0(VALU_DEP_2) | instskip(NEXT) | instid1(VALU_DEP_2)
	v_lshrrev_b64 v[10:11], 21, v[10:11]
	v_cmp_gt_i32_e32 vcc_lo, 32, v96
	v_min_i32_e32 v34, 31, v96
	v_cmp_eq_u32_e64 s10, 0, v96
	s_delay_alu instid0(VALU_DEP_2) | instskip(SKIP_1) | instid1(VALU_DEP_2)
	v_dual_cndmask_b32 v11, 0, v11 :: v_dual_lshlrev_b32 v34, 2, v34
	v_cndmask_b32_e32 v10, 3, v10, vcc_lo
	v_and_b32_e32 v34, 0xfc, v34
	s_delay_alu instid0(VALU_DEP_2) | instskip(NEXT) | instid1(VALU_DEP_2)
	v_cmp_eq_u64_e32 vcc_lo, 0, v[10:11]
	v_and_or_b32 v10, v10, 3, v34
	s_and_b32 s10, s10, vcc_lo
	s_delay_alu instid0(VALU_DEP_1) | instid1(SALU_CYCLE_1)
	v_cndmask_b32_e64 v10, v10, 0, s10
	s_delay_alu instid0(VALU_DEP_1)
	v_or_b32_e32 v43, v10, v30
.LBB2_1526:                             ;   in Loop: Header=BB2_1198 Depth=2
	s_or_b32 exec_lo, exec_lo, s42
                                        ; implicit-def: $vgpr30
.LBB2_1527:                             ;   in Loop: Header=BB2_1198 Depth=2
	s_and_not1_saveexec_b32 s10, s41
; %bb.1528:                             ;   in Loop: Header=BB2_1198 Depth=2
	v_or_b32_e32 v43, 0x7b, v30
; %bb.1529:                             ;   in Loop: Header=BB2_1198 Depth=2
	s_or_b32 exec_lo, exec_lo, s10
                                        ; implicit-def: $vgpr10
                                        ; implicit-def: $vgpr11
.LBB2_1530:                             ;   in Loop: Header=BB2_1198 Depth=2
	s_and_not1_saveexec_b32 s10, s40
	s_cbranch_execz .LBB2_1536
; %bb.1531:                             ;   in Loop: Header=BB2_1198 Depth=2
	s_mov_b32 s40, exec_lo
                                        ; implicit-def: $vgpr43
	v_cmpx_ne_u64_e32 0, v[34:35]
	s_xor_b32 s40, exec_lo, s40
; %bb.1532:                             ;   in Loop: Header=BB2_1198 Depth=2
	v_or_b32_e32 v43, 0x7f, v11
                                        ; implicit-def: $vgpr10
; %bb.1533:                             ;   in Loop: Header=BB2_1198 Depth=2
	s_and_not1_saveexec_b32 s40, s40
; %bb.1534:                             ;   in Loop: Header=BB2_1198 Depth=2
	v_cmp_lt_i32_e32 vcc_lo, -1, v10
	v_cndmask_b32_e32 v43, 0xfc, v63, vcc_lo
; %bb.1535:                             ;   in Loop: Header=BB2_1198 Depth=2
	s_or_b32 exec_lo, exec_lo, s40
.LBB2_1536:                             ;   in Loop: Header=BB2_1198 Depth=2
	s_delay_alu instid0(SALU_CYCLE_1)
	s_or_b32 exec_lo, exec_lo, s10
	v_mov_b32_e32 v11, 0
	s_mov_b32 s10, exec_lo
	v_cmpx_lt_u32_e32 0xffffff, v12
	s_cbranch_execz .LBB2_1546
; %bb.1537:                             ;   in Loop: Header=BB2_1198 Depth=2
	v_lshrrev_b32_e32 v10, 24, v12
	v_bfrev_b32_e32 v11, 1
	s_mov_b32 s40, exec_lo
	s_delay_alu instid0(VALU_DEP_2)
	v_cmpx_ne_u32_e32 0x80, v10
	s_cbranch_execz .LBB2_1545
; %bb.1538:                             ;   in Loop: Header=BB2_1198 Depth=2
	v_and_b32_e32 v11, 0x7c000000, v12
	v_bfe_u32 v30, v12, 24, 2
	s_delay_alu instid0(VALU_DEP_2) | instskip(SKIP_1) | instid1(SALU_CYCLE_1)
	v_cmp_ne_u32_e32 vcc_lo, 0x7c000000, v11
                                        ; implicit-def: $vgpr11
	s_and_saveexec_b32 s41, vcc_lo
	s_xor_b32 s41, exec_lo, s41
	s_cbranch_execz .LBB2_1542
; %bb.1539:                             ;   in Loop: Header=BB2_1198 Depth=2
	v_bfe_u32 v11, v12, 26, 5
	s_mov_b32 s42, exec_lo
	s_delay_alu instid0(VALU_DEP_1)
	v_cmpx_eq_u32_e32 0, v11
; %bb.1540:                             ;   in Loop: Header=BB2_1198 Depth=2
	v_clz_i32_u32_e32 v11, v30
	s_delay_alu instid0(VALU_DEP_1) | instskip(NEXT) | instid1(VALU_DEP_1)
	v_min_u32_e32 v30, 32, v11
	v_subrev_nc_u32_e32 v11, 29, v30
	s_delay_alu instid0(VALU_DEP_1) | instskip(SKIP_1) | instid1(VALU_DEP_2)
	v_lshlrev_b64_e32 v[10:11], v11, v[10:11]
	v_sub_nc_u32_e32 v11, 30, v30
	v_and_b32_e32 v30, 3, v10
; %bb.1541:                             ;   in Loop: Header=BB2_1198 Depth=2
	s_or_b32 exec_lo, exec_lo, s42
	v_and_b32_e32 v10, 0x80000000, v12
	s_delay_alu instid0(VALU_DEP_1) | instskip(NEXT) | instid1(VALU_DEP_1)
	v_lshl_add_u32 v10, v11, 23, v10
	v_lshl_or_b32 v10, v30, 21, v10
                                        ; implicit-def: $vgpr30
	s_delay_alu instid0(VALU_DEP_1)
	v_add_nc_u32_e32 v11, 0x38000000, v10
.LBB2_1542:                             ;   in Loop: Header=BB2_1198 Depth=2
	s_and_not1_saveexec_b32 s41, s41
; %bb.1543:                             ;   in Loop: Header=BB2_1198 Depth=2
	v_cmp_lt_i32_e32 vcc_lo, -1, v12
	v_cndmask_b32_e32 v10, 0xff800000, v62, vcc_lo
	v_cmp_eq_u32_e32 vcc_lo, 0, v30
	s_delay_alu instid0(VALU_DEP_2)
	v_cndmask_b32_e32 v11, 0x7f800001, v10, vcc_lo
; %bb.1544:                             ;   in Loop: Header=BB2_1198 Depth=2
	s_or_b32 exec_lo, exec_lo, s41
.LBB2_1545:                             ;   in Loop: Header=BB2_1198 Depth=2
	s_delay_alu instid0(SALU_CYCLE_1)
	s_or_b32 exec_lo, exec_lo, s40
.LBB2_1546:                             ;   in Loop: Header=BB2_1198 Depth=2
	s_delay_alu instid0(SALU_CYCLE_1) | instskip(NEXT) | instid1(VALU_DEP_1)
	s_or_b32 exec_lo, exec_lo, s10
	v_dual_mul_f32 v10, s29, v11 :: v_dual_mov_b32 v97, v35
                                        ; implicit-def: $vgpr45
	s_mov_b32 s10, exec_lo
	s_delay_alu instid0(VALU_DEP_1) | instskip(SKIP_2) | instid1(VALU_DEP_3)
	v_and_b32_e32 v96, 0x7f800000, v10
	v_and_b32_e32 v34, 0x7fffff, v10
	v_lshrrev_b32_e32 v11, 24, v10
	v_cmpx_ne_u64_e32 0x7f800000, v[96:97]
	s_xor_b32 s40, exec_lo, s10
	s_cbranch_execz .LBB2_1560
; %bb.1547:                             ;   in Loop: Header=BB2_1198 Depth=2
	v_and_b32_e32 v96, 0x7fffffff, v10
	v_mov_b32_e32 v97, v35
	v_and_b32_e32 v30, 0x80, v11
                                        ; implicit-def: $vgpr45
	s_mov_b32 s10, exec_lo
	s_delay_alu instid0(VALU_DEP_2)
	v_cmpx_gt_u64_e32 0x47600001, v[96:97]
	s_xor_b32 s41, exec_lo, s10
	s_cbranch_execz .LBB2_1557
; %bb.1548:                             ;   in Loop: Header=BB2_1198 Depth=2
	v_mov_b32_e32 v45, 0
	s_mov_b32 s42, exec_lo
	v_cmpx_ne_u32_e32 0, v10
	s_cbranch_execz .LBB2_1556
; %bb.1549:                             ;   in Loop: Header=BB2_1198 Depth=2
	v_bfe_u32 v98, v10, 23, 8
	v_or_b32_e32 v96, 0x800000, v34
	s_delay_alu instid0(VALU_DEP_2) | instskip(SKIP_1) | instid1(VALU_DEP_2)
	v_sub_nc_u32_e32 v10, 0x71, v98
	v_cmp_gt_u32_e32 vcc_lo, 0x72, v98
	v_cndmask_b32_e32 v10, 0, v10, vcc_lo
	v_cmp_eq_u32_e32 vcc_lo, 0, v98
	s_delay_alu instid0(VALU_DEP_2) | instskip(NEXT) | instid1(VALU_DEP_1)
	v_cndmask_b32_e64 v99, v10, 0x70, vcc_lo
	v_dual_cndmask_b32 v34, v96, v34, vcc_lo :: v_dual_add_nc_u32 v10, 21, v99
	v_add_nc_u32_e32 v97, 20, v99
	s_delay_alu instid0(VALU_DEP_2) | instskip(NEXT) | instid1(VALU_DEP_2)
	v_lshlrev_b64_e64 v[10:11], v10, -1
	v_lshlrev_b64_e64 v[96:97], v97, 1
	s_delay_alu instid0(VALU_DEP_2) | instskip(NEXT) | instid1(VALU_DEP_3)
	v_bfi_b32 v75, v11, 0, 0
	v_bfi_b32 v74, v10, 0, v34
	v_lshrrev_b64 v[10:11], v99, v[34:35]
	s_delay_alu instid0(VALU_DEP_2) | instskip(NEXT) | instid1(VALU_DEP_2)
	v_cmp_eq_u64_e64 s10, v[74:75], v[96:97]
	v_mov_b64_e32 v[96:97], v[10:11]
	s_and_saveexec_b32 s43, s10
; %bb.1550:                             ;   in Loop: Header=BB2_1198 Depth=2
	v_bfe_u32 v34, v10, 21, 1
	s_delay_alu instid0(VALU_DEP_1) | instskip(NEXT) | instid1(VALU_DEP_1)
	v_add_nc_u64_e32 v[96:97], v[10:11], v[34:35]
	v_add_nc_u64_e32 v[96:97], -1, v[96:97]
; %bb.1551:                             ;   in Loop: Header=BB2_1198 Depth=2
	s_or_b32 exec_lo, exec_lo, s43
	v_add_nc_u32_e32 v11, 0xffffff81, v98
	v_lshrrev_b32_e32 v34, 23, v10
	s_mov_b32 s10, exec_lo
	s_delay_alu instid0(VALU_DEP_2) | instskip(NEXT) | instid1(VALU_DEP_1)
	v_cndmask_b32_e64 v11, v11, 0xffffff82, vcc_lo
	v_add3_u32 v97, v99, v11, v34
	v_and_b32_e32 v11, 0x1fffff, v96
                                        ; implicit-def: $vgpr96
	s_delay_alu instid0(VALU_DEP_1) | instskip(NEXT) | instid1(VALU_DEP_1)
	v_dual_add_nc_u32 v98, 14, v97 :: v_dual_add_nc_u32 v34, v11, v10
                                        ; implicit-def: $vgpr10_vgpr11
	v_cmpx_ne_u32_e32 0, v98
	s_xor_b32 s10, exec_lo, s10
; %bb.1552:                             ;   in Loop: Header=BB2_1198 Depth=2
	s_delay_alu instid0(VALU_DEP_2) | instskip(SKIP_1) | instid1(VALU_DEP_1)
	v_cmp_lt_u64_e32 vcc_lo, 0xffffff, v[34:35]
	v_add_nc_u32_e32 v10, 15, v97
	v_cndmask_b32_e32 v96, v98, v10, vcc_lo
	v_cndmask_b32_e64 v10, 0, 1, vcc_lo
	s_delay_alu instid0(VALU_DEP_1)
	v_lshrrev_b64 v[10:11], v10, v[34:35]
; %bb.1553:                             ;   in Loop: Header=BB2_1198 Depth=2
	s_and_not1_saveexec_b32 s10, s10
; %bb.1554:                             ;   in Loop: Header=BB2_1198 Depth=2
	v_mov_b64_e32 v[10:11], v[34:35]
	v_bfe_u32 v96, v34, 23, 1
; %bb.1555:                             ;   in Loop: Header=BB2_1198 Depth=2
	s_or_b32 exec_lo, exec_lo, s10
	s_delay_alu instid0(VALU_DEP_2) | instskip(NEXT) | instid1(VALU_DEP_2)
	v_lshrrev_b64 v[10:11], 21, v[10:11]
	v_cmp_gt_i32_e32 vcc_lo, 32, v96
	v_min_i32_e32 v34, 31, v96
	v_cmp_eq_u32_e64 s10, 0, v96
	s_delay_alu instid0(VALU_DEP_2) | instskip(SKIP_1) | instid1(VALU_DEP_2)
	v_dual_cndmask_b32 v11, 0, v11 :: v_dual_lshlrev_b32 v34, 2, v34
	v_cndmask_b32_e32 v10, 3, v10, vcc_lo
	v_and_b32_e32 v34, 0xfc, v34
	s_delay_alu instid0(VALU_DEP_2) | instskip(NEXT) | instid1(VALU_DEP_2)
	v_cmp_eq_u64_e32 vcc_lo, 0, v[10:11]
	v_and_or_b32 v10, v10, 3, v34
	s_and_b32 s10, s10, vcc_lo
	s_delay_alu instid0(VALU_DEP_1) | instid1(SALU_CYCLE_1)
	v_cndmask_b32_e64 v10, v10, 0, s10
	s_delay_alu instid0(VALU_DEP_1)
	v_or_b32_e32 v45, v10, v30
.LBB2_1556:                             ;   in Loop: Header=BB2_1198 Depth=2
	s_or_b32 exec_lo, exec_lo, s42
                                        ; implicit-def: $vgpr30
.LBB2_1557:                             ;   in Loop: Header=BB2_1198 Depth=2
	s_and_not1_saveexec_b32 s10, s41
; %bb.1558:                             ;   in Loop: Header=BB2_1198 Depth=2
	v_or_b32_e32 v45, 0x7b, v30
; %bb.1559:                             ;   in Loop: Header=BB2_1198 Depth=2
	s_or_b32 exec_lo, exec_lo, s10
                                        ; implicit-def: $vgpr10
                                        ; implicit-def: $vgpr11
.LBB2_1560:                             ;   in Loop: Header=BB2_1198 Depth=2
	s_and_not1_saveexec_b32 s10, s40
	s_cbranch_execz .LBB2_1566
; %bb.1561:                             ;   in Loop: Header=BB2_1198 Depth=2
	s_mov_b32 s40, exec_lo
                                        ; implicit-def: $vgpr45
	v_cmpx_ne_u64_e32 0, v[34:35]
	s_xor_b32 s40, exec_lo, s40
; %bb.1562:                             ;   in Loop: Header=BB2_1198 Depth=2
	v_or_b32_e32 v45, 0x7f, v11
                                        ; implicit-def: $vgpr10
; %bb.1563:                             ;   in Loop: Header=BB2_1198 Depth=2
	s_and_not1_saveexec_b32 s40, s40
; %bb.1564:                             ;   in Loop: Header=BB2_1198 Depth=2
	v_cmp_lt_i32_e32 vcc_lo, -1, v10
	v_cndmask_b32_e32 v45, 0xfc, v63, vcc_lo
; %bb.1565:                             ;   in Loop: Header=BB2_1198 Depth=2
	s_or_b32 exec_lo, exec_lo, s40
.LBB2_1566:                             ;   in Loop: Header=BB2_1198 Depth=2
	s_delay_alu instid0(SALU_CYCLE_1) | instskip(SKIP_3) | instid1(VALU_DEP_2)
	s_or_b32 exec_lo, exec_lo, s10
	v_and_b32_e32 v11, 0xff, v13
	v_dual_mov_b32 v34, v13 :: v_dual_mov_b32 v10, 0
	s_mov_b32 s10, exec_lo
	v_cmpx_ne_u16_e32 0, v11
	s_cbranch_execz .LBB2_1576
; %bb.1567:                             ;   in Loop: Header=BB2_1198 Depth=2
	v_bfrev_b32_e32 v10, 1
	s_mov_b32 s40, exec_lo
	v_cmpx_ne_u16_e32 0x80, v11
	s_cbranch_execz .LBB2_1575
; %bb.1568:                             ;   in Loop: Header=BB2_1198 Depth=2
	v_and_b32_e32 v10, 0x7c, v13
	v_and_b32_e32 v11, 3, v13
	s_delay_alu instid0(VALU_DEP_2) | instskip(SKIP_1) | instid1(SALU_CYCLE_1)
	v_cmp_ne_u32_e32 vcc_lo, 0x7c, v10
                                        ; implicit-def: $vgpr10
	s_and_saveexec_b32 s41, vcc_lo
	s_xor_b32 s41, exec_lo, s41
	s_cbranch_execz .LBB2_1572
; %bb.1569:                             ;   in Loop: Header=BB2_1198 Depth=2
	v_bfe_u32 v10, v13, 2, 5
	s_mov_b32 s42, exec_lo
	s_delay_alu instid0(VALU_DEP_1)
	v_cmpx_eq_u32_e32 0, v10
; %bb.1570:                             ;   in Loop: Header=BB2_1198 Depth=2
	v_clz_i32_u32_e32 v10, v11
	s_delay_alu instid0(VALU_DEP_1) | instskip(NEXT) | instid1(VALU_DEP_1)
	v_min_u32_e32 v10, 32, v10
	v_subrev_nc_u32_e32 v11, 29, v10
	s_delay_alu instid0(VALU_DEP_1) | instskip(NEXT) | instid1(VALU_DEP_1)
	v_lshlrev_b64_e32 v[96:97], v11, v[34:35]
	v_dual_sub_nc_u32 v10, 30, v10 :: v_dual_bitop2_b32 v11, 3, v96 bitop3:0x40
; %bb.1571:                             ;   in Loop: Header=BB2_1198 Depth=2
	s_or_b32 exec_lo, exec_lo, s42
	v_lshlrev_b32_e32 v30, 24, v13
	s_delay_alu instid0(VALU_DEP_1) | instskip(NEXT) | instid1(VALU_DEP_1)
	v_and_b32_e32 v30, 0x80000000, v30
	v_lshl_add_u32 v10, v10, 23, v30
	s_delay_alu instid0(VALU_DEP_1) | instskip(NEXT) | instid1(VALU_DEP_1)
	v_lshl_or_b32 v10, v11, 21, v10
                                        ; implicit-def: $vgpr11
	v_add_nc_u32_e32 v10, 0x38000000, v10
.LBB2_1572:                             ;   in Loop: Header=BB2_1198 Depth=2
	s_and_not1_saveexec_b32 s41, s41
; %bb.1573:                             ;   in Loop: Header=BB2_1198 Depth=2
	v_bfe_i32 v10, v13, 0, 8
	s_delay_alu instid0(VALU_DEP_1) | instskip(SKIP_2) | instid1(VALU_DEP_2)
	v_cmp_lt_i16_e32 vcc_lo, -1, v10
	v_cndmask_b32_e32 v10, 0xff800000, v62, vcc_lo
	v_cmp_eq_u32_e32 vcc_lo, 0, v11
	v_cndmask_b32_e32 v10, 0x7f800001, v10, vcc_lo
; %bb.1574:                             ;   in Loop: Header=BB2_1198 Depth=2
	s_or_b32 exec_lo, exec_lo, s41
.LBB2_1575:                             ;   in Loop: Header=BB2_1198 Depth=2
	s_delay_alu instid0(SALU_CYCLE_1)
	s_or_b32 exec_lo, exec_lo, s40
.LBB2_1576:                             ;   in Loop: Header=BB2_1198 Depth=2
	s_delay_alu instid0(SALU_CYCLE_1) | instskip(NEXT) | instid1(VALU_DEP_1)
	s_or_b32 exec_lo, exec_lo, s10
	v_dual_mul_f32 v96, s29, v10 :: v_dual_mov_b32 v99, v35
	v_mov_b32_e32 v11, v35
                                        ; implicit-def: $vgpr114
	s_mov_b32 s10, exec_lo
	s_delay_alu instid0(VALU_DEP_2) | instskip(SKIP_2) | instid1(VALU_DEP_3)
	v_and_b32_e32 v98, 0x7f800000, v96
	v_and_b32_e32 v10, 0x7fffff, v96
	v_lshrrev_b32_e32 v30, 24, v96
	v_cmpx_ne_u64_e32 0x7f800000, v[98:99]
	s_xor_b32 s40, exec_lo, s10
	s_cbranch_execz .LBB2_1590
; %bb.1577:                             ;   in Loop: Header=BB2_1198 Depth=2
	v_and_b32_e32 v98, 0x7fffffff, v96
	v_mov_b32_e32 v99, v35
	v_and_b32_e32 v30, 0x80, v30
                                        ; implicit-def: $vgpr114
	s_mov_b32 s10, exec_lo
	s_delay_alu instid0(VALU_DEP_2)
	v_cmpx_gt_u64_e32 0x47600001, v[98:99]
	s_xor_b32 s41, exec_lo, s10
	s_cbranch_execz .LBB2_1587
; %bb.1578:                             ;   in Loop: Header=BB2_1198 Depth=2
	v_mov_b32_e32 v114, 0
	s_mov_b32 s42, exec_lo
	v_cmpx_ne_u32_e32 0, v96
	s_cbranch_execz .LBB2_1586
; %bb.1579:                             ;   in Loop: Header=BB2_1198 Depth=2
	v_bfe_u32 v98, v96, 23, 8
	v_or_b32_e32 v114, 0x800000, v10
	s_delay_alu instid0(VALU_DEP_2) | instskip(SKIP_1) | instid1(VALU_DEP_2)
	v_sub_nc_u32_e32 v96, 0x71, v98
	v_cmp_gt_u32_e32 vcc_lo, 0x72, v98
	v_cndmask_b32_e32 v96, 0, v96, vcc_lo
	v_cmp_eq_u32_e32 vcc_lo, 0, v98
	s_delay_alu instid0(VALU_DEP_2) | instskip(NEXT) | instid1(VALU_DEP_1)
	v_cndmask_b32_e64 v99, v96, 0x70, vcc_lo
	v_dual_cndmask_b32 v10, v114, v10, vcc_lo :: v_dual_add_nc_u32 v96, 21, v99
	v_add_nc_u32_e32 v117, 20, v99
	s_delay_alu instid0(VALU_DEP_2) | instskip(NEXT) | instid1(VALU_DEP_2)
	v_lshlrev_b64_e64 v[96:97], v96, -1
	v_lshlrev_b64_e64 v[74:75], v117, 1
	s_delay_alu instid0(VALU_DEP_2) | instskip(SKIP_1) | instid1(VALU_DEP_4)
	v_bfi_b32 v96, v96, 0, v10
	v_lshrrev_b64 v[10:11], v99, v[10:11]
	v_bfi_b32 v97, v97, 0, 0
	s_delay_alu instid0(VALU_DEP_1) | instskip(NEXT) | instid1(VALU_DEP_3)
	v_cmp_eq_u64_e64 s10, v[96:97], v[74:75]
	v_mov_b64_e32 v[96:97], v[10:11]
	s_and_saveexec_b32 s43, s10
; %bb.1580:                             ;   in Loop: Header=BB2_1198 Depth=2
	v_bfe_u32 v96, v10, 21, 1
	v_mov_b32_e32 v97, v35
	s_delay_alu instid0(VALU_DEP_1) | instskip(NEXT) | instid1(VALU_DEP_1)
	v_add_nc_u64_e32 v[96:97], v[10:11], v[96:97]
	v_add_nc_u64_e32 v[96:97], -1, v[96:97]
; %bb.1581:                             ;   in Loop: Header=BB2_1198 Depth=2
	s_or_b32 exec_lo, exec_lo, s43
	v_add_nc_u32_e32 v11, 0xffffff81, v98
	v_lshrrev_b32_e32 v97, 23, v10
	s_mov_b32 s10, exec_lo
	s_delay_alu instid0(VALU_DEP_2) | instskip(NEXT) | instid1(VALU_DEP_1)
	v_cndmask_b32_e64 v11, v11, 0xffffff82, vcc_lo
	v_add3_u32 v97, v99, v11, v97
	v_and_b32_e32 v11, 0x1fffff, v96
                                        ; implicit-def: $vgpr96
	s_delay_alu instid0(VALU_DEP_1) | instskip(SKIP_1) | instid1(VALU_DEP_2)
	v_dual_add_nc_u32 v98, 14, v97 :: v_dual_add_nc_u32 v10, v11, v10
	v_mov_b32_e32 v11, v35
	v_cmpx_ne_u32_e32 0, v98
	s_xor_b32 s10, exec_lo, s10
; %bb.1582:                             ;   in Loop: Header=BB2_1198 Depth=2
	s_delay_alu instid0(VALU_DEP_2) | instskip(SKIP_2) | instid1(VALU_DEP_2)
	v_cmp_lt_u64_e32 vcc_lo, 0xffffff, v[10:11]
	v_add_nc_u32_e32 v96, 15, v97
	v_cndmask_b32_e64 v97, 0, 1, vcc_lo
	v_cndmask_b32_e32 v96, v98, v96, vcc_lo
	s_delay_alu instid0(VALU_DEP_2)
	v_lshrrev_b64 v[10:11], v97, v[10:11]
; %bb.1583:                             ;   in Loop: Header=BB2_1198 Depth=2
	s_and_not1_saveexec_b32 s10, s10
; %bb.1584:                             ;   in Loop: Header=BB2_1198 Depth=2
	s_delay_alu instid0(VALU_DEP_1)
	v_bfe_u32 v96, v10, 23, 1
; %bb.1585:                             ;   in Loop: Header=BB2_1198 Depth=2
	s_or_b32 exec_lo, exec_lo, s10
	s_delay_alu instid0(VALU_DEP_2) | instskip(NEXT) | instid1(VALU_DEP_2)
	v_lshrrev_b64 v[10:11], 21, v[10:11]
	v_cmp_gt_i32_e32 vcc_lo, 32, v96
	v_min_i32_e32 v97, 31, v96
	v_cmp_eq_u32_e64 s10, 0, v96
	s_delay_alu instid0(VALU_DEP_2) | instskip(SKIP_1) | instid1(VALU_DEP_2)
	v_dual_cndmask_b32 v11, 0, v11, vcc_lo :: v_dual_lshlrev_b32 v97, 2, v97
	v_cndmask_b32_e32 v10, 3, v10, vcc_lo
	v_and_b32_e32 v97, 0xfc, v97
	s_delay_alu instid0(VALU_DEP_2) | instskip(NEXT) | instid1(VALU_DEP_2)
	v_cmp_eq_u64_e32 vcc_lo, 0, v[10:11]
	v_and_or_b32 v10, v10, 3, v97
	s_and_b32 s10, s10, vcc_lo
	s_delay_alu instid0(VALU_DEP_1) | instid1(SALU_CYCLE_1)
	v_cndmask_b32_e64 v10, v10, 0, s10
	s_delay_alu instid0(VALU_DEP_1)
	v_or_b32_e32 v114, v10, v30
.LBB2_1586:                             ;   in Loop: Header=BB2_1198 Depth=2
	s_or_b32 exec_lo, exec_lo, s42
                                        ; implicit-def: $vgpr30
.LBB2_1587:                             ;   in Loop: Header=BB2_1198 Depth=2
	s_and_not1_saveexec_b32 s10, s41
; %bb.1588:                             ;   in Loop: Header=BB2_1198 Depth=2
	v_or_b32_e32 v114, 0x7b, v30
; %bb.1589:                             ;   in Loop: Header=BB2_1198 Depth=2
	s_or_b32 exec_lo, exec_lo, s10
                                        ; implicit-def: $vgpr96
                                        ; implicit-def: $vgpr10_vgpr11
                                        ; implicit-def: $vgpr30
.LBB2_1590:                             ;   in Loop: Header=BB2_1198 Depth=2
	s_and_not1_saveexec_b32 s10, s40
	s_cbranch_execz .LBB2_1596
; %bb.1591:                             ;   in Loop: Header=BB2_1198 Depth=2
	s_mov_b32 s40, exec_lo
                                        ; implicit-def: $vgpr114
	v_cmpx_ne_u64_e32 0, v[10:11]
	s_xor_b32 s40, exec_lo, s40
; %bb.1592:                             ;   in Loop: Header=BB2_1198 Depth=2
	v_or_b32_e32 v114, 0x7f, v30
                                        ; implicit-def: $vgpr96
; %bb.1593:                             ;   in Loop: Header=BB2_1198 Depth=2
	s_and_not1_saveexec_b32 s40, s40
; %bb.1594:                             ;   in Loop: Header=BB2_1198 Depth=2
	v_cmp_lt_i32_e32 vcc_lo, -1, v96
	v_cndmask_b32_e32 v114, 0xfc, v63, vcc_lo
; %bb.1595:                             ;   in Loop: Header=BB2_1198 Depth=2
	s_or_b32 exec_lo, exec_lo, s40
.LBB2_1596:                             ;   in Loop: Header=BB2_1198 Depth=2
	s_delay_alu instid0(SALU_CYCLE_1) | instskip(SKIP_3) | instid1(VALU_DEP_2)
	s_or_b32 exec_lo, exec_lo, s10
	v_lshrrev_b16 v10, 8, v34
	v_mov_b32_e32 v30, 0
	s_mov_b32 s10, exec_lo
	v_cmpx_ne_u16_e32 0, v10
	s_cbranch_execz .LBB2_1606
; %bb.1597:                             ;   in Loop: Header=BB2_1198 Depth=2
	v_bfrev_b32_e32 v30, 1
	s_mov_b32 s40, exec_lo
	v_cmpx_ne_u16_e32 0x80, v10
	s_cbranch_execz .LBB2_1605
; %bb.1598:                             ;   in Loop: Header=BB2_1198 Depth=2
	v_and_b32_e32 v96, 0xffff, v10
	s_delay_alu instid0(VALU_DEP_1) | instskip(SKIP_1) | instid1(VALU_DEP_2)
	v_and_b32_e32 v30, 0x7c, v96
	v_and_b32_e32 v11, 3, v96
	v_cmp_ne_u32_e32 vcc_lo, 0x7c, v30
                                        ; implicit-def: $vgpr30
	s_and_saveexec_b32 s41, vcc_lo
	s_delay_alu instid0(SALU_CYCLE_1)
	s_xor_b32 s41, exec_lo, s41
	s_cbranch_execz .LBB2_1602
; %bb.1599:                             ;   in Loop: Header=BB2_1198 Depth=2
	v_bfe_u32 v30, v96, 2, 5
	s_mov_b32 s42, exec_lo
	s_delay_alu instid0(VALU_DEP_1)
	v_cmpx_eq_u32_e32 0, v30
	s_cbranch_execz .LBB2_1601
; %bb.1600:                             ;   in Loop: Header=BB2_1198 Depth=2
	v_clz_i32_u32_e32 v11, v11
	s_delay_alu instid0(VALU_DEP_1) | instskip(SKIP_1) | instid1(VALU_DEP_2)
	v_min_u32_e32 v30, 32, v11
	v_mov_b32_e32 v11, v35
	v_subrev_nc_u32_e32 v96, 29, v30
	v_sub_nc_u32_e32 v30, 30, v30
	s_delay_alu instid0(VALU_DEP_2) | instskip(NEXT) | instid1(VALU_DEP_1)
	v_lshlrev_b64_e32 v[10:11], v96, v[10:11]
	v_and_b32_e32 v11, 3, v10
.LBB2_1601:                             ;   in Loop: Header=BB2_1198 Depth=2
	s_or_b32 exec_lo, exec_lo, s42
	v_lshlrev_b32_e32 v10, 16, v34
	s_delay_alu instid0(VALU_DEP_1) | instskip(NEXT) | instid1(VALU_DEP_1)
	v_and_b32_e32 v10, 0x80000000, v10
	v_lshl_add_u32 v10, v30, 23, v10
	s_delay_alu instid0(VALU_DEP_1) | instskip(NEXT) | instid1(VALU_DEP_1)
	v_lshl_or_b32 v10, v11, 21, v10
                                        ; implicit-def: $vgpr11
	v_add_nc_u32_e32 v30, 0x38000000, v10
.LBB2_1602:                             ;   in Loop: Header=BB2_1198 Depth=2
	s_and_not1_saveexec_b32 s41, s41
; %bb.1603:                             ;   in Loop: Header=BB2_1198 Depth=2
	v_cmp_lt_i16_e32 vcc_lo, -1, v34
	v_cndmask_b32_e32 v10, 0xff800000, v62, vcc_lo
	v_cmp_eq_u32_e32 vcc_lo, 0, v11
	s_delay_alu instid0(VALU_DEP_2)
	v_cndmask_b32_e32 v30, 0x7f800001, v10, vcc_lo
; %bb.1604:                             ;   in Loop: Header=BB2_1198 Depth=2
	s_or_b32 exec_lo, exec_lo, s41
.LBB2_1605:                             ;   in Loop: Header=BB2_1198 Depth=2
	s_delay_alu instid0(SALU_CYCLE_1)
	s_or_b32 exec_lo, exec_lo, s40
.LBB2_1606:                             ;   in Loop: Header=BB2_1198 Depth=2
	s_delay_alu instid0(SALU_CYCLE_1) | instskip(NEXT) | instid1(VALU_DEP_1)
	s_or_b32 exec_lo, exec_lo, s10
	v_dual_mul_f32 v10, s29, v30 :: v_dual_mov_b32 v97, v35
                                        ; implicit-def: $vgpr117
	s_mov_b32 s10, exec_lo
	s_delay_alu instid0(VALU_DEP_1) | instskip(SKIP_2) | instid1(VALU_DEP_3)
	v_and_b32_e32 v96, 0x7f800000, v10
	v_and_b32_e32 v34, 0x7fffff, v10
	v_lshrrev_b32_e32 v11, 24, v10
	v_cmpx_ne_u64_e32 0x7f800000, v[96:97]
	s_xor_b32 s40, exec_lo, s10
	s_cbranch_execz .LBB2_1620
; %bb.1607:                             ;   in Loop: Header=BB2_1198 Depth=2
	v_and_b32_e32 v96, 0x7fffffff, v10
	v_mov_b32_e32 v97, v35
	v_and_b32_e32 v30, 0x80, v11
                                        ; implicit-def: $vgpr117
	s_mov_b32 s10, exec_lo
	s_delay_alu instid0(VALU_DEP_2)
	v_cmpx_gt_u64_e32 0x47600001, v[96:97]
	s_xor_b32 s41, exec_lo, s10
	s_cbranch_execz .LBB2_1617
; %bb.1608:                             ;   in Loop: Header=BB2_1198 Depth=2
	v_mov_b32_e32 v117, 0
	s_mov_b32 s42, exec_lo
	v_cmpx_ne_u32_e32 0, v10
	s_cbranch_execz .LBB2_1616
; %bb.1609:                             ;   in Loop: Header=BB2_1198 Depth=2
	v_bfe_u32 v98, v10, 23, 8
	v_or_b32_e32 v96, 0x800000, v34
	s_delay_alu instid0(VALU_DEP_2) | instskip(SKIP_1) | instid1(VALU_DEP_2)
	v_sub_nc_u32_e32 v10, 0x71, v98
	v_cmp_gt_u32_e32 vcc_lo, 0x72, v98
	v_cndmask_b32_e32 v10, 0, v10, vcc_lo
	v_cmp_eq_u32_e32 vcc_lo, 0, v98
	s_delay_alu instid0(VALU_DEP_2) | instskip(NEXT) | instid1(VALU_DEP_1)
	v_cndmask_b32_e64 v99, v10, 0x70, vcc_lo
	v_dual_cndmask_b32 v34, v96, v34, vcc_lo :: v_dual_add_nc_u32 v10, 21, v99
	v_add_nc_u32_e32 v97, 20, v99
	s_delay_alu instid0(VALU_DEP_2) | instskip(NEXT) | instid1(VALU_DEP_2)
	v_lshlrev_b64_e64 v[10:11], v10, -1
	v_lshlrev_b64_e64 v[96:97], v97, 1
	s_delay_alu instid0(VALU_DEP_2) | instskip(NEXT) | instid1(VALU_DEP_3)
	v_bfi_b32 v75, v11, 0, 0
	v_bfi_b32 v74, v10, 0, v34
	v_lshrrev_b64 v[10:11], v99, v[34:35]
	s_delay_alu instid0(VALU_DEP_2) | instskip(NEXT) | instid1(VALU_DEP_2)
	v_cmp_eq_u64_e64 s10, v[74:75], v[96:97]
	v_mov_b64_e32 v[96:97], v[10:11]
	s_and_saveexec_b32 s43, s10
; %bb.1610:                             ;   in Loop: Header=BB2_1198 Depth=2
	v_bfe_u32 v34, v10, 21, 1
	s_delay_alu instid0(VALU_DEP_1) | instskip(NEXT) | instid1(VALU_DEP_1)
	v_add_nc_u64_e32 v[96:97], v[10:11], v[34:35]
	v_add_nc_u64_e32 v[96:97], -1, v[96:97]
; %bb.1611:                             ;   in Loop: Header=BB2_1198 Depth=2
	s_or_b32 exec_lo, exec_lo, s43
	v_add_nc_u32_e32 v11, 0xffffff81, v98
	v_lshrrev_b32_e32 v34, 23, v10
	s_mov_b32 s10, exec_lo
	s_delay_alu instid0(VALU_DEP_2) | instskip(NEXT) | instid1(VALU_DEP_1)
	v_cndmask_b32_e64 v11, v11, 0xffffff82, vcc_lo
	v_add3_u32 v97, v99, v11, v34
	v_and_b32_e32 v11, 0x1fffff, v96
                                        ; implicit-def: $vgpr96
	s_delay_alu instid0(VALU_DEP_1) | instskip(NEXT) | instid1(VALU_DEP_1)
	v_dual_add_nc_u32 v98, 14, v97 :: v_dual_add_nc_u32 v34, v11, v10
                                        ; implicit-def: $vgpr10_vgpr11
	v_cmpx_ne_u32_e32 0, v98
	s_xor_b32 s10, exec_lo, s10
; %bb.1612:                             ;   in Loop: Header=BB2_1198 Depth=2
	s_delay_alu instid0(VALU_DEP_2) | instskip(SKIP_1) | instid1(VALU_DEP_1)
	v_cmp_lt_u64_e32 vcc_lo, 0xffffff, v[34:35]
	v_add_nc_u32_e32 v10, 15, v97
	v_cndmask_b32_e32 v96, v98, v10, vcc_lo
	v_cndmask_b32_e64 v10, 0, 1, vcc_lo
	s_delay_alu instid0(VALU_DEP_1)
	v_lshrrev_b64 v[10:11], v10, v[34:35]
; %bb.1613:                             ;   in Loop: Header=BB2_1198 Depth=2
	s_and_not1_saveexec_b32 s10, s10
; %bb.1614:                             ;   in Loop: Header=BB2_1198 Depth=2
	v_mov_b64_e32 v[10:11], v[34:35]
	v_bfe_u32 v96, v34, 23, 1
; %bb.1615:                             ;   in Loop: Header=BB2_1198 Depth=2
	s_or_b32 exec_lo, exec_lo, s10
	s_delay_alu instid0(VALU_DEP_2) | instskip(NEXT) | instid1(VALU_DEP_2)
	v_lshrrev_b64 v[10:11], 21, v[10:11]
	v_cmp_gt_i32_e32 vcc_lo, 32, v96
	v_min_i32_e32 v34, 31, v96
	v_cmp_eq_u32_e64 s10, 0, v96
	s_delay_alu instid0(VALU_DEP_2) | instskip(SKIP_1) | instid1(VALU_DEP_2)
	v_dual_cndmask_b32 v11, 0, v11 :: v_dual_lshlrev_b32 v34, 2, v34
	v_cndmask_b32_e32 v10, 3, v10, vcc_lo
	v_and_b32_e32 v34, 0xfc, v34
	s_delay_alu instid0(VALU_DEP_2) | instskip(NEXT) | instid1(VALU_DEP_2)
	v_cmp_eq_u64_e32 vcc_lo, 0, v[10:11]
	v_and_or_b32 v10, v10, 3, v34
	s_and_b32 s10, s10, vcc_lo
	s_delay_alu instid0(VALU_DEP_1) | instid1(SALU_CYCLE_1)
	v_cndmask_b32_e64 v10, v10, 0, s10
	s_delay_alu instid0(VALU_DEP_1)
	v_or_b32_e32 v117, v10, v30
.LBB2_1616:                             ;   in Loop: Header=BB2_1198 Depth=2
	s_or_b32 exec_lo, exec_lo, s42
                                        ; implicit-def: $vgpr30
.LBB2_1617:                             ;   in Loop: Header=BB2_1198 Depth=2
	s_and_not1_saveexec_b32 s10, s41
; %bb.1618:                             ;   in Loop: Header=BB2_1198 Depth=2
	v_or_b32_e32 v117, 0x7b, v30
; %bb.1619:                             ;   in Loop: Header=BB2_1198 Depth=2
	s_or_b32 exec_lo, exec_lo, s10
                                        ; implicit-def: $vgpr10
                                        ; implicit-def: $vgpr11
.LBB2_1620:                             ;   in Loop: Header=BB2_1198 Depth=2
	s_and_not1_saveexec_b32 s10, s40
	s_cbranch_execz .LBB2_1626
; %bb.1621:                             ;   in Loop: Header=BB2_1198 Depth=2
	s_mov_b32 s40, exec_lo
                                        ; implicit-def: $vgpr117
	v_cmpx_ne_u64_e32 0, v[34:35]
	s_xor_b32 s40, exec_lo, s40
; %bb.1622:                             ;   in Loop: Header=BB2_1198 Depth=2
	v_or_b32_e32 v117, 0x7f, v11
                                        ; implicit-def: $vgpr10
; %bb.1623:                             ;   in Loop: Header=BB2_1198 Depth=2
	s_and_not1_saveexec_b32 s40, s40
; %bb.1624:                             ;   in Loop: Header=BB2_1198 Depth=2
	v_cmp_lt_i32_e32 vcc_lo, -1, v10
	v_cndmask_b32_e32 v117, 0xfc, v63, vcc_lo
; %bb.1625:                             ;   in Loop: Header=BB2_1198 Depth=2
	s_or_b32 exec_lo, exec_lo, s40
.LBB2_1626:                             ;   in Loop: Header=BB2_1198 Depth=2
	s_delay_alu instid0(SALU_CYCLE_1) | instskip(SKIP_2) | instid1(VALU_DEP_1)
	s_or_b32 exec_lo, exec_lo, s10
	v_dual_mov_b32 v11, 0 :: v_dual_lshrrev_b32 v10, 16, v13
	s_mov_b32 s10, exec_lo
	v_and_b32_e32 v30, 0xff, v10
	s_delay_alu instid0(VALU_DEP_1)
	v_cmpx_ne_u16_e32 0, v30
	s_cbranch_execz .LBB2_1636
; %bb.1627:                             ;   in Loop: Header=BB2_1198 Depth=2
	v_bfrev_b32_e32 v11, 1
	s_mov_b32 s40, exec_lo
	v_cmpx_ne_u16_e32 0x80, v30
	s_cbranch_execz .LBB2_1635
; %bb.1628:                             ;   in Loop: Header=BB2_1198 Depth=2
	v_and_b32_e32 v11, 0x7c0000, v13
	v_bfe_u32 v30, v13, 16, 2
	s_delay_alu instid0(VALU_DEP_2) | instskip(SKIP_1) | instid1(SALU_CYCLE_1)
	v_cmp_ne_u32_e32 vcc_lo, 0x7c0000, v11
                                        ; implicit-def: $vgpr11
	s_and_saveexec_b32 s41, vcc_lo
	s_xor_b32 s41, exec_lo, s41
	s_cbranch_execz .LBB2_1632
; %bb.1629:                             ;   in Loop: Header=BB2_1198 Depth=2
	v_bfe_u32 v11, v13, 18, 5
	s_mov_b32 s42, exec_lo
	s_delay_alu instid0(VALU_DEP_1)
	v_cmpx_eq_u32_e32 0, v11
; %bb.1630:                             ;   in Loop: Header=BB2_1198 Depth=2
	v_clz_i32_u32_e32 v11, v30
	s_delay_alu instid0(VALU_DEP_1) | instskip(NEXT) | instid1(VALU_DEP_1)
	v_min_u32_e32 v11, 32, v11
	v_subrev_nc_u32_e32 v30, 29, v11
	s_delay_alu instid0(VALU_DEP_1) | instskip(NEXT) | instid1(VALU_DEP_1)
	v_lshlrev_b64_e32 v[96:97], v30, v[10:11]
	v_dual_sub_nc_u32 v11, 30, v11 :: v_dual_bitop2_b32 v30, 3, v96 bitop3:0x40
; %bb.1631:                             ;   in Loop: Header=BB2_1198 Depth=2
	s_or_b32 exec_lo, exec_lo, s42
	v_lshlrev_b32_e32 v10, 24, v10
	s_delay_alu instid0(VALU_DEP_1) | instskip(NEXT) | instid1(VALU_DEP_1)
	v_and_b32_e32 v10, 0x80000000, v10
	v_lshl_add_u32 v10, v11, 23, v10
	s_delay_alu instid0(VALU_DEP_1) | instskip(NEXT) | instid1(VALU_DEP_1)
	v_lshl_or_b32 v10, v30, 21, v10
                                        ; implicit-def: $vgpr30
	v_add_nc_u32_e32 v11, 0x38000000, v10
                                        ; implicit-def: $vgpr10
.LBB2_1632:                             ;   in Loop: Header=BB2_1198 Depth=2
	s_and_not1_saveexec_b32 s41, s41
; %bb.1633:                             ;   in Loop: Header=BB2_1198 Depth=2
	v_bfe_i32 v10, v10, 0, 8
	s_delay_alu instid0(VALU_DEP_1) | instskip(SKIP_2) | instid1(VALU_DEP_2)
	v_cmp_lt_i16_e32 vcc_lo, -1, v10
	v_cndmask_b32_e32 v10, 0xff800000, v62, vcc_lo
	v_cmp_eq_u32_e32 vcc_lo, 0, v30
	v_cndmask_b32_e32 v11, 0x7f800001, v10, vcc_lo
; %bb.1634:                             ;   in Loop: Header=BB2_1198 Depth=2
	s_or_b32 exec_lo, exec_lo, s41
.LBB2_1635:                             ;   in Loop: Header=BB2_1198 Depth=2
	s_delay_alu instid0(SALU_CYCLE_1)
	s_or_b32 exec_lo, exec_lo, s40
.LBB2_1636:                             ;   in Loop: Header=BB2_1198 Depth=2
	s_delay_alu instid0(SALU_CYCLE_1) | instskip(NEXT) | instid1(VALU_DEP_1)
	s_or_b32 exec_lo, exec_lo, s10
	v_dual_mul_f32 v10, s29, v11 :: v_dual_mov_b32 v97, v35
                                        ; implicit-def: $vgpr119
	s_mov_b32 s10, exec_lo
	s_delay_alu instid0(VALU_DEP_1) | instskip(SKIP_2) | instid1(VALU_DEP_3)
	v_and_b32_e32 v96, 0x7f800000, v10
	v_and_b32_e32 v34, 0x7fffff, v10
	v_lshrrev_b32_e32 v11, 24, v10
	v_cmpx_ne_u64_e32 0x7f800000, v[96:97]
	s_xor_b32 s40, exec_lo, s10
	s_cbranch_execz .LBB2_1650
; %bb.1637:                             ;   in Loop: Header=BB2_1198 Depth=2
	v_and_b32_e32 v96, 0x7fffffff, v10
	v_mov_b32_e32 v97, v35
	v_and_b32_e32 v30, 0x80, v11
                                        ; implicit-def: $vgpr119
	s_mov_b32 s10, exec_lo
	s_delay_alu instid0(VALU_DEP_2)
	v_cmpx_gt_u64_e32 0x47600001, v[96:97]
	s_xor_b32 s41, exec_lo, s10
	s_cbranch_execz .LBB2_1647
; %bb.1638:                             ;   in Loop: Header=BB2_1198 Depth=2
	v_mov_b32_e32 v119, 0
	s_mov_b32 s42, exec_lo
	v_cmpx_ne_u32_e32 0, v10
	s_cbranch_execz .LBB2_1646
; %bb.1639:                             ;   in Loop: Header=BB2_1198 Depth=2
	v_bfe_u32 v98, v10, 23, 8
	v_or_b32_e32 v96, 0x800000, v34
	s_delay_alu instid0(VALU_DEP_2) | instskip(SKIP_1) | instid1(VALU_DEP_2)
	v_sub_nc_u32_e32 v10, 0x71, v98
	v_cmp_gt_u32_e32 vcc_lo, 0x72, v98
	v_cndmask_b32_e32 v10, 0, v10, vcc_lo
	v_cmp_eq_u32_e32 vcc_lo, 0, v98
	s_delay_alu instid0(VALU_DEP_2) | instskip(NEXT) | instid1(VALU_DEP_1)
	v_cndmask_b32_e64 v99, v10, 0x70, vcc_lo
	v_dual_cndmask_b32 v34, v96, v34, vcc_lo :: v_dual_add_nc_u32 v10, 21, v99
	v_add_nc_u32_e32 v97, 20, v99
	s_delay_alu instid0(VALU_DEP_2) | instskip(NEXT) | instid1(VALU_DEP_2)
	v_lshlrev_b64_e64 v[10:11], v10, -1
	v_lshlrev_b64_e64 v[96:97], v97, 1
	s_delay_alu instid0(VALU_DEP_2) | instskip(NEXT) | instid1(VALU_DEP_3)
	v_bfi_b32 v75, v11, 0, 0
	v_bfi_b32 v74, v10, 0, v34
	v_lshrrev_b64 v[10:11], v99, v[34:35]
	s_delay_alu instid0(VALU_DEP_2) | instskip(NEXT) | instid1(VALU_DEP_2)
	v_cmp_eq_u64_e64 s10, v[74:75], v[96:97]
	v_mov_b64_e32 v[96:97], v[10:11]
	s_and_saveexec_b32 s43, s10
; %bb.1640:                             ;   in Loop: Header=BB2_1198 Depth=2
	v_bfe_u32 v34, v10, 21, 1
	s_delay_alu instid0(VALU_DEP_1) | instskip(NEXT) | instid1(VALU_DEP_1)
	v_add_nc_u64_e32 v[96:97], v[10:11], v[34:35]
	v_add_nc_u64_e32 v[96:97], -1, v[96:97]
; %bb.1641:                             ;   in Loop: Header=BB2_1198 Depth=2
	s_or_b32 exec_lo, exec_lo, s43
	v_add_nc_u32_e32 v11, 0xffffff81, v98
	v_lshrrev_b32_e32 v34, 23, v10
	s_mov_b32 s10, exec_lo
	s_delay_alu instid0(VALU_DEP_2) | instskip(NEXT) | instid1(VALU_DEP_1)
	v_cndmask_b32_e64 v11, v11, 0xffffff82, vcc_lo
	v_add3_u32 v97, v99, v11, v34
	v_and_b32_e32 v11, 0x1fffff, v96
                                        ; implicit-def: $vgpr96
	s_delay_alu instid0(VALU_DEP_1) | instskip(NEXT) | instid1(VALU_DEP_1)
	v_dual_add_nc_u32 v98, 14, v97 :: v_dual_add_nc_u32 v34, v11, v10
                                        ; implicit-def: $vgpr10_vgpr11
	v_cmpx_ne_u32_e32 0, v98
	s_xor_b32 s10, exec_lo, s10
; %bb.1642:                             ;   in Loop: Header=BB2_1198 Depth=2
	s_delay_alu instid0(VALU_DEP_2) | instskip(SKIP_1) | instid1(VALU_DEP_1)
	v_cmp_lt_u64_e32 vcc_lo, 0xffffff, v[34:35]
	v_add_nc_u32_e32 v10, 15, v97
	v_cndmask_b32_e32 v96, v98, v10, vcc_lo
	v_cndmask_b32_e64 v10, 0, 1, vcc_lo
	s_delay_alu instid0(VALU_DEP_1)
	v_lshrrev_b64 v[10:11], v10, v[34:35]
; %bb.1643:                             ;   in Loop: Header=BB2_1198 Depth=2
	s_and_not1_saveexec_b32 s10, s10
; %bb.1644:                             ;   in Loop: Header=BB2_1198 Depth=2
	v_mov_b64_e32 v[10:11], v[34:35]
	v_bfe_u32 v96, v34, 23, 1
; %bb.1645:                             ;   in Loop: Header=BB2_1198 Depth=2
	s_or_b32 exec_lo, exec_lo, s10
	s_delay_alu instid0(VALU_DEP_2) | instskip(NEXT) | instid1(VALU_DEP_2)
	v_lshrrev_b64 v[10:11], 21, v[10:11]
	v_cmp_gt_i32_e32 vcc_lo, 32, v96
	v_min_i32_e32 v34, 31, v96
	v_cmp_eq_u32_e64 s10, 0, v96
	s_delay_alu instid0(VALU_DEP_2) | instskip(SKIP_1) | instid1(VALU_DEP_2)
	v_dual_cndmask_b32 v11, 0, v11 :: v_dual_lshlrev_b32 v34, 2, v34
	v_cndmask_b32_e32 v10, 3, v10, vcc_lo
	v_and_b32_e32 v34, 0xfc, v34
	s_delay_alu instid0(VALU_DEP_2) | instskip(NEXT) | instid1(VALU_DEP_2)
	v_cmp_eq_u64_e32 vcc_lo, 0, v[10:11]
	v_and_or_b32 v10, v10, 3, v34
	s_and_b32 s10, s10, vcc_lo
	s_delay_alu instid0(VALU_DEP_1) | instid1(SALU_CYCLE_1)
	v_cndmask_b32_e64 v10, v10, 0, s10
	s_delay_alu instid0(VALU_DEP_1)
	v_or_b32_e32 v119, v10, v30
.LBB2_1646:                             ;   in Loop: Header=BB2_1198 Depth=2
	s_or_b32 exec_lo, exec_lo, s42
                                        ; implicit-def: $vgpr30
.LBB2_1647:                             ;   in Loop: Header=BB2_1198 Depth=2
	s_and_not1_saveexec_b32 s10, s41
; %bb.1648:                             ;   in Loop: Header=BB2_1198 Depth=2
	v_or_b32_e32 v119, 0x7b, v30
; %bb.1649:                             ;   in Loop: Header=BB2_1198 Depth=2
	s_or_b32 exec_lo, exec_lo, s10
                                        ; implicit-def: $vgpr10
                                        ; implicit-def: $vgpr11
.LBB2_1650:                             ;   in Loop: Header=BB2_1198 Depth=2
	s_and_not1_saveexec_b32 s10, s40
	s_cbranch_execz .LBB2_1656
; %bb.1651:                             ;   in Loop: Header=BB2_1198 Depth=2
	s_mov_b32 s40, exec_lo
                                        ; implicit-def: $vgpr119
	v_cmpx_ne_u64_e32 0, v[34:35]
	s_xor_b32 s40, exec_lo, s40
; %bb.1652:                             ;   in Loop: Header=BB2_1198 Depth=2
	v_or_b32_e32 v119, 0x7f, v11
                                        ; implicit-def: $vgpr10
; %bb.1653:                             ;   in Loop: Header=BB2_1198 Depth=2
	s_and_not1_saveexec_b32 s40, s40
; %bb.1654:                             ;   in Loop: Header=BB2_1198 Depth=2
	v_cmp_lt_i32_e32 vcc_lo, -1, v10
	v_cndmask_b32_e32 v119, 0xfc, v63, vcc_lo
; %bb.1655:                             ;   in Loop: Header=BB2_1198 Depth=2
	s_or_b32 exec_lo, exec_lo, s40
.LBB2_1656:                             ;   in Loop: Header=BB2_1198 Depth=2
	s_delay_alu instid0(SALU_CYCLE_1)
	s_or_b32 exec_lo, exec_lo, s10
	v_mov_b32_e32 v11, 0
	s_mov_b32 s10, exec_lo
	v_cmpx_lt_u64_e64 s[12:13], v[12:13]
	s_cbranch_execz .LBB2_1666
; %bb.1657:                             ;   in Loop: Header=BB2_1198 Depth=2
	v_lshrrev_b32_e32 v10, 24, v13
	v_bfrev_b32_e32 v11, 1
	s_mov_b32 s40, exec_lo
	s_delay_alu instid0(VALU_DEP_2)
	v_cmpx_ne_u32_e32 0x80, v10
	s_cbranch_execz .LBB2_1665
; %bb.1658:                             ;   in Loop: Header=BB2_1198 Depth=2
	v_and_b32_e32 v11, 0x7c000000, v13
	v_bfe_u32 v30, v13, 24, 2
	s_delay_alu instid0(VALU_DEP_2) | instskip(SKIP_1) | instid1(SALU_CYCLE_1)
	v_cmp_ne_u32_e32 vcc_lo, 0x7c000000, v11
                                        ; implicit-def: $vgpr11
	s_and_saveexec_b32 s41, vcc_lo
	s_xor_b32 s41, exec_lo, s41
	s_cbranch_execz .LBB2_1662
; %bb.1659:                             ;   in Loop: Header=BB2_1198 Depth=2
	v_bfe_u32 v11, v13, 26, 5
	s_mov_b32 s42, exec_lo
	s_delay_alu instid0(VALU_DEP_1)
	v_cmpx_eq_u32_e32 0, v11
; %bb.1660:                             ;   in Loop: Header=BB2_1198 Depth=2
	v_clz_i32_u32_e32 v11, v30
	s_delay_alu instid0(VALU_DEP_1) | instskip(NEXT) | instid1(VALU_DEP_1)
	v_min_u32_e32 v12, 32, v11
	v_subrev_nc_u32_e32 v11, 29, v12
	s_delay_alu instid0(VALU_DEP_1) | instskip(NEXT) | instid1(VALU_DEP_1)
	v_lshlrev_b64_e32 v[10:11], v11, v[10:11]
	v_dual_sub_nc_u32 v11, 30, v12 :: v_dual_bitop2_b32 v30, 3, v10 bitop3:0x40
; %bb.1661:                             ;   in Loop: Header=BB2_1198 Depth=2
	s_or_b32 exec_lo, exec_lo, s42
	v_and_b32_e32 v10, 0x80000000, v13
                                        ; implicit-def: $vgpr12_vgpr13
	s_delay_alu instid0(VALU_DEP_1) | instskip(NEXT) | instid1(VALU_DEP_1)
	v_lshl_add_u32 v10, v11, 23, v10
	v_lshl_or_b32 v10, v30, 21, v10
                                        ; implicit-def: $vgpr30
	s_delay_alu instid0(VALU_DEP_1)
	v_add_nc_u32_e32 v11, 0x38000000, v10
.LBB2_1662:                             ;   in Loop: Header=BB2_1198 Depth=2
	s_and_not1_saveexec_b32 s41, s41
; %bb.1663:                             ;   in Loop: Header=BB2_1198 Depth=2
	v_cmp_lt_i64_e32 vcc_lo, -1, v[12:13]
	v_cndmask_b32_e32 v10, 0xff800000, v62, vcc_lo
	v_cmp_eq_u32_e32 vcc_lo, 0, v30
	s_delay_alu instid0(VALU_DEP_2)
	v_cndmask_b32_e32 v11, 0x7f800001, v10, vcc_lo
; %bb.1664:                             ;   in Loop: Header=BB2_1198 Depth=2
	s_or_b32 exec_lo, exec_lo, s41
.LBB2_1665:                             ;   in Loop: Header=BB2_1198 Depth=2
	s_delay_alu instid0(SALU_CYCLE_1)
	s_or_b32 exec_lo, exec_lo, s40
.LBB2_1666:                             ;   in Loop: Header=BB2_1198 Depth=2
	s_delay_alu instid0(SALU_CYCLE_1) | instskip(NEXT) | instid1(VALU_DEP_1)
	s_or_b32 exec_lo, exec_lo, s10
	v_dual_mul_f32 v10, s29, v11 :: v_dual_mov_b32 v13, v35
                                        ; implicit-def: $vgpr42
	s_mov_b32 s10, exec_lo
	s_delay_alu instid0(VALU_DEP_1) | instskip(SKIP_2) | instid1(VALU_DEP_3)
	v_and_b32_e32 v12, 0x7f800000, v10
	v_and_b32_e32 v34, 0x7fffff, v10
	v_lshrrev_b32_e32 v11, 24, v10
	v_cmpx_ne_u64_e32 0x7f800000, v[12:13]
	s_xor_b32 s29, exec_lo, s10
	s_cbranch_execz .LBB2_1680
; %bb.1667:                             ;   in Loop: Header=BB2_1198 Depth=2
	v_and_b32_e32 v12, 0x7fffffff, v10
	v_mov_b32_e32 v13, v35
	v_and_b32_e32 v30, 0x80, v11
                                        ; implicit-def: $vgpr42
	s_mov_b32 s10, exec_lo
	s_delay_alu instid0(VALU_DEP_2)
	v_cmpx_gt_u64_e32 0x47600001, v[12:13]
	s_xor_b32 s40, exec_lo, s10
	s_cbranch_execz .LBB2_1677
; %bb.1668:                             ;   in Loop: Header=BB2_1198 Depth=2
	v_mov_b32_e32 v42, 0
	s_mov_b32 s41, exec_lo
	v_cmpx_ne_u32_e32 0, v10
	s_cbranch_execz .LBB2_1676
; %bb.1669:                             ;   in Loop: Header=BB2_1198 Depth=2
	v_bfe_u32 v96, v10, 23, 8
	v_or_b32_e32 v12, 0x800000, v34
	s_delay_alu instid0(VALU_DEP_2) | instskip(SKIP_1) | instid1(VALU_DEP_2)
	v_sub_nc_u32_e32 v10, 0x71, v96
	v_cmp_gt_u32_e32 vcc_lo, 0x72, v96
	v_cndmask_b32_e32 v10, 0, v10, vcc_lo
	v_cmp_eq_u32_e32 vcc_lo, 0, v96
	s_delay_alu instid0(VALU_DEP_2) | instskip(NEXT) | instid1(VALU_DEP_1)
	v_cndmask_b32_e64 v97, v10, 0x70, vcc_lo
	v_dual_cndmask_b32 v34, v12, v34, vcc_lo :: v_dual_add_nc_u32 v10, 21, v97
	v_add_nc_u32_e32 v13, 20, v97
	s_delay_alu instid0(VALU_DEP_2) | instskip(NEXT) | instid1(VALU_DEP_2)
	v_lshlrev_b64_e64 v[10:11], v10, -1
	v_lshlrev_b64_e64 v[12:13], v13, 1
	s_delay_alu instid0(VALU_DEP_2) | instskip(NEXT) | instid1(VALU_DEP_3)
	v_bfi_b32 v99, v11, 0, 0
	v_bfi_b32 v98, v10, 0, v34
	v_lshrrev_b64 v[10:11], v97, v[34:35]
	s_delay_alu instid0(VALU_DEP_2) | instskip(NEXT) | instid1(VALU_DEP_2)
	v_cmp_eq_u64_e64 s10, v[98:99], v[12:13]
	v_mov_b64_e32 v[12:13], v[10:11]
	s_and_saveexec_b32 s42, s10
; %bb.1670:                             ;   in Loop: Header=BB2_1198 Depth=2
	v_bfe_u32 v34, v10, 21, 1
	s_delay_alu instid0(VALU_DEP_1) | instskip(NEXT) | instid1(VALU_DEP_1)
	v_add_nc_u64_e32 v[12:13], v[10:11], v[34:35]
	v_add_nc_u64_e32 v[12:13], -1, v[12:13]
; %bb.1671:                             ;   in Loop: Header=BB2_1198 Depth=2
	s_or_b32 exec_lo, exec_lo, s42
	v_add_nc_u32_e32 v11, 0xffffff81, v96
	v_lshrrev_b32_e32 v13, 23, v10
	s_mov_b32 s10, exec_lo
	s_delay_alu instid0(VALU_DEP_2) | instskip(NEXT) | instid1(VALU_DEP_1)
	v_cndmask_b32_e64 v11, v11, 0xffffff82, vcc_lo
	v_add3_u32 v13, v97, v11, v13
	v_and_b32_e32 v11, 0x1fffff, v12
                                        ; implicit-def: $vgpr12
	s_delay_alu instid0(VALU_DEP_1) | instskip(NEXT) | instid1(VALU_DEP_1)
	v_dual_add_nc_u32 v96, 14, v13 :: v_dual_add_nc_u32 v34, v11, v10
                                        ; implicit-def: $vgpr10_vgpr11
	v_cmpx_ne_u32_e32 0, v96
	s_xor_b32 s10, exec_lo, s10
; %bb.1672:                             ;   in Loop: Header=BB2_1198 Depth=2
	s_delay_alu instid0(VALU_DEP_2) | instskip(SKIP_1) | instid1(VALU_DEP_1)
	v_cmp_lt_u64_e32 vcc_lo, 0xffffff, v[34:35]
	v_add_nc_u32_e32 v10, 15, v13
	v_cndmask_b32_e32 v12, v96, v10, vcc_lo
	v_cndmask_b32_e64 v10, 0, 1, vcc_lo
	s_delay_alu instid0(VALU_DEP_1)
	v_lshrrev_b64 v[10:11], v10, v[34:35]
; %bb.1673:                             ;   in Loop: Header=BB2_1198 Depth=2
	s_and_not1_saveexec_b32 s10, s10
; %bb.1674:                             ;   in Loop: Header=BB2_1198 Depth=2
	v_mov_b64_e32 v[10:11], v[34:35]
	v_bfe_u32 v12, v34, 23, 1
; %bb.1675:                             ;   in Loop: Header=BB2_1198 Depth=2
	s_or_b32 exec_lo, exec_lo, s10
	s_delay_alu instid0(VALU_DEP_2) | instskip(NEXT) | instid1(VALU_DEP_2)
	v_lshrrev_b64 v[10:11], 21, v[10:11]
	v_cmp_gt_i32_e32 vcc_lo, 32, v12
	v_min_i32_e32 v13, 31, v12
	v_cmp_eq_u32_e64 s10, 0, v12
	s_delay_alu instid0(VALU_DEP_2) | instskip(SKIP_1) | instid1(VALU_DEP_2)
	v_dual_cndmask_b32 v11, 0, v11, vcc_lo :: v_dual_lshlrev_b32 v13, 2, v13
	v_cndmask_b32_e32 v10, 3, v10, vcc_lo
	v_and_b32_e32 v13, 0xfc, v13
	s_delay_alu instid0(VALU_DEP_2) | instskip(NEXT) | instid1(VALU_DEP_2)
	v_cmp_eq_u64_e32 vcc_lo, 0, v[10:11]
	v_and_or_b32 v10, v10, 3, v13
	s_and_b32 s10, s10, vcc_lo
	s_delay_alu instid0(VALU_DEP_1) | instid1(SALU_CYCLE_1)
	v_cndmask_b32_e64 v10, v10, 0, s10
	s_delay_alu instid0(VALU_DEP_1)
	v_or_b32_e32 v42, v10, v30
.LBB2_1676:                             ;   in Loop: Header=BB2_1198 Depth=2
	s_or_b32 exec_lo, exec_lo, s41
                                        ; implicit-def: $vgpr30
.LBB2_1677:                             ;   in Loop: Header=BB2_1198 Depth=2
	s_and_not1_saveexec_b32 s10, s40
; %bb.1678:                             ;   in Loop: Header=BB2_1198 Depth=2
	v_or_b32_e32 v42, 0x7b, v30
; %bb.1679:                             ;   in Loop: Header=BB2_1198 Depth=2
	s_or_b32 exec_lo, exec_lo, s10
                                        ; implicit-def: $vgpr10
                                        ; implicit-def: $vgpr11
.LBB2_1680:                             ;   in Loop: Header=BB2_1198 Depth=2
	s_and_not1_saveexec_b32 s10, s29
	s_cbranch_execz .LBB2_1686
; %bb.1681:                             ;   in Loop: Header=BB2_1198 Depth=2
	s_mov_b32 s29, exec_lo
                                        ; implicit-def: $vgpr42
	v_cmpx_ne_u64_e32 0, v[34:35]
	s_xor_b32 s29, exec_lo, s29
; %bb.1682:                             ;   in Loop: Header=BB2_1198 Depth=2
	v_or_b32_e32 v42, 0x7f, v11
                                        ; implicit-def: $vgpr10
; %bb.1683:                             ;   in Loop: Header=BB2_1198 Depth=2
	s_and_not1_saveexec_b32 s29, s29
; %bb.1684:                             ;   in Loop: Header=BB2_1198 Depth=2
	v_cmp_lt_i32_e32 vcc_lo, -1, v10
	v_cndmask_b32_e32 v42, 0xfc, v63, vcc_lo
; %bb.1685:                             ;   in Loop: Header=BB2_1198 Depth=2
	s_or_b32 exec_lo, exec_lo, s29
.LBB2_1686:                             ;   in Loop: Header=BB2_1198 Depth=2
	s_delay_alu instid0(SALU_CYCLE_1) | instskip(SKIP_4) | instid1(VALU_DEP_1)
	s_or_b32 exec_lo, exec_lo, s10
	global_load_b128 v[10:13], v[86:87], off th:TH_LOAD_NT
	v_lshl_or_b32 v30, v113, 8, v101
	v_dual_lshlrev_b32 v34, 16, v115 :: v_dual_lshlrev_b32 v96, 24, v118
	s_mov_b32 s10, exec_lo
	v_or3_b32 v34, v34, v96, v30
	v_mov_b32_e32 v96, 0
	s_wait_xcnt 0x0
	v_cmpx_ne_u32_e32 0, v101
	s_cbranch_execz .LBB2_1696
; %bb.1687:                             ;   in Loop: Header=BB2_1198 Depth=2
	v_bfrev_b32_e32 v96, 1
	s_mov_b32 s29, exec_lo
	v_cmpx_ne_u32_e32 0x80, v101
	s_cbranch_execz .LBB2_1695
; %bb.1688:                             ;   in Loop: Header=BB2_1198 Depth=2
	v_and_b32_e32 v96, 0x7c, v101
	v_and_b32_e32 v97, 3, v101
	s_delay_alu instid0(VALU_DEP_2) | instskip(SKIP_1) | instid1(SALU_CYCLE_1)
	v_cmp_ne_u32_e32 vcc_lo, 0x7c, v96
                                        ; implicit-def: $vgpr96
	s_and_saveexec_b32 s40, vcc_lo
	s_xor_b32 s40, exec_lo, s40
	s_cbranch_execz .LBB2_1692
; %bb.1689:                             ;   in Loop: Header=BB2_1198 Depth=2
	v_bfe_u32 v96, v101, 2, 5
	s_mov_b32 s41, exec_lo
	s_delay_alu instid0(VALU_DEP_1)
	v_cmpx_eq_u32_e32 0, v96
; %bb.1690:                             ;   in Loop: Header=BB2_1198 Depth=2
	v_clz_i32_u32_e32 v96, v97
	s_delay_alu instid0(VALU_DEP_1) | instskip(NEXT) | instid1(VALU_DEP_1)
	v_min_u32_e32 v96, 32, v96
	v_subrev_nc_u32_e32 v97, 29, v96
	s_delay_alu instid0(VALU_DEP_1) | instskip(NEXT) | instid1(VALU_DEP_1)
	v_lshlrev_b64_e32 v[98:99], v97, v[34:35]
	v_dual_sub_nc_u32 v96, 30, v96 :: v_dual_bitop2_b32 v97, 3, v98 bitop3:0x40
; %bb.1691:                             ;   in Loop: Header=BB2_1198 Depth=2
	s_or_b32 exec_lo, exec_lo, s41
	v_lshlrev_b32_e32 v98, 24, v101
                                        ; implicit-def: $vgpr101
	s_delay_alu instid0(VALU_DEP_1) | instskip(NEXT) | instid1(VALU_DEP_1)
	v_and_b32_e32 v98, 0x80000000, v98
	v_lshl_add_u32 v96, v96, 23, v98
	s_delay_alu instid0(VALU_DEP_1) | instskip(NEXT) | instid1(VALU_DEP_1)
	v_lshl_or_b32 v96, v97, 21, v96
                                        ; implicit-def: $vgpr97
	v_add_nc_u32_e32 v96, 0x38000000, v96
.LBB2_1692:                             ;   in Loop: Header=BB2_1198 Depth=2
	s_and_not1_saveexec_b32 s40, s40
; %bb.1693:                             ;   in Loop: Header=BB2_1198 Depth=2
	v_and_b32_e32 v96, 0x80, v101
	s_delay_alu instid0(VALU_DEP_1) | instskip(SKIP_2) | instid1(VALU_DEP_2)
	v_cmp_eq_u32_e32 vcc_lo, 0, v96
	v_cndmask_b32_e32 v96, 0xff800000, v62, vcc_lo
	v_cmp_eq_u32_e32 vcc_lo, 0, v97
	v_cndmask_b32_e32 v96, 0x7f800001, v96, vcc_lo
; %bb.1694:                             ;   in Loop: Header=BB2_1198 Depth=2
	s_or_b32 exec_lo, exec_lo, s40
.LBB2_1695:                             ;   in Loop: Header=BB2_1198 Depth=2
	s_delay_alu instid0(SALU_CYCLE_1)
	s_or_b32 exec_lo, exec_lo, s29
.LBB2_1696:                             ;   in Loop: Header=BB2_1198 Depth=2
	s_delay_alu instid0(SALU_CYCLE_1) | instskip(SKIP_4) | instid1(VALU_DEP_1)
	s_or_b32 exec_lo, exec_lo, s10
	s_wait_loadcnt 0x0
	v_and_b32_e32 v98, 0xff, v10
	s_mov_b32 s29, 0
	s_mov_b32 s10, exec_lo
	v_cmpx_lt_i16_e32 0x7f, v98
	s_xor_b32 s10, exec_lo, s10
	s_cbranch_execnz .LBB2_2213
; %bb.1697:                             ;   in Loop: Header=BB2_1198 Depth=2
	s_or_saveexec_b32 s10, s10
	v_bfrev_b32_e32 v97, 1
	s_xor_b32 exec_lo, exec_lo, s10
	s_cbranch_execnz .LBB2_2216
.LBB2_1698:                             ;   in Loop: Header=BB2_1198 Depth=2
	s_or_b32 exec_lo, exec_lo, s10
	s_and_saveexec_b32 s10, s29
	s_cbranch_execz .LBB2_1700
.LBB2_1699:                             ;   in Loop: Header=BB2_1198 Depth=2
	v_and_b32_e32 v97, 3, v10
	v_bfe_u32 v113, v10, 2, 5
	s_delay_alu instid0(VALU_DEP_2) | instskip(NEXT) | instid1(VALU_DEP_2)
	v_clz_i32_u32_e32 v98, v97
	v_cmp_eq_u32_e32 vcc_lo, 0, v113
	s_delay_alu instid0(VALU_DEP_2) | instskip(NEXT) | instid1(VALU_DEP_1)
	v_min_u32_e32 v101, 32, v98
	v_subrev_nc_u32_e32 v98, 29, v101
	s_delay_alu instid0(VALU_DEP_1) | instskip(SKIP_1) | instid1(VALU_DEP_1)
	v_lshlrev_b64_e32 v[98:99], v98, v[10:11]
	v_dual_lshlrev_b32 v99, 24, v10 :: v_dual_sub_nc_u32 v101, 30, v101
	v_and_b32_e32 v99, 0x80000000, v99
	s_delay_alu instid0(VALU_DEP_2) | instskip(SKIP_1) | instid1(VALU_DEP_2)
	v_dual_cndmask_b32 v101, v113, v101, vcc_lo :: v_dual_bitop2_b32 v98, 3, v98 bitop3:0x40
	v_bfe_i32 v113, v10, 0, 8
	v_cndmask_b32_e32 v98, v97, v98, vcc_lo
	s_delay_alu instid0(VALU_DEP_3) | instskip(NEXT) | instid1(VALU_DEP_3)
	v_lshl_add_u32 v99, v101, 23, v99
	v_cmp_lt_i16_e32 vcc_lo, -1, v113
	s_delay_alu instid0(VALU_DEP_2) | instskip(SKIP_3) | instid1(VALU_DEP_4)
	v_lshl_or_b32 v98, v98, 21, v99
	v_cndmask_b32_e32 v101, 0xff800000, v62, vcc_lo
	v_and_b32_e32 v99, 0x7c, v10
	v_cmp_eq_u32_e32 vcc_lo, 0, v97
	v_add_nc_u32_e32 v98, 0x38000000, v98
	s_delay_alu instid0(VALU_DEP_4) | instskip(NEXT) | instid1(VALU_DEP_4)
	v_cndmask_b32_e32 v97, 0x7f800001, v101, vcc_lo
	v_cmp_eq_u32_e32 vcc_lo, 0x7c, v99
	s_delay_alu instid0(VALU_DEP_2)
	v_cndmask_b32_e32 v97, v98, v97, vcc_lo
.LBB2_1700:                             ;   in Loop: Header=BB2_1198 Depth=2
	s_or_b32 exec_lo, exec_lo, s10
	s_delay_alu instid0(VALU_DEP_1) | instskip(SKIP_2) | instid1(VALU_DEP_2)
	v_dual_add_f32 v98, v96, v97 :: v_dual_mov_b32 v75, v35
	v_mov_b32_e32 v97, v35
                                        ; implicit-def: $vgpr113
	s_mov_b32 s10, exec_lo
	v_and_b32_e32 v74, 0x7f800000, v98
	v_and_b32_e32 v96, 0x7fffff, v98
	v_lshrrev_b32_e32 v99, 24, v98
	s_delay_alu instid0(VALU_DEP_3)
	v_cmpx_ne_u64_e32 0x7f800000, v[74:75]
	s_xor_b32 s29, exec_lo, s10
	s_cbranch_execz .LBB2_1714
; %bb.1701:                             ;   in Loop: Header=BB2_1198 Depth=2
	v_and_b32_e32 v74, 0x7fffffff, v98
	v_mov_b32_e32 v75, v35
	v_and_b32_e32 v101, 0x80, v99
                                        ; implicit-def: $vgpr113
	s_mov_b32 s10, exec_lo
	s_delay_alu instid0(VALU_DEP_2)
	v_cmpx_gt_u64_e32 0x47600001, v[74:75]
	s_xor_b32 s40, exec_lo, s10
	s_cbranch_execz .LBB2_1711
; %bb.1702:                             ;   in Loop: Header=BB2_1198 Depth=2
	v_mov_b32_e32 v113, 0
	s_mov_b32 s41, exec_lo
	v_cmpx_ne_u32_e32 0, v98
	s_cbranch_execz .LBB2_1710
; %bb.1703:                             ;   in Loop: Header=BB2_1198 Depth=2
	v_bfe_u32 v113, v98, 23, 8
	v_or_b32_e32 v118, 0x800000, v96
	s_delay_alu instid0(VALU_DEP_2) | instskip(SKIP_1) | instid1(VALU_DEP_2)
	v_sub_nc_u32_e32 v98, 0x71, v113
	v_cmp_gt_u32_e32 vcc_lo, 0x72, v113
	v_cndmask_b32_e32 v98, 0, v98, vcc_lo
	v_cmp_eq_u32_e32 vcc_lo, 0, v113
	s_delay_alu instid0(VALU_DEP_2) | instskip(NEXT) | instid1(VALU_DEP_1)
	v_cndmask_b32_e64 v115, v98, 0x70, vcc_lo
	v_dual_cndmask_b32 v96, v118, v96, vcc_lo :: v_dual_add_nc_u32 v98, 21, v115
	v_add_nc_u32_e32 v41, 20, v115
	s_delay_alu instid0(VALU_DEP_2) | instskip(NEXT) | instid1(VALU_DEP_2)
	v_lshlrev_b64_e64 v[98:99], v98, -1
	v_lshlrev_b64_e64 v[74:75], v41, 1
	s_delay_alu instid0(VALU_DEP_2) | instskip(SKIP_1) | instid1(VALU_DEP_4)
	v_bfi_b32 v98, v98, 0, v96
	v_lshrrev_b64 v[96:97], v115, v[96:97]
	v_bfi_b32 v99, v99, 0, 0
	s_delay_alu instid0(VALU_DEP_1) | instskip(NEXT) | instid1(VALU_DEP_3)
	v_cmp_eq_u64_e64 s10, v[98:99], v[74:75]
	v_mov_b64_e32 v[98:99], v[96:97]
	s_and_saveexec_b32 s42, s10
; %bb.1704:                             ;   in Loop: Header=BB2_1198 Depth=2
	v_bfe_u32 v98, v96, 21, 1
	v_mov_b32_e32 v99, v35
	s_delay_alu instid0(VALU_DEP_1) | instskip(NEXT) | instid1(VALU_DEP_1)
	v_add_nc_u64_e32 v[98:99], v[96:97], v[98:99]
	v_add_nc_u64_e32 v[98:99], -1, v[98:99]
; %bb.1705:                             ;   in Loop: Header=BB2_1198 Depth=2
	s_or_b32 exec_lo, exec_lo, s42
	v_add_nc_u32_e32 v97, 0xffffff81, v113
	v_lshrrev_b32_e32 v99, 23, v96
	s_mov_b32 s10, exec_lo
	s_delay_alu instid0(VALU_DEP_2) | instskip(NEXT) | instid1(VALU_DEP_1)
	v_cndmask_b32_e64 v97, v97, 0xffffff82, vcc_lo
	v_add3_u32 v99, v115, v97, v99
	v_and_b32_e32 v97, 0x1fffff, v98
                                        ; implicit-def: $vgpr98
	s_delay_alu instid0(VALU_DEP_1) | instskip(SKIP_1) | instid1(VALU_DEP_2)
	v_dual_add_nc_u32 v113, 14, v99 :: v_dual_add_nc_u32 v96, v97, v96
	v_mov_b32_e32 v97, v35
	v_cmpx_ne_u32_e32 0, v113
	s_xor_b32 s10, exec_lo, s10
; %bb.1706:                             ;   in Loop: Header=BB2_1198 Depth=2
	s_delay_alu instid0(VALU_DEP_2) | instskip(SKIP_2) | instid1(VALU_DEP_2)
	v_cmp_lt_u64_e32 vcc_lo, 0xffffff, v[96:97]
	v_add_nc_u32_e32 v98, 15, v99
	v_cndmask_b32_e64 v99, 0, 1, vcc_lo
	v_cndmask_b32_e32 v98, v113, v98, vcc_lo
	s_delay_alu instid0(VALU_DEP_2)
	v_lshrrev_b64 v[96:97], v99, v[96:97]
; %bb.1707:                             ;   in Loop: Header=BB2_1198 Depth=2
	s_and_not1_saveexec_b32 s10, s10
; %bb.1708:                             ;   in Loop: Header=BB2_1198 Depth=2
	s_delay_alu instid0(VALU_DEP_1)
	v_bfe_u32 v98, v96, 23, 1
; %bb.1709:                             ;   in Loop: Header=BB2_1198 Depth=2
	s_or_b32 exec_lo, exec_lo, s10
	s_delay_alu instid0(VALU_DEP_2) | instskip(NEXT) | instid1(VALU_DEP_2)
	v_lshrrev_b64 v[96:97], 21, v[96:97]
	v_cmp_gt_i32_e32 vcc_lo, 32, v98
	v_min_i32_e32 v99, 31, v98
	v_cmp_eq_u32_e64 s10, 0, v98
	s_delay_alu instid0(VALU_DEP_2) | instskip(SKIP_1) | instid1(VALU_DEP_2)
	v_dual_cndmask_b32 v97, 0, v97, vcc_lo :: v_dual_lshlrev_b32 v99, 2, v99
	v_cndmask_b32_e32 v96, 3, v96, vcc_lo
	v_and_b32_e32 v99, 0xfc, v99
	s_delay_alu instid0(VALU_DEP_2) | instskip(NEXT) | instid1(VALU_DEP_2)
	v_cmp_eq_u64_e32 vcc_lo, 0, v[96:97]
	v_and_or_b32 v96, v96, 3, v99
	s_and_b32 s10, s10, vcc_lo
	s_delay_alu instid0(VALU_DEP_1) | instid1(SALU_CYCLE_1)
	v_cndmask_b32_e64 v96, v96, 0, s10
	s_delay_alu instid0(VALU_DEP_1)
	v_or_b32_e32 v113, v96, v101
.LBB2_1710:                             ;   in Loop: Header=BB2_1198 Depth=2
	s_or_b32 exec_lo, exec_lo, s41
                                        ; implicit-def: $vgpr101
.LBB2_1711:                             ;   in Loop: Header=BB2_1198 Depth=2
	s_and_not1_saveexec_b32 s10, s40
; %bb.1712:                             ;   in Loop: Header=BB2_1198 Depth=2
	v_or_b32_e32 v113, 0x7b, v101
; %bb.1713:                             ;   in Loop: Header=BB2_1198 Depth=2
	s_or_b32 exec_lo, exec_lo, s10
                                        ; implicit-def: $vgpr98
                                        ; implicit-def: $vgpr96_vgpr97
                                        ; implicit-def: $vgpr99
.LBB2_1714:                             ;   in Loop: Header=BB2_1198 Depth=2
	s_and_not1_saveexec_b32 s10, s29
	s_cbranch_execz .LBB2_1720
; %bb.1715:                             ;   in Loop: Header=BB2_1198 Depth=2
	s_mov_b32 s29, exec_lo
                                        ; implicit-def: $vgpr113
	v_cmpx_ne_u64_e32 0, v[96:97]
	s_xor_b32 s29, exec_lo, s29
; %bb.1716:                             ;   in Loop: Header=BB2_1198 Depth=2
	v_or_b32_e32 v113, 0x7f, v99
                                        ; implicit-def: $vgpr98
; %bb.1717:                             ;   in Loop: Header=BB2_1198 Depth=2
	s_and_not1_saveexec_b32 s29, s29
; %bb.1718:                             ;   in Loop: Header=BB2_1198 Depth=2
	v_cmp_lt_i32_e32 vcc_lo, -1, v98
	v_cndmask_b32_e32 v113, 0xfc, v63, vcc_lo
; %bb.1719:                             ;   in Loop: Header=BB2_1198 Depth=2
	s_or_b32 exec_lo, exec_lo, s29
.LBB2_1720:                             ;   in Loop: Header=BB2_1198 Depth=2
	s_delay_alu instid0(SALU_CYCLE_1) | instskip(SKIP_3) | instid1(VALU_DEP_2)
	s_or_b32 exec_lo, exec_lo, s10
	v_lshrrev_b16 v96, 8, v30
	v_mov_b32_e32 v98, 0
	s_mov_b32 s10, exec_lo
	v_cmpx_ne_u16_e32 0, v96
	s_cbranch_execz .LBB2_1730
; %bb.1721:                             ;   in Loop: Header=BB2_1198 Depth=2
	v_bfrev_b32_e32 v98, 1
	s_mov_b32 s29, exec_lo
	v_cmpx_ne_u16_e32 0x80, v96
	s_cbranch_execz .LBB2_1729
; %bb.1722:                             ;   in Loop: Header=BB2_1198 Depth=2
	v_and_b32_e32 v99, 0xffff, v96
	s_delay_alu instid0(VALU_DEP_1) | instskip(SKIP_1) | instid1(VALU_DEP_2)
	v_and_b32_e32 v98, 0x7c, v99
	v_and_b32_e32 v97, 3, v99
	v_cmp_ne_u32_e32 vcc_lo, 0x7c, v98
                                        ; implicit-def: $vgpr98
	s_and_saveexec_b32 s40, vcc_lo
	s_delay_alu instid0(SALU_CYCLE_1)
	s_xor_b32 s40, exec_lo, s40
	s_cbranch_execz .LBB2_1726
; %bb.1723:                             ;   in Loop: Header=BB2_1198 Depth=2
	v_bfe_u32 v98, v99, 2, 5
	s_mov_b32 s41, exec_lo
	s_delay_alu instid0(VALU_DEP_1)
	v_cmpx_eq_u32_e32 0, v98
	s_cbranch_execz .LBB2_1725
; %bb.1724:                             ;   in Loop: Header=BB2_1198 Depth=2
	v_clz_i32_u32_e32 v97, v97
	s_delay_alu instid0(VALU_DEP_1) | instskip(SKIP_1) | instid1(VALU_DEP_2)
	v_min_u32_e32 v98, 32, v97
	v_mov_b32_e32 v97, v35
	v_subrev_nc_u32_e32 v99, 29, v98
	v_sub_nc_u32_e32 v98, 30, v98
	s_delay_alu instid0(VALU_DEP_2) | instskip(NEXT) | instid1(VALU_DEP_1)
	v_lshlrev_b64_e32 v[96:97], v99, v[96:97]
	v_and_b32_e32 v97, 3, v96
.LBB2_1725:                             ;   in Loop: Header=BB2_1198 Depth=2
	s_or_b32 exec_lo, exec_lo, s41
	v_lshlrev_b32_e32 v30, 16, v30
	s_delay_alu instid0(VALU_DEP_1) | instskip(NEXT) | instid1(VALU_DEP_1)
	v_and_b32_e32 v30, 0x80000000, v30
	v_lshl_add_u32 v30, v98, 23, v30
	s_delay_alu instid0(VALU_DEP_1) | instskip(NEXT) | instid1(VALU_DEP_1)
	v_lshl_or_b32 v30, v97, 21, v30
                                        ; implicit-def: $vgpr97
	v_add_nc_u32_e32 v98, 0x38000000, v30
                                        ; implicit-def: $vgpr30
.LBB2_1726:                             ;   in Loop: Header=BB2_1198 Depth=2
	s_and_not1_saveexec_b32 s40, s40
; %bb.1727:                             ;   in Loop: Header=BB2_1198 Depth=2
	v_cmp_lt_i16_e32 vcc_lo, -1, v30
	v_cndmask_b32_e32 v30, 0xff800000, v62, vcc_lo
	v_cmp_eq_u32_e32 vcc_lo, 0, v97
	s_delay_alu instid0(VALU_DEP_2)
	v_cndmask_b32_e32 v98, 0x7f800001, v30, vcc_lo
; %bb.1728:                             ;   in Loop: Header=BB2_1198 Depth=2
	s_or_b32 exec_lo, exec_lo, s40
.LBB2_1729:                             ;   in Loop: Header=BB2_1198 Depth=2
	s_delay_alu instid0(SALU_CYCLE_1)
	s_or_b32 exec_lo, exec_lo, s29
.LBB2_1730:                             ;   in Loop: Header=BB2_1198 Depth=2
	s_delay_alu instid0(SALU_CYCLE_1) | instskip(SKIP_3) | instid1(VALU_DEP_1)
	s_or_b32 exec_lo, exec_lo, s10
	v_lshrrev_b16 v96, 8, v10
	s_mov_b32 s29, 0
	s_mov_b32 s10, exec_lo
	v_cmpx_lt_i16_e32 0x7f, v96
	s_xor_b32 s10, exec_lo, s10
	s_cbranch_execnz .LBB2_2217
; %bb.1731:                             ;   in Loop: Header=BB2_1198 Depth=2
	s_or_saveexec_b32 s10, s10
	v_bfrev_b32_e32 v30, 1
	s_xor_b32 exec_lo, exec_lo, s10
	s_cbranch_execnz .LBB2_2220
.LBB2_1732:                             ;   in Loop: Header=BB2_1198 Depth=2
	s_or_b32 exec_lo, exec_lo, s10
	s_and_saveexec_b32 s10, s29
	s_cbranch_execz .LBB2_1734
.LBB2_1733:                             ;   in Loop: Header=BB2_1198 Depth=2
	v_and_b32_e32 v30, 0xffff, v96
	s_delay_alu instid0(VALU_DEP_1) | instskip(NEXT) | instid1(VALU_DEP_1)
	v_and_b32_e32 v99, 3, v30
	v_clz_i32_u32_e32 v97, v99
	s_delay_alu instid0(VALU_DEP_1) | instskip(SKIP_1) | instid1(VALU_DEP_2)
	v_min_u32_e32 v101, 32, v97
	v_mov_b32_e32 v97, v35
	v_subrev_nc_u32_e32 v115, 29, v101
	v_sub_nc_u32_e32 v101, 30, v101
	s_delay_alu instid0(VALU_DEP_2) | instskip(SKIP_3) | instid1(VALU_DEP_3)
	v_lshlrev_b64_e32 v[74:75], v115, v[96:97]
	v_bfe_u32 v97, v30, 2, 5
	v_lshlrev_b32_e32 v96, 24, v96
	v_and_b32_e32 v30, 0x7c, v30
	v_cmp_eq_u32_e32 vcc_lo, 0, v97
	s_delay_alu instid0(VALU_DEP_3) | instskip(SKIP_1) | instid1(VALU_DEP_1)
	v_and_b32_e32 v96, 0x80000000, v96
	v_dual_cndmask_b32 v97, v97, v101, vcc_lo :: v_dual_bitop2_b32 v115, 3, v74 bitop3:0x40
	v_cndmask_b32_e32 v101, v99, v115, vcc_lo
	v_cmp_lt_i16_e32 vcc_lo, -1, v10
	s_delay_alu instid0(VALU_DEP_3) | instskip(SKIP_2) | instid1(VALU_DEP_3)
	v_lshl_add_u32 v96, v97, 23, v96
	v_cndmask_b32_e32 v97, 0xff800000, v62, vcc_lo
	v_cmp_eq_u32_e32 vcc_lo, 0, v99
	v_lshl_or_b32 v96, v101, 21, v96
	s_delay_alu instid0(VALU_DEP_3) | instskip(NEXT) | instid1(VALU_DEP_2)
	v_cndmask_b32_e32 v97, 0x7f800001, v97, vcc_lo
	v_add_nc_u32_e32 v96, 0x38000000, v96
	v_cmp_eq_u32_e32 vcc_lo, 0x7c, v30
	s_delay_alu instid0(VALU_DEP_2)
	v_cndmask_b32_e32 v30, v96, v97, vcc_lo
.LBB2_1734:                             ;   in Loop: Header=BB2_1198 Depth=2
	s_or_b32 exec_lo, exec_lo, s10
	s_delay_alu instid0(VALU_DEP_1) | instskip(SKIP_2) | instid1(VALU_DEP_2)
	v_dual_add_f32 v98, v98, v30 :: v_dual_mov_b32 v75, v35
	v_mov_b32_e32 v97, v35
                                        ; implicit-def: $vgpr115
	s_mov_b32 s10, exec_lo
	v_and_b32_e32 v74, 0x7f800000, v98
	v_and_b32_e32 v96, 0x7fffff, v98
	v_lshrrev_b32_e32 v30, 24, v98
	s_delay_alu instid0(VALU_DEP_3)
	v_cmpx_ne_u64_e32 0x7f800000, v[74:75]
	s_xor_b32 s29, exec_lo, s10
	s_cbranch_execz .LBB2_1748
; %bb.1735:                             ;   in Loop: Header=BB2_1198 Depth=2
	v_and_b32_e32 v74, 0x7fffffff, v98
	v_mov_b32_e32 v75, v35
	v_and_b32_e32 v30, 0x80, v30
                                        ; implicit-def: $vgpr115
	s_mov_b32 s10, exec_lo
	s_delay_alu instid0(VALU_DEP_2)
	v_cmpx_gt_u64_e32 0x47600001, v[74:75]
	s_xor_b32 s40, exec_lo, s10
	s_cbranch_execz .LBB2_1745
; %bb.1736:                             ;   in Loop: Header=BB2_1198 Depth=2
	v_mov_b32_e32 v115, 0
	s_mov_b32 s41, exec_lo
	v_cmpx_ne_u32_e32 0, v98
	s_cbranch_execz .LBB2_1744
; %bb.1737:                             ;   in Loop: Header=BB2_1198 Depth=2
	v_bfe_u32 v101, v98, 23, 8
	v_or_b32_e32 v118, 0x800000, v96
	s_delay_alu instid0(VALU_DEP_2) | instskip(SKIP_1) | instid1(VALU_DEP_2)
	v_sub_nc_u32_e32 v98, 0x71, v101
	v_cmp_gt_u32_e32 vcc_lo, 0x72, v101
	v_cndmask_b32_e32 v98, 0, v98, vcc_lo
	v_cmp_eq_u32_e32 vcc_lo, 0, v101
	s_delay_alu instid0(VALU_DEP_2) | instskip(NEXT) | instid1(VALU_DEP_1)
	v_cndmask_b32_e64 v115, v98, 0x70, vcc_lo
	v_dual_cndmask_b32 v96, v118, v96, vcc_lo :: v_dual_add_nc_u32 v98, 21, v115
	v_add_nc_u32_e32 v41, 20, v115
	s_delay_alu instid0(VALU_DEP_2) | instskip(NEXT) | instid1(VALU_DEP_2)
	v_lshlrev_b64_e64 v[98:99], v98, -1
	v_lshlrev_b64_e64 v[74:75], v41, 1
	s_delay_alu instid0(VALU_DEP_2) | instskip(SKIP_1) | instid1(VALU_DEP_4)
	v_bfi_b32 v98, v98, 0, v96
	v_lshrrev_b64 v[96:97], v115, v[96:97]
	v_bfi_b32 v99, v99, 0, 0
	s_delay_alu instid0(VALU_DEP_1) | instskip(NEXT) | instid1(VALU_DEP_3)
	v_cmp_eq_u64_e64 s10, v[98:99], v[74:75]
	v_mov_b64_e32 v[98:99], v[96:97]
	s_and_saveexec_b32 s42, s10
; %bb.1738:                             ;   in Loop: Header=BB2_1198 Depth=2
	v_bfe_u32 v98, v96, 21, 1
	v_mov_b32_e32 v99, v35
	s_delay_alu instid0(VALU_DEP_1) | instskip(NEXT) | instid1(VALU_DEP_1)
	v_add_nc_u64_e32 v[98:99], v[96:97], v[98:99]
	v_add_nc_u64_e32 v[98:99], -1, v[98:99]
; %bb.1739:                             ;   in Loop: Header=BB2_1198 Depth=2
	s_or_b32 exec_lo, exec_lo, s42
	v_add_nc_u32_e32 v97, 0xffffff81, v101
	v_lshrrev_b32_e32 v99, 23, v96
	s_mov_b32 s10, exec_lo
	s_delay_alu instid0(VALU_DEP_2) | instskip(NEXT) | instid1(VALU_DEP_1)
	v_cndmask_b32_e64 v97, v97, 0xffffff82, vcc_lo
	v_add3_u32 v99, v115, v97, v99
	v_and_b32_e32 v97, 0x1fffff, v98
                                        ; implicit-def: $vgpr98
	s_delay_alu instid0(VALU_DEP_1) | instskip(SKIP_1) | instid1(VALU_DEP_2)
	v_dual_add_nc_u32 v101, 14, v99 :: v_dual_add_nc_u32 v96, v97, v96
	v_mov_b32_e32 v97, v35
	v_cmpx_ne_u32_e32 0, v101
	s_xor_b32 s10, exec_lo, s10
; %bb.1740:                             ;   in Loop: Header=BB2_1198 Depth=2
	s_delay_alu instid0(VALU_DEP_2) | instskip(SKIP_2) | instid1(VALU_DEP_2)
	v_cmp_lt_u64_e32 vcc_lo, 0xffffff, v[96:97]
	v_add_nc_u32_e32 v98, 15, v99
	v_cndmask_b32_e64 v99, 0, 1, vcc_lo
	v_cndmask_b32_e32 v98, v101, v98, vcc_lo
	s_delay_alu instid0(VALU_DEP_2)
	v_lshrrev_b64 v[96:97], v99, v[96:97]
; %bb.1741:                             ;   in Loop: Header=BB2_1198 Depth=2
	s_and_not1_saveexec_b32 s10, s10
; %bb.1742:                             ;   in Loop: Header=BB2_1198 Depth=2
	s_delay_alu instid0(VALU_DEP_1)
	v_bfe_u32 v98, v96, 23, 1
; %bb.1743:                             ;   in Loop: Header=BB2_1198 Depth=2
	s_or_b32 exec_lo, exec_lo, s10
	s_delay_alu instid0(VALU_DEP_2) | instskip(NEXT) | instid1(VALU_DEP_2)
	v_lshrrev_b64 v[96:97], 21, v[96:97]
	v_cmp_gt_i32_e32 vcc_lo, 32, v98
	v_min_i32_e32 v99, 31, v98
	v_cmp_eq_u32_e64 s10, 0, v98
	s_delay_alu instid0(VALU_DEP_2) | instskip(SKIP_1) | instid1(VALU_DEP_2)
	v_dual_cndmask_b32 v97, 0, v97, vcc_lo :: v_dual_lshlrev_b32 v99, 2, v99
	v_cndmask_b32_e32 v96, 3, v96, vcc_lo
	v_and_b32_e32 v99, 0xfc, v99
	s_delay_alu instid0(VALU_DEP_2) | instskip(NEXT) | instid1(VALU_DEP_2)
	v_cmp_eq_u64_e32 vcc_lo, 0, v[96:97]
	v_and_or_b32 v96, v96, 3, v99
	s_and_b32 s10, s10, vcc_lo
	s_delay_alu instid0(VALU_DEP_1) | instid1(SALU_CYCLE_1)
	v_cndmask_b32_e64 v96, v96, 0, s10
	s_delay_alu instid0(VALU_DEP_1)
	v_or_b32_e32 v115, v96, v30
.LBB2_1744:                             ;   in Loop: Header=BB2_1198 Depth=2
	s_or_b32 exec_lo, exec_lo, s41
                                        ; implicit-def: $vgpr30
.LBB2_1745:                             ;   in Loop: Header=BB2_1198 Depth=2
	s_and_not1_saveexec_b32 s10, s40
; %bb.1746:                             ;   in Loop: Header=BB2_1198 Depth=2
	v_or_b32_e32 v115, 0x7b, v30
; %bb.1747:                             ;   in Loop: Header=BB2_1198 Depth=2
	s_or_b32 exec_lo, exec_lo, s10
                                        ; implicit-def: $vgpr98
                                        ; implicit-def: $vgpr96_vgpr97
                                        ; implicit-def: $vgpr30
.LBB2_1748:                             ;   in Loop: Header=BB2_1198 Depth=2
	s_and_not1_saveexec_b32 s10, s29
	s_cbranch_execz .LBB2_1754
; %bb.1749:                             ;   in Loop: Header=BB2_1198 Depth=2
	s_mov_b32 s29, exec_lo
                                        ; implicit-def: $vgpr115
	v_cmpx_ne_u64_e32 0, v[96:97]
	s_xor_b32 s29, exec_lo, s29
; %bb.1750:                             ;   in Loop: Header=BB2_1198 Depth=2
	v_or_b32_e32 v115, 0x7f, v30
                                        ; implicit-def: $vgpr98
; %bb.1751:                             ;   in Loop: Header=BB2_1198 Depth=2
	s_and_not1_saveexec_b32 s29, s29
; %bb.1752:                             ;   in Loop: Header=BB2_1198 Depth=2
	v_cmp_lt_i32_e32 vcc_lo, -1, v98
	v_cndmask_b32_e32 v115, 0xfc, v63, vcc_lo
; %bb.1753:                             ;   in Loop: Header=BB2_1198 Depth=2
	s_or_b32 exec_lo, exec_lo, s29
.LBB2_1754:                             ;   in Loop: Header=BB2_1198 Depth=2
	s_delay_alu instid0(SALU_CYCLE_1) | instskip(SKIP_2) | instid1(VALU_DEP_1)
	s_or_b32 exec_lo, exec_lo, s10
	v_dual_lshrrev_b32 v30, 16, v34 :: v_dual_mov_b32 v96, 0
	s_mov_b32 s10, exec_lo
	v_and_b32_e32 v97, 0xff, v30
	s_delay_alu instid0(VALU_DEP_1)
	v_cmpx_ne_u16_e32 0, v97
	s_cbranch_execz .LBB2_1764
; %bb.1755:                             ;   in Loop: Header=BB2_1198 Depth=2
	v_bfrev_b32_e32 v96, 1
	s_mov_b32 s29, exec_lo
	v_cmpx_ne_u16_e32 0x80, v97
	s_cbranch_execz .LBB2_1763
; %bb.1756:                             ;   in Loop: Header=BB2_1198 Depth=2
	v_and_b32_e32 v96, 0x7c0000, v34
	v_bfe_u32 v97, v34, 16, 2
	s_delay_alu instid0(VALU_DEP_2) | instskip(SKIP_1) | instid1(SALU_CYCLE_1)
	v_cmp_ne_u32_e32 vcc_lo, 0x7c0000, v96
                                        ; implicit-def: $vgpr96
	s_and_saveexec_b32 s40, vcc_lo
	s_xor_b32 s40, exec_lo, s40
	s_cbranch_execz .LBB2_1760
; %bb.1757:                             ;   in Loop: Header=BB2_1198 Depth=2
	v_bfe_u32 v96, v34, 18, 5
	v_lshrrev_b32_e32 v30, 16, v34
	s_mov_b32 s41, exec_lo
	s_delay_alu instid0(VALU_DEP_2)
	v_cmpx_eq_u32_e32 0, v96
; %bb.1758:                             ;   in Loop: Header=BB2_1198 Depth=2
	v_clz_i32_u32_e32 v96, v97
	s_delay_alu instid0(VALU_DEP_1) | instskip(NEXT) | instid1(VALU_DEP_1)
	v_min_u32_e32 v96, 32, v96
	v_subrev_nc_u32_e32 v97, 29, v96
	s_delay_alu instid0(VALU_DEP_1) | instskip(NEXT) | instid1(VALU_DEP_1)
	v_lshlrev_b64_e32 v[98:99], v97, v[30:31]
	v_dual_sub_nc_u32 v96, 30, v96 :: v_dual_bitop2_b32 v97, 3, v98 bitop3:0x40
; %bb.1759:                             ;   in Loop: Header=BB2_1198 Depth=2
	s_or_b32 exec_lo, exec_lo, s41
	v_lshlrev_b32_e32 v30, 24, v30
	s_delay_alu instid0(VALU_DEP_1) | instskip(NEXT) | instid1(VALU_DEP_1)
	v_and_b32_e32 v30, 0x80000000, v30
	v_lshl_add_u32 v30, v96, 23, v30
	s_delay_alu instid0(VALU_DEP_1) | instskip(NEXT) | instid1(VALU_DEP_1)
	v_lshl_or_b32 v30, v97, 21, v30
                                        ; implicit-def: $vgpr97
	v_add_nc_u32_e32 v96, 0x38000000, v30
                                        ; implicit-def: $vgpr30
.LBB2_1760:                             ;   in Loop: Header=BB2_1198 Depth=2
	s_and_not1_saveexec_b32 s40, s40
; %bb.1761:                             ;   in Loop: Header=BB2_1198 Depth=2
	v_bfe_i32 v30, v30, 0, 8
	s_delay_alu instid0(VALU_DEP_1) | instskip(SKIP_2) | instid1(VALU_DEP_2)
	v_cmp_lt_i16_e32 vcc_lo, -1, v30
	v_cndmask_b32_e32 v30, 0xff800000, v62, vcc_lo
	v_cmp_eq_u32_e32 vcc_lo, 0, v97
	v_cndmask_b32_e32 v96, 0x7f800001, v30, vcc_lo
; %bb.1762:                             ;   in Loop: Header=BB2_1198 Depth=2
	s_or_b32 exec_lo, exec_lo, s40
.LBB2_1763:                             ;   in Loop: Header=BB2_1198 Depth=2
	s_delay_alu instid0(SALU_CYCLE_1)
	s_or_b32 exec_lo, exec_lo, s29
.LBB2_1764:                             ;   in Loop: Header=BB2_1198 Depth=2
	s_delay_alu instid0(SALU_CYCLE_1) | instskip(SKIP_3) | instid1(VALU_DEP_1)
	s_or_b32 exec_lo, exec_lo, s10
	v_lshrrev_b32_e32 v30, 16, v10
	s_mov_b32 s29, 0
	s_mov_b32 s10, exec_lo
	v_and_b32_e32 v98, 0xff, v30
	s_delay_alu instid0(VALU_DEP_1)
	v_cmpx_lt_i16_e32 0x7f, v98
	s_xor_b32 s10, exec_lo, s10
	s_cbranch_execnz .LBB2_2221
; %bb.1765:                             ;   in Loop: Header=BB2_1198 Depth=2
	s_or_saveexec_b32 s10, s10
	v_bfrev_b32_e32 v97, 1
	s_xor_b32 exec_lo, exec_lo, s10
	s_cbranch_execnz .LBB2_2224
.LBB2_1766:                             ;   in Loop: Header=BB2_1198 Depth=2
	s_or_b32 exec_lo, exec_lo, s10
	s_and_saveexec_b32 s10, s29
	s_cbranch_execz .LBB2_1768
.LBB2_1767:                             ;   in Loop: Header=BB2_1198 Depth=2
	v_and_b32_e32 v97, 3, v30
	v_bfe_u32 v118, v10, 18, 5
	s_delay_alu instid0(VALU_DEP_2) | instskip(NEXT) | instid1(VALU_DEP_2)
	v_clz_i32_u32_e32 v98, v97
	v_cmp_eq_u32_e32 vcc_lo, 0, v118
	s_delay_alu instid0(VALU_DEP_2) | instskip(NEXT) | instid1(VALU_DEP_1)
	v_min_u32_e32 v101, 32, v98
	v_subrev_nc_u32_e32 v98, 29, v101
	s_delay_alu instid0(VALU_DEP_1) | instskip(SKIP_2) | instid1(VALU_DEP_2)
	v_lshlrev_b64_e32 v[98:99], v98, v[30:31]
	v_dual_lshlrev_b32 v99, 24, v30 :: v_dual_sub_nc_u32 v101, 30, v101
	v_bfe_i32 v30, v30, 0, 8
	v_and_b32_e32 v99, 0x80000000, v99
	s_delay_alu instid0(VALU_DEP_3) | instskip(NEXT) | instid1(VALU_DEP_1)
	v_dual_cndmask_b32 v101, v118, v101, vcc_lo :: v_dual_bitop2_b32 v98, 3, v98 bitop3:0x40
	v_cndmask_b32_e32 v98, v97, v98, vcc_lo
	s_delay_alu instid0(VALU_DEP_2) | instskip(SKIP_1) | instid1(VALU_DEP_2)
	v_lshl_add_u32 v99, v101, 23, v99
	v_cmp_lt_i16_e32 vcc_lo, -1, v30
	v_lshl_or_b32 v98, v98, 21, v99
	v_cndmask_b32_e32 v30, 0xff800000, v62, vcc_lo
	v_and_b32_e32 v99, 0x7c0000, v10
	v_cmp_eq_u32_e32 vcc_lo, 0, v97
	s_delay_alu instid0(VALU_DEP_4) | instskip(NEXT) | instid1(VALU_DEP_4)
	v_add_nc_u32_e32 v97, 0x38000000, v98
	v_cndmask_b32_e32 v30, 0x7f800001, v30, vcc_lo
	s_delay_alu instid0(VALU_DEP_4) | instskip(NEXT) | instid1(VALU_DEP_2)
	v_cmp_eq_u32_e32 vcc_lo, 0x7c0000, v99
	v_cndmask_b32_e32 v97, v97, v30, vcc_lo
.LBB2_1768:                             ;   in Loop: Header=BB2_1198 Depth=2
	s_or_b32 exec_lo, exec_lo, s10
	s_delay_alu instid0(VALU_DEP_1) | instskip(SKIP_2) | instid1(VALU_DEP_2)
	v_dual_add_f32 v98, v96, v97 :: v_dual_mov_b32 v75, v35
	v_mov_b32_e32 v97, v35
                                        ; implicit-def: $vgpr118
	s_mov_b32 s10, exec_lo
	v_and_b32_e32 v74, 0x7f800000, v98
	v_and_b32_e32 v96, 0x7fffff, v98
	v_lshrrev_b32_e32 v30, 24, v98
	s_delay_alu instid0(VALU_DEP_3)
	v_cmpx_ne_u64_e32 0x7f800000, v[74:75]
	s_xor_b32 s29, exec_lo, s10
	s_cbranch_execz .LBB2_1782
; %bb.1769:                             ;   in Loop: Header=BB2_1198 Depth=2
	v_and_b32_e32 v74, 0x7fffffff, v98
	v_mov_b32_e32 v75, v35
	v_and_b32_e32 v30, 0x80, v30
                                        ; implicit-def: $vgpr118
	s_mov_b32 s10, exec_lo
	s_delay_alu instid0(VALU_DEP_2)
	v_cmpx_gt_u64_e32 0x47600001, v[74:75]
	s_xor_b32 s40, exec_lo, s10
	s_cbranch_execz .LBB2_1779
; %bb.1770:                             ;   in Loop: Header=BB2_1198 Depth=2
	v_mov_b32_e32 v118, 0
	s_mov_b32 s41, exec_lo
	v_cmpx_ne_u32_e32 0, v98
	s_cbranch_execz .LBB2_1778
; %bb.1771:                             ;   in Loop: Header=BB2_1198 Depth=2
	v_bfe_u32 v101, v98, 23, 8
	v_or_b32_e32 v41, 0x800000, v96
	s_delay_alu instid0(VALU_DEP_2) | instskip(SKIP_1) | instid1(VALU_DEP_2)
	v_sub_nc_u32_e32 v98, 0x71, v101
	v_cmp_gt_u32_e32 vcc_lo, 0x72, v101
	v_cndmask_b32_e32 v98, 0, v98, vcc_lo
	v_cmp_eq_u32_e32 vcc_lo, 0, v101
	v_cndmask_b32_e32 v96, v41, v96, vcc_lo
	s_delay_alu instid0(VALU_DEP_3) | instskip(NEXT) | instid1(VALU_DEP_1)
	v_cndmask_b32_e64 v118, v98, 0x70, vcc_lo
	v_dual_add_nc_u32 v98, 21, v118 :: v_dual_add_nc_u32 v73, 20, v118
	s_delay_alu instid0(VALU_DEP_1) | instskip(NEXT) | instid1(VALU_DEP_2)
	v_lshlrev_b64_e64 v[98:99], v98, -1
	v_lshlrev_b64_e64 v[74:75], v73, 1
	s_delay_alu instid0(VALU_DEP_2) | instskip(SKIP_1) | instid1(VALU_DEP_4)
	v_bfi_b32 v98, v98, 0, v96
	v_lshrrev_b64 v[96:97], v118, v[96:97]
	v_bfi_b32 v99, v99, 0, 0
	s_delay_alu instid0(VALU_DEP_1) | instskip(NEXT) | instid1(VALU_DEP_3)
	v_cmp_eq_u64_e64 s10, v[98:99], v[74:75]
	v_mov_b64_e32 v[98:99], v[96:97]
	s_and_saveexec_b32 s42, s10
; %bb.1772:                             ;   in Loop: Header=BB2_1198 Depth=2
	v_bfe_u32 v98, v96, 21, 1
	v_mov_b32_e32 v99, v35
	s_delay_alu instid0(VALU_DEP_1) | instskip(NEXT) | instid1(VALU_DEP_1)
	v_add_nc_u64_e32 v[98:99], v[96:97], v[98:99]
	v_add_nc_u64_e32 v[98:99], -1, v[98:99]
; %bb.1773:                             ;   in Loop: Header=BB2_1198 Depth=2
	s_or_b32 exec_lo, exec_lo, s42
	v_add_nc_u32_e32 v97, 0xffffff81, v101
	v_lshrrev_b32_e32 v99, 23, v96
	s_mov_b32 s10, exec_lo
	s_delay_alu instid0(VALU_DEP_2) | instskip(NEXT) | instid1(VALU_DEP_1)
	v_cndmask_b32_e64 v97, v97, 0xffffff82, vcc_lo
	v_add3_u32 v99, v118, v97, v99
	v_and_b32_e32 v97, 0x1fffff, v98
                                        ; implicit-def: $vgpr98
	s_delay_alu instid0(VALU_DEP_1) | instskip(SKIP_1) | instid1(VALU_DEP_2)
	v_dual_add_nc_u32 v101, 14, v99 :: v_dual_add_nc_u32 v96, v97, v96
	v_mov_b32_e32 v97, v35
	v_cmpx_ne_u32_e32 0, v101
	s_xor_b32 s10, exec_lo, s10
; %bb.1774:                             ;   in Loop: Header=BB2_1198 Depth=2
	s_delay_alu instid0(VALU_DEP_2) | instskip(SKIP_2) | instid1(VALU_DEP_2)
	v_cmp_lt_u64_e32 vcc_lo, 0xffffff, v[96:97]
	v_add_nc_u32_e32 v98, 15, v99
	v_cndmask_b32_e64 v99, 0, 1, vcc_lo
	v_cndmask_b32_e32 v98, v101, v98, vcc_lo
	s_delay_alu instid0(VALU_DEP_2)
	v_lshrrev_b64 v[96:97], v99, v[96:97]
; %bb.1775:                             ;   in Loop: Header=BB2_1198 Depth=2
	s_and_not1_saveexec_b32 s10, s10
; %bb.1776:                             ;   in Loop: Header=BB2_1198 Depth=2
	s_delay_alu instid0(VALU_DEP_1)
	v_bfe_u32 v98, v96, 23, 1
; %bb.1777:                             ;   in Loop: Header=BB2_1198 Depth=2
	s_or_b32 exec_lo, exec_lo, s10
	s_delay_alu instid0(VALU_DEP_2) | instskip(NEXT) | instid1(VALU_DEP_2)
	v_lshrrev_b64 v[96:97], 21, v[96:97]
	v_cmp_gt_i32_e32 vcc_lo, 32, v98
	v_min_i32_e32 v99, 31, v98
	v_cmp_eq_u32_e64 s10, 0, v98
	s_delay_alu instid0(VALU_DEP_2) | instskip(SKIP_1) | instid1(VALU_DEP_2)
	v_dual_cndmask_b32 v97, 0, v97, vcc_lo :: v_dual_lshlrev_b32 v99, 2, v99
	v_cndmask_b32_e32 v96, 3, v96, vcc_lo
	v_and_b32_e32 v99, 0xfc, v99
	s_delay_alu instid0(VALU_DEP_2) | instskip(NEXT) | instid1(VALU_DEP_2)
	v_cmp_eq_u64_e32 vcc_lo, 0, v[96:97]
	v_and_or_b32 v96, v96, 3, v99
	s_and_b32 s10, s10, vcc_lo
	s_delay_alu instid0(VALU_DEP_1) | instid1(SALU_CYCLE_1)
	v_cndmask_b32_e64 v96, v96, 0, s10
	s_delay_alu instid0(VALU_DEP_1)
	v_or_b32_e32 v118, v96, v30
.LBB2_1778:                             ;   in Loop: Header=BB2_1198 Depth=2
	s_or_b32 exec_lo, exec_lo, s41
                                        ; implicit-def: $vgpr30
.LBB2_1779:                             ;   in Loop: Header=BB2_1198 Depth=2
	s_and_not1_saveexec_b32 s10, s40
; %bb.1780:                             ;   in Loop: Header=BB2_1198 Depth=2
	v_or_b32_e32 v118, 0x7b, v30
; %bb.1781:                             ;   in Loop: Header=BB2_1198 Depth=2
	s_or_b32 exec_lo, exec_lo, s10
                                        ; implicit-def: $vgpr98
                                        ; implicit-def: $vgpr96_vgpr97
                                        ; implicit-def: $vgpr30
.LBB2_1782:                             ;   in Loop: Header=BB2_1198 Depth=2
	s_and_not1_saveexec_b32 s10, s29
	s_cbranch_execz .LBB2_1788
; %bb.1783:                             ;   in Loop: Header=BB2_1198 Depth=2
	s_mov_b32 s29, exec_lo
                                        ; implicit-def: $vgpr118
	v_cmpx_ne_u64_e32 0, v[96:97]
	s_xor_b32 s29, exec_lo, s29
; %bb.1784:                             ;   in Loop: Header=BB2_1198 Depth=2
	v_or_b32_e32 v118, 0x7f, v30
                                        ; implicit-def: $vgpr98
; %bb.1785:                             ;   in Loop: Header=BB2_1198 Depth=2
	s_and_not1_saveexec_b32 s29, s29
; %bb.1786:                             ;   in Loop: Header=BB2_1198 Depth=2
	v_cmp_lt_i32_e32 vcc_lo, -1, v98
	v_cndmask_b32_e32 v118, 0xfc, v63, vcc_lo
; %bb.1787:                             ;   in Loop: Header=BB2_1198 Depth=2
	s_or_b32 exec_lo, exec_lo, s29
.LBB2_1788:                             ;   in Loop: Header=BB2_1198 Depth=2
	s_delay_alu instid0(SALU_CYCLE_1)
	s_or_b32 exec_lo, exec_lo, s10
	v_mov_b32_e32 v96, 0
	s_mov_b32 s10, exec_lo
	v_cmpx_lt_u32_e32 0xffffff, v34
	s_cbranch_execz .LBB2_1798
; %bb.1789:                             ;   in Loop: Header=BB2_1198 Depth=2
	v_lshrrev_b32_e32 v30, 24, v34
	v_bfrev_b32_e32 v96, 1
	s_mov_b32 s29, exec_lo
	s_delay_alu instid0(VALU_DEP_2)
	v_cmpx_ne_u32_e32 0x80, v30
	s_cbranch_execz .LBB2_1797
; %bb.1790:                             ;   in Loop: Header=BB2_1198 Depth=2
	v_and_b32_e32 v96, 0x7c000000, v34
	v_bfe_u32 v97, v34, 24, 2
	s_delay_alu instid0(VALU_DEP_2) | instskip(SKIP_1) | instid1(SALU_CYCLE_1)
	v_cmp_ne_u32_e32 vcc_lo, 0x7c000000, v96
                                        ; implicit-def: $vgpr96
	s_and_saveexec_b32 s40, vcc_lo
	s_xor_b32 s40, exec_lo, s40
	s_cbranch_execz .LBB2_1794
; %bb.1791:                             ;   in Loop: Header=BB2_1198 Depth=2
	v_bfe_u32 v96, v34, 26, 5
	s_mov_b32 s41, exec_lo
	s_delay_alu instid0(VALU_DEP_1)
	v_cmpx_eq_u32_e32 0, v96
; %bb.1792:                             ;   in Loop: Header=BB2_1198 Depth=2
	v_clz_i32_u32_e32 v96, v97
	s_delay_alu instid0(VALU_DEP_1) | instskip(NEXT) | instid1(VALU_DEP_1)
	v_min_u32_e32 v96, 32, v96
	v_subrev_nc_u32_e32 v97, 29, v96
	s_delay_alu instid0(VALU_DEP_1) | instskip(NEXT) | instid1(VALU_DEP_1)
	v_lshlrev_b64_e32 v[98:99], v97, v[30:31]
	v_dual_sub_nc_u32 v96, 30, v96 :: v_dual_bitop2_b32 v97, 3, v98 bitop3:0x40
; %bb.1793:                             ;   in Loop: Header=BB2_1198 Depth=2
	s_or_b32 exec_lo, exec_lo, s41
	v_and_b32_e32 v30, 0x80000000, v34
	s_delay_alu instid0(VALU_DEP_1) | instskip(NEXT) | instid1(VALU_DEP_1)
	v_lshl_add_u32 v30, v96, 23, v30
	v_lshl_or_b32 v30, v97, 21, v30
                                        ; implicit-def: $vgpr97
	s_delay_alu instid0(VALU_DEP_1)
	v_add_nc_u32_e32 v96, 0x38000000, v30
.LBB2_1794:                             ;   in Loop: Header=BB2_1198 Depth=2
	s_and_not1_saveexec_b32 s40, s40
; %bb.1795:                             ;   in Loop: Header=BB2_1198 Depth=2
	v_cmp_lt_i32_e32 vcc_lo, -1, v34
	v_cndmask_b32_e32 v30, 0xff800000, v62, vcc_lo
	v_cmp_eq_u32_e32 vcc_lo, 0, v97
	s_delay_alu instid0(VALU_DEP_2)
	v_cndmask_b32_e32 v96, 0x7f800001, v30, vcc_lo
; %bb.1796:                             ;   in Loop: Header=BB2_1198 Depth=2
	s_or_b32 exec_lo, exec_lo, s40
.LBB2_1797:                             ;   in Loop: Header=BB2_1198 Depth=2
	s_delay_alu instid0(SALU_CYCLE_1)
	s_or_b32 exec_lo, exec_lo, s29
.LBB2_1798:                             ;   in Loop: Header=BB2_1198 Depth=2
	s_delay_alu instid0(SALU_CYCLE_1) | instskip(SKIP_3) | instid1(VALU_DEP_2)
	s_or_b32 exec_lo, exec_lo, s10
	v_bfe_u32 v34, v10, 24, 2
	v_bfe_u32 v101, v10, 26, 5
                                        ; implicit-def: $vgpr41
	s_mov_b32 s10, exec_lo
	v_clz_i32_u32_e32 v30, v34
	s_delay_alu instid0(VALU_DEP_2) | instskip(NEXT) | instid1(VALU_DEP_2)
	v_cmp_eq_u32_e32 vcc_lo, 0, v101
	v_min_u32_e32 v97, 32, v30
	v_lshrrev_b32_e32 v30, 24, v10
	s_delay_alu instid0(VALU_DEP_2) | instskip(SKIP_1) | instid1(VALU_DEP_2)
	v_subrev_nc_u32_e32 v98, 29, v97
	v_sub_nc_u32_e32 v97, 30, v97
	v_lshlrev_b64_e32 v[98:99], v98, v[30:31]
	v_and_b32_e32 v99, 0x80000000, v10
	s_delay_alu instid0(VALU_DEP_2) | instskip(NEXT) | instid1(VALU_DEP_1)
	v_dual_cndmask_b32 v97, v101, v97, vcc_lo :: v_dual_bitop2_b32 v98, 3, v98 bitop3:0x40
	v_lshl_add_u32 v97, v97, 23, v99
	s_delay_alu instid0(VALU_DEP_2) | instskip(SKIP_1) | instid1(VALU_DEP_2)
	v_cndmask_b32_e32 v98, v34, v98, vcc_lo
	v_cmp_lt_i32_e32 vcc_lo, -1, v10
	v_lshl_or_b32 v97, v98, 21, v97
	v_cndmask_b32_e32 v99, 0xff800000, v62, vcc_lo
	v_and_b32_e32 v98, 0x7c000000, v10
	v_cmp_eq_u32_e32 vcc_lo, 0, v34
	s_delay_alu instid0(VALU_DEP_4) | instskip(NEXT) | instid1(VALU_DEP_4)
	v_add_nc_u32_e32 v97, 0x38000000, v97
	v_dual_cndmask_b32 v34, 0x7f800001, v99 :: v_dual_mov_b32 v99, v35
	s_delay_alu instid0(VALU_DEP_4) | instskip(NEXT) | instid1(VALU_DEP_2)
	v_cmp_eq_u32_e32 vcc_lo, 0x7c000000, v98
	v_cndmask_b32_e32 v34, v97, v34, vcc_lo
	v_cmp_ne_u32_e32 vcc_lo, 0x80, v30
	s_delay_alu instid0(VALU_DEP_2) | instskip(SKIP_1) | instid1(VALU_DEP_2)
	v_cndmask_b32_e32 v30, 0x80000000, v34, vcc_lo
	v_cmp_lt_u32_e32 vcc_lo, 0xffffff, v10
	v_cndmask_b32_e32 v30, 0, v30, vcc_lo
	s_delay_alu instid0(VALU_DEP_1) | instskip(NEXT) | instid1(VALU_DEP_1)
	v_add_f32_e32 v96, v30, v96
	v_and_b32_e32 v98, 0x7f800000, v96
	v_and_b32_e32 v34, 0x7fffff, v96
	v_lshrrev_b32_e32 v30, 24, v96
	s_delay_alu instid0(VALU_DEP_3)
	v_cmpx_ne_u64_e32 0x7f800000, v[98:99]
	s_xor_b32 s29, exec_lo, s10
	s_cbranch_execz .LBB2_1812
; %bb.1799:                             ;   in Loop: Header=BB2_1198 Depth=2
	v_and_b32_e32 v98, 0x7fffffff, v96
	v_mov_b32_e32 v99, v35
	v_and_b32_e32 v30, 0x80, v30
                                        ; implicit-def: $vgpr41
	s_mov_b32 s10, exec_lo
	s_delay_alu instid0(VALU_DEP_2)
	v_cmpx_gt_u64_e32 0x47600001, v[98:99]
	s_xor_b32 s40, exec_lo, s10
	s_cbranch_execz .LBB2_1809
; %bb.1800:                             ;   in Loop: Header=BB2_1198 Depth=2
	v_mov_b32_e32 v41, 0
	s_mov_b32 s41, exec_lo
	v_cmpx_ne_u32_e32 0, v96
	s_cbranch_execz .LBB2_1808
; %bb.1801:                             ;   in Loop: Header=BB2_1198 Depth=2
	v_bfe_u32 v101, v96, 23, 8
	v_or_b32_e32 v98, 0x800000, v34
	s_delay_alu instid0(VALU_DEP_2) | instskip(SKIP_1) | instid1(VALU_DEP_2)
	v_sub_nc_u32_e32 v96, 0x71, v101
	v_cmp_gt_u32_e32 vcc_lo, 0x72, v101
	v_cndmask_b32_e32 v96, 0, v96, vcc_lo
	v_cmp_eq_u32_e32 vcc_lo, 0, v101
	s_delay_alu instid0(VALU_DEP_2) | instskip(NEXT) | instid1(VALU_DEP_1)
	v_cndmask_b32_e64 v41, v96, 0x70, vcc_lo
	v_dual_cndmask_b32 v34, v98, v34, vcc_lo :: v_dual_add_nc_u32 v96, 21, v41
	v_add_nc_u32_e32 v99, 20, v41
	s_delay_alu instid0(VALU_DEP_2) | instskip(NEXT) | instid1(VALU_DEP_2)
	v_lshlrev_b64_e64 v[96:97], v96, -1
	v_lshlrev_b64_e64 v[98:99], v99, 1
	s_delay_alu instid0(VALU_DEP_2) | instskip(NEXT) | instid1(VALU_DEP_3)
	v_bfi_b32 v75, v97, 0, 0
	v_bfi_b32 v74, v96, 0, v34
	v_lshrrev_b64 v[96:97], v41, v[34:35]
	s_delay_alu instid0(VALU_DEP_2) | instskip(NEXT) | instid1(VALU_DEP_2)
	v_cmp_eq_u64_e64 s10, v[74:75], v[98:99]
	v_mov_b64_e32 v[98:99], v[96:97]
	s_and_saveexec_b32 s42, s10
; %bb.1802:                             ;   in Loop: Header=BB2_1198 Depth=2
	v_bfe_u32 v34, v96, 21, 1
	s_delay_alu instid0(VALU_DEP_1) | instskip(NEXT) | instid1(VALU_DEP_1)
	v_add_nc_u64_e32 v[98:99], v[96:97], v[34:35]
	v_add_nc_u64_e32 v[98:99], -1, v[98:99]
; %bb.1803:                             ;   in Loop: Header=BB2_1198 Depth=2
	s_or_b32 exec_lo, exec_lo, s42
	v_add_nc_u32_e32 v34, 0xffffff81, v101
	v_lshrrev_b32_e32 v97, 23, v96
	s_mov_b32 s10, exec_lo
	s_delay_alu instid0(VALU_DEP_2) | instskip(NEXT) | instid1(VALU_DEP_1)
	v_cndmask_b32_e64 v34, v34, 0xffffff82, vcc_lo
	v_add3_u32 v99, v41, v34, v97
	v_and_b32_e32 v34, 0x1fffff, v98
                                        ; implicit-def: $vgpr98
	s_delay_alu instid0(VALU_DEP_1) | instskip(NEXT) | instid1(VALU_DEP_1)
	v_dual_add_nc_u32 v101, 14, v99 :: v_dual_add_nc_u32 v34, v34, v96
                                        ; implicit-def: $vgpr96_vgpr97
	v_cmpx_ne_u32_e32 0, v101
	s_xor_b32 s10, exec_lo, s10
; %bb.1804:                             ;   in Loop: Header=BB2_1198 Depth=2
	s_delay_alu instid0(VALU_DEP_2) | instskip(SKIP_1) | instid1(VALU_DEP_1)
	v_cmp_lt_u64_e32 vcc_lo, 0xffffff, v[34:35]
	v_add_nc_u32_e32 v96, 15, v99
	v_cndmask_b32_e32 v98, v101, v96, vcc_lo
	v_cndmask_b32_e64 v96, 0, 1, vcc_lo
	s_delay_alu instid0(VALU_DEP_1)
	v_lshrrev_b64 v[96:97], v96, v[34:35]
; %bb.1805:                             ;   in Loop: Header=BB2_1198 Depth=2
	s_and_not1_saveexec_b32 s10, s10
; %bb.1806:                             ;   in Loop: Header=BB2_1198 Depth=2
	v_mov_b64_e32 v[96:97], v[34:35]
	v_bfe_u32 v98, v34, 23, 1
; %bb.1807:                             ;   in Loop: Header=BB2_1198 Depth=2
	s_or_b32 exec_lo, exec_lo, s10
	s_delay_alu instid0(VALU_DEP_2) | instskip(NEXT) | instid1(VALU_DEP_2)
	v_lshrrev_b64 v[96:97], 21, v[96:97]
	v_cmp_gt_i32_e32 vcc_lo, 32, v98
	v_min_i32_e32 v34, 31, v98
	v_cmp_eq_u32_e64 s10, 0, v98
	s_delay_alu instid0(VALU_DEP_2) | instskip(SKIP_1) | instid1(VALU_DEP_2)
	v_dual_cndmask_b32 v97, 0, v97 :: v_dual_lshlrev_b32 v34, 2, v34
	v_cndmask_b32_e32 v96, 3, v96, vcc_lo
	v_and_b32_e32 v34, 0xfc, v34
	s_delay_alu instid0(VALU_DEP_2) | instskip(NEXT) | instid1(VALU_DEP_2)
	v_cmp_eq_u64_e32 vcc_lo, 0, v[96:97]
	v_and_or_b32 v34, v96, 3, v34
	s_and_b32 s10, s10, vcc_lo
	s_delay_alu instid0(VALU_DEP_1) | instid1(SALU_CYCLE_1)
	v_cndmask_b32_e64 v34, v34, 0, s10
	s_delay_alu instid0(VALU_DEP_1)
	v_or_b32_e32 v41, v34, v30
.LBB2_1808:                             ;   in Loop: Header=BB2_1198 Depth=2
	s_or_b32 exec_lo, exec_lo, s41
                                        ; implicit-def: $vgpr30
.LBB2_1809:                             ;   in Loop: Header=BB2_1198 Depth=2
	s_and_not1_saveexec_b32 s10, s40
; %bb.1810:                             ;   in Loop: Header=BB2_1198 Depth=2
	v_or_b32_e32 v41, 0x7b, v30
; %bb.1811:                             ;   in Loop: Header=BB2_1198 Depth=2
	s_or_b32 exec_lo, exec_lo, s10
                                        ; implicit-def: $vgpr96
                                        ; implicit-def: $vgpr30
.LBB2_1812:                             ;   in Loop: Header=BB2_1198 Depth=2
	s_and_not1_saveexec_b32 s10, s29
	s_cbranch_execz .LBB2_1818
; %bb.1813:                             ;   in Loop: Header=BB2_1198 Depth=2
	s_mov_b32 s29, exec_lo
                                        ; implicit-def: $vgpr41
	v_cmpx_ne_u64_e32 0, v[34:35]
	s_xor_b32 s29, exec_lo, s29
; %bb.1814:                             ;   in Loop: Header=BB2_1198 Depth=2
	v_or_b32_e32 v41, 0x7f, v30
                                        ; implicit-def: $vgpr96
; %bb.1815:                             ;   in Loop: Header=BB2_1198 Depth=2
	s_and_not1_saveexec_b32 s29, s29
; %bb.1816:                             ;   in Loop: Header=BB2_1198 Depth=2
	v_cmp_lt_i32_e32 vcc_lo, -1, v96
	v_cndmask_b32_e32 v41, 0xfc, v63, vcc_lo
; %bb.1817:                             ;   in Loop: Header=BB2_1198 Depth=2
	s_or_b32 exec_lo, exec_lo, s29
.LBB2_1818:                             ;   in Loop: Header=BB2_1198 Depth=2
	s_delay_alu instid0(SALU_CYCLE_1) | instskip(SKIP_4) | instid1(VALU_DEP_2)
	s_or_b32 exec_lo, exec_lo, s10
	v_lshl_or_b32 v30, v44, 8, v100
	v_dual_lshlrev_b32 v34, 16, v46 :: v_dual_lshlrev_b32 v96, 24, v47
	v_mov_b32_e32 v98, 0
	s_mov_b32 s10, exec_lo
	v_or3_b32 v34, v34, v96, v30
	v_cmpx_ne_u32_e32 0, v100
	s_cbranch_execz .LBB2_1828
; %bb.1819:                             ;   in Loop: Header=BB2_1198 Depth=2
	v_bfrev_b32_e32 v98, 1
	s_mov_b32 s29, exec_lo
	v_cmpx_ne_u32_e32 0x80, v100
	s_cbranch_execz .LBB2_1827
; %bb.1820:                             ;   in Loop: Header=BB2_1198 Depth=2
	v_and_b32_e32 v97, 0x7c, v100
	v_and_b32_e32 v96, 3, v100
	s_mov_b32 s40, exec_lo
                                        ; implicit-def: $vgpr98
	s_delay_alu instid0(VALU_DEP_2)
	v_cmpx_ne_u32_e32 0x7c, v97
	s_xor_b32 s40, exec_lo, s40
	s_cbranch_execz .LBB2_1824
; %bb.1821:                             ;   in Loop: Header=BB2_1198 Depth=2
	v_bfe_u32 v97, v100, 2, 5
	s_mov_b32 s41, exec_lo
	s_delay_alu instid0(VALU_DEP_1)
	v_cmpx_eq_u32_e32 0, v97
; %bb.1822:                             ;   in Loop: Header=BB2_1198 Depth=2
	v_clz_i32_u32_e32 v96, v96
	s_delay_alu instid0(VALU_DEP_1) | instskip(NEXT) | instid1(VALU_DEP_1)
	v_min_u32_e32 v98, 32, v96
	v_subrev_nc_u32_e32 v96, 29, v98
	s_delay_alu instid0(VALU_DEP_1) | instskip(NEXT) | instid1(VALU_DEP_1)
	v_lshlrev_b64_e32 v[96:97], v96, v[34:35]
	v_dual_sub_nc_u32 v97, 30, v98 :: v_dual_bitop2_b32 v96, 3, v96 bitop3:0x40
; %bb.1823:                             ;   in Loop: Header=BB2_1198 Depth=2
	s_or_b32 exec_lo, exec_lo, s41
	v_lshlrev_b32_e32 v98, 24, v100
                                        ; implicit-def: $vgpr100
	s_delay_alu instid0(VALU_DEP_1) | instskip(NEXT) | instid1(VALU_DEP_1)
	v_and_b32_e32 v98, 0x80000000, v98
	v_lshl_add_u32 v97, v97, 23, v98
	s_delay_alu instid0(VALU_DEP_1) | instskip(NEXT) | instid1(VALU_DEP_1)
	v_lshl_or_b32 v96, v96, 21, v97
	v_add_nc_u32_e32 v98, 0x38000000, v96
                                        ; implicit-def: $vgpr96
.LBB2_1824:                             ;   in Loop: Header=BB2_1198 Depth=2
	s_and_not1_saveexec_b32 s40, s40
; %bb.1825:                             ;   in Loop: Header=BB2_1198 Depth=2
	v_and_b32_e32 v97, 0x80, v100
	s_delay_alu instid0(VALU_DEP_1) | instskip(SKIP_2) | instid1(VALU_DEP_2)
	v_cmp_eq_u32_e32 vcc_lo, 0, v97
	v_cndmask_b32_e32 v97, 0xff800000, v62, vcc_lo
	v_cmp_eq_u32_e32 vcc_lo, 0, v96
	v_cndmask_b32_e32 v98, 0x7f800001, v97, vcc_lo
; %bb.1826:                             ;   in Loop: Header=BB2_1198 Depth=2
	s_or_b32 exec_lo, exec_lo, s40
.LBB2_1827:                             ;   in Loop: Header=BB2_1198 Depth=2
	s_delay_alu instid0(SALU_CYCLE_1)
	s_or_b32 exec_lo, exec_lo, s29
.LBB2_1828:                             ;   in Loop: Header=BB2_1198 Depth=2
	s_delay_alu instid0(SALU_CYCLE_1) | instskip(SKIP_4) | instid1(VALU_DEP_2)
	s_or_b32 exec_lo, exec_lo, s10
	v_and_b32_e32 v97, 0xff, v11
	v_mov_b32_e32 v96, v11
	s_mov_b32 s29, 0
	s_mov_b32 s10, exec_lo
	v_cmpx_lt_i16_e32 0x7f, v97
	s_xor_b32 s10, exec_lo, s10
	s_cbranch_execnz .LBB2_2225
; %bb.1829:                             ;   in Loop: Header=BB2_1198 Depth=2
	s_or_saveexec_b32 s10, s10
	v_bfrev_b32_e32 v99, 1
	s_xor_b32 exec_lo, exec_lo, s10
	s_cbranch_execnz .LBB2_2228
.LBB2_1830:                             ;   in Loop: Header=BB2_1198 Depth=2
	s_or_b32 exec_lo, exec_lo, s10
	v_mov_b32_e32 v97, v35
	s_and_saveexec_b32 s10, s29
	s_cbranch_execz .LBB2_1832
.LBB2_1831:                             ;   in Loop: Header=BB2_1198 Depth=2
	v_and_b32_e32 v99, 3, v11
	s_delay_alu instid0(VALU_DEP_1) | instskip(NEXT) | instid1(VALU_DEP_1)
	v_clz_i32_u32_e32 v100, v99
	v_min_u32_e32 v44, 32, v100
	s_delay_alu instid0(VALU_DEP_1) | instskip(SKIP_1) | instid1(VALU_DEP_2)
	v_subrev_nc_u32_e32 v100, 29, v44
	v_sub_nc_u32_e32 v44, 30, v44
	v_lshlrev_b64_e32 v[100:101], v100, v[96:97]
	v_bfe_u32 v101, v11, 2, 5
	v_lshlrev_b32_e32 v97, 24, v11
	s_delay_alu instid0(VALU_DEP_2) | instskip(NEXT) | instid1(VALU_DEP_2)
	v_cmp_eq_u32_e32 vcc_lo, 0, v101
	v_and_b32_e32 v97, 0x80000000, v97
	v_and_b32_e32 v100, 3, v100
	v_cndmask_b32_e32 v101, v101, v44, vcc_lo
	v_bfe_i32 v44, v11, 0, 8
	s_delay_alu instid0(VALU_DEP_3) | instskip(NEXT) | instid1(VALU_DEP_3)
	v_cndmask_b32_e32 v100, v99, v100, vcc_lo
	v_lshl_add_u32 v97, v101, 23, v97
	s_delay_alu instid0(VALU_DEP_3) | instskip(NEXT) | instid1(VALU_DEP_2)
	v_cmp_lt_i16_e32 vcc_lo, -1, v44
	v_lshl_or_b32 v97, v100, 21, v97
	v_cndmask_b32_e32 v101, 0xff800000, v62, vcc_lo
	v_and_b32_e32 v100, 0x7c, v11
	v_cmp_eq_u32_e32 vcc_lo, 0, v99
	s_delay_alu instid0(VALU_DEP_4) | instskip(NEXT) | instid1(VALU_DEP_4)
	v_add_nc_u32_e32 v97, 0x38000000, v97
	v_cndmask_b32_e32 v99, 0x7f800001, v101, vcc_lo
	s_delay_alu instid0(VALU_DEP_4) | instskip(NEXT) | instid1(VALU_DEP_2)
	v_cmp_eq_u32_e32 vcc_lo, 0x7c, v100
	v_cndmask_b32_e32 v99, v97, v99, vcc_lo
.LBB2_1832:                             ;   in Loop: Header=BB2_1198 Depth=2
	s_or_b32 exec_lo, exec_lo, s10
	s_delay_alu instid0(VALU_DEP_1) | instskip(SKIP_2) | instid1(VALU_DEP_2)
	v_dual_add_f32 v101, v98, v99 :: v_dual_mov_b32 v47, v35
	v_mov_b32_e32 v99, v35
                                        ; implicit-def: $vgpr100
	s_mov_b32 s10, exec_lo
	v_and_b32_e32 v46, 0x7f800000, v101
	v_and_b32_e32 v98, 0x7fffff, v101
	v_lshrrev_b32_e32 v97, 24, v101
	s_delay_alu instid0(VALU_DEP_3)
	v_cmpx_ne_u64_e32 0x7f800000, v[46:47]
	s_xor_b32 s29, exec_lo, s10
	s_cbranch_execz .LBB2_1846
; %bb.1833:                             ;   in Loop: Header=BB2_1198 Depth=2
	v_and_b32_e32 v46, 0x7fffffff, v101
	v_mov_b32_e32 v47, v35
	v_and_b32_e32 v97, 0x80, v97
                                        ; implicit-def: $vgpr100
	s_mov_b32 s10, exec_lo
	s_delay_alu instid0(VALU_DEP_2)
	v_cmpx_gt_u64_e32 0x47600001, v[46:47]
	s_xor_b32 s40, exec_lo, s10
	s_cbranch_execz .LBB2_1843
; %bb.1834:                             ;   in Loop: Header=BB2_1198 Depth=2
	v_mov_b32_e32 v100, 0
	s_mov_b32 s41, exec_lo
	v_cmpx_ne_u32_e32 0, v101
	s_cbranch_execz .LBB2_1842
; %bb.1835:                             ;   in Loop: Header=BB2_1198 Depth=2
	v_bfe_u32 v44, v101, 23, 8
	v_or_b32_e32 v47, 0x800000, v98
	s_delay_alu instid0(VALU_DEP_2) | instskip(SKIP_1) | instid1(VALU_DEP_2)
	v_sub_nc_u32_e32 v100, 0x71, v44
	v_cmp_gt_u32_e32 vcc_lo, 0x72, v44
	v_cndmask_b32_e32 v100, 0, v100, vcc_lo
	v_cmp_eq_u32_e32 vcc_lo, 0, v44
	s_delay_alu instid0(VALU_DEP_2) | instskip(SKIP_1) | instid1(VALU_DEP_2)
	v_cndmask_b32_e64 v46, v100, 0x70, vcc_lo
	v_cndmask_b32_e32 v98, v47, v98, vcc_lo
	v_dual_add_nc_u32 v100, 21, v46 :: v_dual_add_nc_u32 v73, 20, v46
	s_delay_alu instid0(VALU_DEP_1) | instskip(NEXT) | instid1(VALU_DEP_2)
	v_lshlrev_b64_e64 v[100:101], v100, -1
	v_lshlrev_b64_e64 v[74:75], v73, 1
	s_delay_alu instid0(VALU_DEP_2) | instskip(SKIP_1) | instid1(VALU_DEP_4)
	v_bfi_b32 v100, v100, 0, v98
	v_lshrrev_b64 v[98:99], v46, v[98:99]
	v_bfi_b32 v101, v101, 0, 0
	s_delay_alu instid0(VALU_DEP_1) | instskip(NEXT) | instid1(VALU_DEP_3)
	v_cmp_eq_u64_e64 s10, v[100:101], v[74:75]
	v_mov_b64_e32 v[100:101], v[98:99]
	s_and_saveexec_b32 s42, s10
; %bb.1836:                             ;   in Loop: Header=BB2_1198 Depth=2
	v_bfe_u32 v100, v98, 21, 1
	v_mov_b32_e32 v101, v35
	s_delay_alu instid0(VALU_DEP_1) | instskip(NEXT) | instid1(VALU_DEP_1)
	v_add_nc_u64_e32 v[100:101], v[98:99], v[100:101]
	v_add_nc_u64_e32 v[100:101], -1, v[100:101]
; %bb.1837:                             ;   in Loop: Header=BB2_1198 Depth=2
	s_or_b32 exec_lo, exec_lo, s42
	v_add_nc_u32_e32 v99, 0xffffff81, v44
	v_lshrrev_b32_e32 v101, 23, v98
	s_mov_b32 s10, exec_lo
	s_delay_alu instid0(VALU_DEP_2) | instskip(NEXT) | instid1(VALU_DEP_1)
	v_cndmask_b32_e64 v99, v99, 0xffffff82, vcc_lo
	v_add3_u32 v101, v46, v99, v101
	v_and_b32_e32 v99, 0x1fffff, v100
                                        ; implicit-def: $vgpr100
	s_delay_alu instid0(VALU_DEP_1) | instskip(SKIP_1) | instid1(VALU_DEP_2)
	v_dual_add_nc_u32 v44, 14, v101 :: v_dual_add_nc_u32 v98, v99, v98
	v_mov_b32_e32 v99, v35
	v_cmpx_ne_u32_e32 0, v44
	s_xor_b32 s10, exec_lo, s10
; %bb.1838:                             ;   in Loop: Header=BB2_1198 Depth=2
	s_delay_alu instid0(VALU_DEP_2) | instskip(SKIP_2) | instid1(VALU_DEP_2)
	v_cmp_lt_u64_e32 vcc_lo, 0xffffff, v[98:99]
	v_add_nc_u32_e32 v100, 15, v101
	v_cndmask_b32_e64 v101, 0, 1, vcc_lo
	v_cndmask_b32_e32 v100, v44, v100, vcc_lo
	s_delay_alu instid0(VALU_DEP_2)
	v_lshrrev_b64 v[98:99], v101, v[98:99]
; %bb.1839:                             ;   in Loop: Header=BB2_1198 Depth=2
	s_and_not1_saveexec_b32 s10, s10
; %bb.1840:                             ;   in Loop: Header=BB2_1198 Depth=2
	s_delay_alu instid0(VALU_DEP_1)
	v_bfe_u32 v100, v98, 23, 1
; %bb.1841:                             ;   in Loop: Header=BB2_1198 Depth=2
	s_or_b32 exec_lo, exec_lo, s10
	s_delay_alu instid0(VALU_DEP_2) | instskip(NEXT) | instid1(VALU_DEP_2)
	v_lshrrev_b64 v[98:99], 21, v[98:99]
	v_cmp_gt_i32_e32 vcc_lo, 32, v100
	v_min_i32_e32 v101, 31, v100
	v_cmp_eq_u32_e64 s10, 0, v100
	s_delay_alu instid0(VALU_DEP_2) | instskip(SKIP_1) | instid1(VALU_DEP_2)
	v_dual_cndmask_b32 v99, 0, v99, vcc_lo :: v_dual_lshlrev_b32 v101, 2, v101
	v_cndmask_b32_e32 v98, 3, v98, vcc_lo
	v_and_b32_e32 v101, 0xfc, v101
	s_delay_alu instid0(VALU_DEP_2) | instskip(NEXT) | instid1(VALU_DEP_2)
	v_cmp_eq_u64_e32 vcc_lo, 0, v[98:99]
	v_and_or_b32 v98, v98, 3, v101
	s_and_b32 s10, s10, vcc_lo
	s_delay_alu instid0(VALU_DEP_1) | instid1(SALU_CYCLE_1)
	v_cndmask_b32_e64 v98, v98, 0, s10
	s_delay_alu instid0(VALU_DEP_1)
	v_or_b32_e32 v100, v98, v97
.LBB2_1842:                             ;   in Loop: Header=BB2_1198 Depth=2
	s_or_b32 exec_lo, exec_lo, s41
                                        ; implicit-def: $vgpr97
.LBB2_1843:                             ;   in Loop: Header=BB2_1198 Depth=2
	s_and_not1_saveexec_b32 s10, s40
; %bb.1844:                             ;   in Loop: Header=BB2_1198 Depth=2
	v_or_b32_e32 v100, 0x7b, v97
; %bb.1845:                             ;   in Loop: Header=BB2_1198 Depth=2
	s_or_b32 exec_lo, exec_lo, s10
                                        ; implicit-def: $vgpr101
                                        ; implicit-def: $vgpr98_vgpr99
                                        ; implicit-def: $vgpr97
.LBB2_1846:                             ;   in Loop: Header=BB2_1198 Depth=2
	s_and_not1_saveexec_b32 s10, s29
	s_cbranch_execz .LBB2_1852
; %bb.1847:                             ;   in Loop: Header=BB2_1198 Depth=2
	s_mov_b32 s29, exec_lo
                                        ; implicit-def: $vgpr100
	v_cmpx_ne_u64_e32 0, v[98:99]
	s_xor_b32 s29, exec_lo, s29
; %bb.1848:                             ;   in Loop: Header=BB2_1198 Depth=2
	v_or_b32_e32 v100, 0x7f, v97
                                        ; implicit-def: $vgpr101
; %bb.1849:                             ;   in Loop: Header=BB2_1198 Depth=2
	s_and_not1_saveexec_b32 s29, s29
; %bb.1850:                             ;   in Loop: Header=BB2_1198 Depth=2
	v_cmp_lt_i32_e32 vcc_lo, -1, v101
	v_cndmask_b32_e32 v100, 0xfc, v63, vcc_lo
; %bb.1851:                             ;   in Loop: Header=BB2_1198 Depth=2
	s_or_b32 exec_lo, exec_lo, s29
.LBB2_1852:                             ;   in Loop: Header=BB2_1198 Depth=2
	s_delay_alu instid0(SALU_CYCLE_1) | instskip(SKIP_3) | instid1(VALU_DEP_2)
	s_or_b32 exec_lo, exec_lo, s10
	v_lshrrev_b16 v98, 8, v30
	v_mov_b32_e32 v97, 0
	s_mov_b32 s10, exec_lo
	v_cmpx_ne_u16_e32 0, v98
	s_cbranch_execz .LBB2_1862
; %bb.1853:                             ;   in Loop: Header=BB2_1198 Depth=2
	v_bfrev_b32_e32 v97, 1
	s_mov_b32 s29, exec_lo
	v_cmpx_ne_u16_e32 0x80, v98
	s_cbranch_execz .LBB2_1861
; %bb.1854:                             ;   in Loop: Header=BB2_1198 Depth=2
	v_and_b32_e32 v101, 0xffff, v98
	s_delay_alu instid0(VALU_DEP_1) | instskip(SKIP_1) | instid1(VALU_DEP_2)
	v_and_b32_e32 v97, 0x7c, v101
	v_and_b32_e32 v99, 3, v101
	v_cmp_ne_u32_e32 vcc_lo, 0x7c, v97
                                        ; implicit-def: $vgpr97
	s_and_saveexec_b32 s40, vcc_lo
	s_delay_alu instid0(SALU_CYCLE_1)
	s_xor_b32 s40, exec_lo, s40
	s_cbranch_execz .LBB2_1858
; %bb.1855:                             ;   in Loop: Header=BB2_1198 Depth=2
	v_bfe_u32 v97, v101, 2, 5
	s_mov_b32 s41, exec_lo
	s_delay_alu instid0(VALU_DEP_1)
	v_cmpx_eq_u32_e32 0, v97
	s_cbranch_execz .LBB2_1857
; %bb.1856:                             ;   in Loop: Header=BB2_1198 Depth=2
	v_clz_i32_u32_e32 v97, v99
	s_delay_alu instid0(VALU_DEP_1) | instskip(SKIP_1) | instid1(VALU_DEP_2)
	v_min_u32_e32 v97, 32, v97
	v_mov_b32_e32 v99, v35
	v_subrev_nc_u32_e32 v101, 29, v97
	v_sub_nc_u32_e32 v97, 30, v97
	s_delay_alu instid0(VALU_DEP_2) | instskip(NEXT) | instid1(VALU_DEP_1)
	v_lshlrev_b64_e32 v[98:99], v101, v[98:99]
	v_and_b32_e32 v99, 3, v98
.LBB2_1857:                             ;   in Loop: Header=BB2_1198 Depth=2
	s_or_b32 exec_lo, exec_lo, s41
	v_lshlrev_b32_e32 v30, 16, v30
	s_delay_alu instid0(VALU_DEP_1) | instskip(NEXT) | instid1(VALU_DEP_1)
	v_and_b32_e32 v30, 0x80000000, v30
	v_lshl_add_u32 v30, v97, 23, v30
	s_delay_alu instid0(VALU_DEP_1) | instskip(NEXT) | instid1(VALU_DEP_1)
	v_lshl_or_b32 v30, v99, 21, v30
                                        ; implicit-def: $vgpr99
	v_add_nc_u32_e32 v97, 0x38000000, v30
                                        ; implicit-def: $vgpr30
.LBB2_1858:                             ;   in Loop: Header=BB2_1198 Depth=2
	s_and_not1_saveexec_b32 s40, s40
; %bb.1859:                             ;   in Loop: Header=BB2_1198 Depth=2
	v_cmp_lt_i16_e32 vcc_lo, -1, v30
	v_cndmask_b32_e32 v30, 0xff800000, v62, vcc_lo
	v_cmp_eq_u32_e32 vcc_lo, 0, v99
	s_delay_alu instid0(VALU_DEP_2)
	v_cndmask_b32_e32 v97, 0x7f800001, v30, vcc_lo
; %bb.1860:                             ;   in Loop: Header=BB2_1198 Depth=2
	s_or_b32 exec_lo, exec_lo, s40
.LBB2_1861:                             ;   in Loop: Header=BB2_1198 Depth=2
	s_delay_alu instid0(SALU_CYCLE_1)
	s_or_b32 exec_lo, exec_lo, s29
.LBB2_1862:                             ;   in Loop: Header=BB2_1198 Depth=2
	s_delay_alu instid0(SALU_CYCLE_1) | instskip(SKIP_3) | instid1(VALU_DEP_1)
	s_or_b32 exec_lo, exec_lo, s10
	v_lshrrev_b16 v98, 8, v96
	s_mov_b32 s29, 0
	s_mov_b32 s10, exec_lo
	v_cmpx_lt_i16_e32 0x7f, v98
	s_xor_b32 s10, exec_lo, s10
	s_cbranch_execnz .LBB2_2229
; %bb.1863:                             ;   in Loop: Header=BB2_1198 Depth=2
	s_or_saveexec_b32 s10, s10
	v_bfrev_b32_e32 v30, 1
	s_xor_b32 exec_lo, exec_lo, s10
	s_cbranch_execnz .LBB2_2232
.LBB2_1864:                             ;   in Loop: Header=BB2_1198 Depth=2
	s_or_b32 exec_lo, exec_lo, s10
	s_and_saveexec_b32 s10, s29
	s_cbranch_execz .LBB2_1866
.LBB2_1865:                             ;   in Loop: Header=BB2_1198 Depth=2
	v_and_b32_e32 v30, 0xffff, v98
	s_delay_alu instid0(VALU_DEP_1) | instskip(NEXT) | instid1(VALU_DEP_1)
	v_and_b32_e32 v101, 3, v30
	v_clz_i32_u32_e32 v99, v101
	s_delay_alu instid0(VALU_DEP_1) | instskip(SKIP_1) | instid1(VALU_DEP_2)
	v_min_u32_e32 v44, 32, v99
	v_mov_b32_e32 v99, v35
	v_subrev_nc_u32_e32 v46, 29, v44
	v_sub_nc_u32_e32 v44, 30, v44
	s_delay_alu instid0(VALU_DEP_2) | instskip(SKIP_3) | instid1(VALU_DEP_3)
	v_lshlrev_b64_e32 v[46:47], v46, v[98:99]
	v_bfe_u32 v99, v30, 2, 5
	v_lshlrev_b32_e32 v98, 24, v98
	v_and_b32_e32 v30, 0x7c, v30
	v_cmp_eq_u32_e32 vcc_lo, 0, v99
	s_delay_alu instid0(VALU_DEP_3) | instskip(SKIP_1) | instid1(VALU_DEP_1)
	v_and_b32_e32 v98, 0x80000000, v98
	v_dual_cndmask_b32 v99, v99, v44, vcc_lo :: v_dual_bitop2_b32 v46, 3, v46 bitop3:0x40
	v_cndmask_b32_e32 v44, v101, v46, vcc_lo
	v_cmp_lt_i16_e32 vcc_lo, -1, v96
	s_delay_alu instid0(VALU_DEP_3) | instskip(SKIP_2) | instid1(VALU_DEP_3)
	v_lshl_add_u32 v98, v99, 23, v98
	v_cndmask_b32_e32 v96, 0xff800000, v62, vcc_lo
	v_cmp_eq_u32_e32 vcc_lo, 0, v101
	v_lshl_or_b32 v98, v44, 21, v98
	s_delay_alu instid0(VALU_DEP_3) | instskip(NEXT) | instid1(VALU_DEP_2)
	v_cndmask_b32_e32 v96, 0x7f800001, v96, vcc_lo
	v_add_nc_u32_e32 v98, 0x38000000, v98
	v_cmp_eq_u32_e32 vcc_lo, 0x7c, v30
	s_delay_alu instid0(VALU_DEP_2)
	v_cndmask_b32_e32 v30, v98, v96, vcc_lo
.LBB2_1866:                             ;   in Loop: Header=BB2_1198 Depth=2
	s_or_b32 exec_lo, exec_lo, s10
	s_delay_alu instid0(VALU_DEP_1) | instskip(SKIP_2) | instid1(VALU_DEP_2)
	v_dual_add_f32 v98, v97, v30 :: v_dual_mov_b32 v47, v35
	v_mov_b32_e32 v97, v35
                                        ; implicit-def: $vgpr101
	s_mov_b32 s10, exec_lo
	v_and_b32_e32 v46, 0x7f800000, v98
	v_and_b32_e32 v96, 0x7fffff, v98
	v_lshrrev_b32_e32 v30, 24, v98
	s_delay_alu instid0(VALU_DEP_3)
	v_cmpx_ne_u64_e32 0x7f800000, v[46:47]
	s_xor_b32 s29, exec_lo, s10
	s_cbranch_execz .LBB2_1880
; %bb.1867:                             ;   in Loop: Header=BB2_1198 Depth=2
	v_and_b32_e32 v46, 0x7fffffff, v98
	v_mov_b32_e32 v47, v35
	v_and_b32_e32 v30, 0x80, v30
                                        ; implicit-def: $vgpr101
	s_mov_b32 s10, exec_lo
	s_delay_alu instid0(VALU_DEP_2)
	v_cmpx_gt_u64_e32 0x47600001, v[46:47]
	s_xor_b32 s40, exec_lo, s10
	s_cbranch_execz .LBB2_1877
; %bb.1868:                             ;   in Loop: Header=BB2_1198 Depth=2
	v_mov_b32_e32 v101, 0
	s_mov_b32 s41, exec_lo
	v_cmpx_ne_u32_e32 0, v98
	s_cbranch_execz .LBB2_1876
; %bb.1869:                             ;   in Loop: Header=BB2_1198 Depth=2
	v_bfe_u32 v101, v98, 23, 8
	v_or_b32_e32 v46, 0x800000, v96
	s_delay_alu instid0(VALU_DEP_2) | instskip(SKIP_1) | instid1(VALU_DEP_2)
	v_sub_nc_u32_e32 v98, 0x71, v101
	v_cmp_gt_u32_e32 vcc_lo, 0x72, v101
	v_cndmask_b32_e32 v98, 0, v98, vcc_lo
	v_cmp_eq_u32_e32 vcc_lo, 0, v101
	s_delay_alu instid0(VALU_DEP_2) | instskip(SKIP_1) | instid1(VALU_DEP_2)
	v_cndmask_b32_e64 v44, v98, 0x70, vcc_lo
	v_cndmask_b32_e32 v96, v46, v96, vcc_lo
	v_dual_add_nc_u32 v98, 21, v44 :: v_dual_add_nc_u32 v47, 20, v44
	s_delay_alu instid0(VALU_DEP_1) | instskip(NEXT) | instid1(VALU_DEP_2)
	v_lshlrev_b64_e64 v[98:99], v98, -1
	v_lshlrev_b64_e64 v[46:47], v47, 1
	s_delay_alu instid0(VALU_DEP_2) | instskip(SKIP_1) | instid1(VALU_DEP_4)
	v_bfi_b32 v98, v98, 0, v96
	v_lshrrev_b64 v[96:97], v44, v[96:97]
	v_bfi_b32 v99, v99, 0, 0
	s_delay_alu instid0(VALU_DEP_1) | instskip(NEXT) | instid1(VALU_DEP_3)
	v_cmp_eq_u64_e64 s10, v[98:99], v[46:47]
	v_mov_b64_e32 v[98:99], v[96:97]
	s_and_saveexec_b32 s42, s10
; %bb.1870:                             ;   in Loop: Header=BB2_1198 Depth=2
	v_bfe_u32 v98, v96, 21, 1
	v_mov_b32_e32 v99, v35
	s_delay_alu instid0(VALU_DEP_1) | instskip(NEXT) | instid1(VALU_DEP_1)
	v_add_nc_u64_e32 v[98:99], v[96:97], v[98:99]
	v_add_nc_u64_e32 v[98:99], -1, v[98:99]
; %bb.1871:                             ;   in Loop: Header=BB2_1198 Depth=2
	s_or_b32 exec_lo, exec_lo, s42
	v_add_nc_u32_e32 v97, 0xffffff81, v101
	v_lshrrev_b32_e32 v99, 23, v96
	s_mov_b32 s10, exec_lo
	s_delay_alu instid0(VALU_DEP_2) | instskip(NEXT) | instid1(VALU_DEP_1)
	v_cndmask_b32_e64 v97, v97, 0xffffff82, vcc_lo
	v_add3_u32 v99, v44, v97, v99
	v_and_b32_e32 v97, 0x1fffff, v98
                                        ; implicit-def: $vgpr98
	s_delay_alu instid0(VALU_DEP_1) | instskip(SKIP_1) | instid1(VALU_DEP_2)
	v_dual_add_nc_u32 v101, 14, v99 :: v_dual_add_nc_u32 v96, v97, v96
	v_mov_b32_e32 v97, v35
	v_cmpx_ne_u32_e32 0, v101
	s_xor_b32 s10, exec_lo, s10
; %bb.1872:                             ;   in Loop: Header=BB2_1198 Depth=2
	s_delay_alu instid0(VALU_DEP_2) | instskip(SKIP_2) | instid1(VALU_DEP_2)
	v_cmp_lt_u64_e32 vcc_lo, 0xffffff, v[96:97]
	v_add_nc_u32_e32 v98, 15, v99
	v_cndmask_b32_e64 v99, 0, 1, vcc_lo
	v_cndmask_b32_e32 v98, v101, v98, vcc_lo
	s_delay_alu instid0(VALU_DEP_2)
	v_lshrrev_b64 v[96:97], v99, v[96:97]
; %bb.1873:                             ;   in Loop: Header=BB2_1198 Depth=2
	s_and_not1_saveexec_b32 s10, s10
; %bb.1874:                             ;   in Loop: Header=BB2_1198 Depth=2
	s_delay_alu instid0(VALU_DEP_1)
	v_bfe_u32 v98, v96, 23, 1
; %bb.1875:                             ;   in Loop: Header=BB2_1198 Depth=2
	s_or_b32 exec_lo, exec_lo, s10
	s_delay_alu instid0(VALU_DEP_2) | instskip(NEXT) | instid1(VALU_DEP_2)
	v_lshrrev_b64 v[96:97], 21, v[96:97]
	v_cmp_gt_i32_e32 vcc_lo, 32, v98
	v_min_i32_e32 v99, 31, v98
	v_cmp_eq_u32_e64 s10, 0, v98
	s_delay_alu instid0(VALU_DEP_2) | instskip(SKIP_1) | instid1(VALU_DEP_2)
	v_dual_cndmask_b32 v97, 0, v97, vcc_lo :: v_dual_lshlrev_b32 v99, 2, v99
	v_cndmask_b32_e32 v96, 3, v96, vcc_lo
	v_and_b32_e32 v99, 0xfc, v99
	s_delay_alu instid0(VALU_DEP_2) | instskip(NEXT) | instid1(VALU_DEP_2)
	v_cmp_eq_u64_e32 vcc_lo, 0, v[96:97]
	v_and_or_b32 v96, v96, 3, v99
	s_and_b32 s10, s10, vcc_lo
	s_delay_alu instid0(VALU_DEP_1) | instid1(SALU_CYCLE_1)
	v_cndmask_b32_e64 v96, v96, 0, s10
	s_delay_alu instid0(VALU_DEP_1)
	v_or_b32_e32 v101, v96, v30
.LBB2_1876:                             ;   in Loop: Header=BB2_1198 Depth=2
	s_or_b32 exec_lo, exec_lo, s41
                                        ; implicit-def: $vgpr30
.LBB2_1877:                             ;   in Loop: Header=BB2_1198 Depth=2
	s_and_not1_saveexec_b32 s10, s40
; %bb.1878:                             ;   in Loop: Header=BB2_1198 Depth=2
	v_or_b32_e32 v101, 0x7b, v30
; %bb.1879:                             ;   in Loop: Header=BB2_1198 Depth=2
	s_or_b32 exec_lo, exec_lo, s10
                                        ; implicit-def: $vgpr98
                                        ; implicit-def: $vgpr96_vgpr97
                                        ; implicit-def: $vgpr30
.LBB2_1880:                             ;   in Loop: Header=BB2_1198 Depth=2
	s_and_not1_saveexec_b32 s10, s29
	s_cbranch_execz .LBB2_1886
; %bb.1881:                             ;   in Loop: Header=BB2_1198 Depth=2
	s_mov_b32 s29, exec_lo
                                        ; implicit-def: $vgpr101
	v_cmpx_ne_u64_e32 0, v[96:97]
	s_xor_b32 s29, exec_lo, s29
; %bb.1882:                             ;   in Loop: Header=BB2_1198 Depth=2
	v_or_b32_e32 v101, 0x7f, v30
                                        ; implicit-def: $vgpr98
; %bb.1883:                             ;   in Loop: Header=BB2_1198 Depth=2
	s_and_not1_saveexec_b32 s29, s29
; %bb.1884:                             ;   in Loop: Header=BB2_1198 Depth=2
	v_cmp_lt_i32_e32 vcc_lo, -1, v98
	v_cndmask_b32_e32 v101, 0xfc, v63, vcc_lo
; %bb.1885:                             ;   in Loop: Header=BB2_1198 Depth=2
	s_or_b32 exec_lo, exec_lo, s29
.LBB2_1886:                             ;   in Loop: Header=BB2_1198 Depth=2
	s_delay_alu instid0(SALU_CYCLE_1) | instskip(SKIP_2) | instid1(VALU_DEP_1)
	s_or_b32 exec_lo, exec_lo, s10
	v_dual_lshrrev_b32 v30, 16, v34 :: v_dual_mov_b32 v96, 0
	s_mov_b32 s10, exec_lo
	v_and_b32_e32 v97, 0xff, v30
	s_delay_alu instid0(VALU_DEP_1)
	v_cmpx_ne_u16_e32 0, v97
	s_cbranch_execz .LBB2_1896
; %bb.1887:                             ;   in Loop: Header=BB2_1198 Depth=2
	v_bfrev_b32_e32 v96, 1
	s_mov_b32 s29, exec_lo
	v_cmpx_ne_u16_e32 0x80, v97
	s_cbranch_execz .LBB2_1895
; %bb.1888:                             ;   in Loop: Header=BB2_1198 Depth=2
	v_and_b32_e32 v96, 0x7c0000, v34
	v_bfe_u32 v97, v34, 16, 2
	s_delay_alu instid0(VALU_DEP_2) | instskip(SKIP_1) | instid1(SALU_CYCLE_1)
	v_cmp_ne_u32_e32 vcc_lo, 0x7c0000, v96
                                        ; implicit-def: $vgpr96
	s_and_saveexec_b32 s40, vcc_lo
	s_xor_b32 s40, exec_lo, s40
	s_cbranch_execz .LBB2_1892
; %bb.1889:                             ;   in Loop: Header=BB2_1198 Depth=2
	v_bfe_u32 v96, v34, 18, 5
	s_mov_b32 s41, exec_lo
	s_delay_alu instid0(VALU_DEP_1)
	v_cmpx_eq_u32_e32 0, v96
; %bb.1890:                             ;   in Loop: Header=BB2_1198 Depth=2
	v_clz_i32_u32_e32 v96, v97
	s_delay_alu instid0(VALU_DEP_1) | instskip(NEXT) | instid1(VALU_DEP_1)
	v_min_u32_e32 v96, 32, v96
	v_subrev_nc_u32_e32 v97, 29, v96
	s_delay_alu instid0(VALU_DEP_1) | instskip(NEXT) | instid1(VALU_DEP_1)
	v_lshlrev_b64_e32 v[98:99], v97, v[30:31]
	v_dual_sub_nc_u32 v96, 30, v96 :: v_dual_bitop2_b32 v97, 3, v98 bitop3:0x40
; %bb.1891:                             ;   in Loop: Header=BB2_1198 Depth=2
	s_or_b32 exec_lo, exec_lo, s41
	v_lshlrev_b32_e32 v30, 24, v30
	s_delay_alu instid0(VALU_DEP_1) | instskip(NEXT) | instid1(VALU_DEP_1)
	v_and_b32_e32 v30, 0x80000000, v30
	v_lshl_add_u32 v30, v96, 23, v30
	s_delay_alu instid0(VALU_DEP_1) | instskip(NEXT) | instid1(VALU_DEP_1)
	v_lshl_or_b32 v30, v97, 21, v30
                                        ; implicit-def: $vgpr97
	v_add_nc_u32_e32 v96, 0x38000000, v30
                                        ; implicit-def: $vgpr30
.LBB2_1892:                             ;   in Loop: Header=BB2_1198 Depth=2
	s_and_not1_saveexec_b32 s40, s40
; %bb.1893:                             ;   in Loop: Header=BB2_1198 Depth=2
	v_bfe_i32 v30, v30, 0, 8
	s_delay_alu instid0(VALU_DEP_1) | instskip(SKIP_2) | instid1(VALU_DEP_2)
	v_cmp_lt_i16_e32 vcc_lo, -1, v30
	v_cndmask_b32_e32 v30, 0xff800000, v62, vcc_lo
	v_cmp_eq_u32_e32 vcc_lo, 0, v97
	v_cndmask_b32_e32 v96, 0x7f800001, v30, vcc_lo
; %bb.1894:                             ;   in Loop: Header=BB2_1198 Depth=2
	s_or_b32 exec_lo, exec_lo, s40
.LBB2_1895:                             ;   in Loop: Header=BB2_1198 Depth=2
	s_delay_alu instid0(SALU_CYCLE_1)
	s_or_b32 exec_lo, exec_lo, s29
.LBB2_1896:                             ;   in Loop: Header=BB2_1198 Depth=2
	s_delay_alu instid0(SALU_CYCLE_1) | instskip(SKIP_3) | instid1(VALU_DEP_1)
	s_or_b32 exec_lo, exec_lo, s10
	v_lshrrev_b32_e32 v30, 16, v11
	s_mov_b32 s29, 0
	s_mov_b32 s10, exec_lo
	v_and_b32_e32 v98, 0xff, v30
	s_delay_alu instid0(VALU_DEP_1)
	v_cmpx_lt_i16_e32 0x7f, v98
	s_xor_b32 s10, exec_lo, s10
	s_cbranch_execnz .LBB2_2233
; %bb.1897:                             ;   in Loop: Header=BB2_1198 Depth=2
	s_or_saveexec_b32 s10, s10
	v_bfrev_b32_e32 v97, 1
	s_xor_b32 exec_lo, exec_lo, s10
	s_cbranch_execnz .LBB2_2236
.LBB2_1898:                             ;   in Loop: Header=BB2_1198 Depth=2
	s_or_b32 exec_lo, exec_lo, s10
	s_and_saveexec_b32 s10, s29
	s_cbranch_execz .LBB2_1900
.LBB2_1899:                             ;   in Loop: Header=BB2_1198 Depth=2
	v_and_b32_e32 v97, 3, v30
	v_bfe_u32 v46, v11, 18, 5
	s_delay_alu instid0(VALU_DEP_2) | instskip(NEXT) | instid1(VALU_DEP_2)
	v_clz_i32_u32_e32 v98, v97
	v_cmp_eq_u32_e32 vcc_lo, 0, v46
	s_delay_alu instid0(VALU_DEP_2) | instskip(NEXT) | instid1(VALU_DEP_1)
	v_min_u32_e32 v44, 32, v98
	v_subrev_nc_u32_e32 v98, 29, v44
	s_delay_alu instid0(VALU_DEP_1) | instskip(SKIP_2) | instid1(VALU_DEP_2)
	v_lshlrev_b64_e32 v[98:99], v98, v[30:31]
	v_dual_lshlrev_b32 v99, 24, v30 :: v_dual_sub_nc_u32 v44, 30, v44
	v_bfe_i32 v30, v30, 0, 8
	v_and_b32_e32 v99, 0x80000000, v99
	s_delay_alu instid0(VALU_DEP_3) | instskip(NEXT) | instid1(VALU_DEP_1)
	v_dual_cndmask_b32 v44, v46, v44, vcc_lo :: v_dual_bitop2_b32 v98, 3, v98 bitop3:0x40
	v_cndmask_b32_e32 v98, v97, v98, vcc_lo
	s_delay_alu instid0(VALU_DEP_2) | instskip(SKIP_1) | instid1(VALU_DEP_2)
	v_lshl_add_u32 v99, v44, 23, v99
	v_cmp_lt_i16_e32 vcc_lo, -1, v30
	v_lshl_or_b32 v98, v98, 21, v99
	v_cndmask_b32_e32 v30, 0xff800000, v62, vcc_lo
	v_and_b32_e32 v99, 0x7c0000, v11
	v_cmp_eq_u32_e32 vcc_lo, 0, v97
	s_delay_alu instid0(VALU_DEP_4) | instskip(NEXT) | instid1(VALU_DEP_4)
	v_add_nc_u32_e32 v97, 0x38000000, v98
	v_cndmask_b32_e32 v30, 0x7f800001, v30, vcc_lo
	s_delay_alu instid0(VALU_DEP_4) | instskip(NEXT) | instid1(VALU_DEP_2)
	v_cmp_eq_u32_e32 vcc_lo, 0x7c0000, v99
	v_cndmask_b32_e32 v97, v97, v30, vcc_lo
.LBB2_1900:                             ;   in Loop: Header=BB2_1198 Depth=2
	s_or_b32 exec_lo, exec_lo, s10
	s_delay_alu instid0(VALU_DEP_1) | instskip(SKIP_2) | instid1(VALU_DEP_2)
	v_dual_add_f32 v98, v96, v97 :: v_dual_mov_b32 v47, v35
	v_mov_b32_e32 v97, v35
                                        ; implicit-def: $vgpr44
	s_mov_b32 s10, exec_lo
	v_and_b32_e32 v46, 0x7f800000, v98
	v_and_b32_e32 v96, 0x7fffff, v98
	v_lshrrev_b32_e32 v30, 24, v98
	s_delay_alu instid0(VALU_DEP_3)
	v_cmpx_ne_u64_e32 0x7f800000, v[46:47]
	s_xor_b32 s29, exec_lo, s10
	s_cbranch_execz .LBB2_1914
; %bb.1901:                             ;   in Loop: Header=BB2_1198 Depth=2
	v_and_b32_e32 v46, 0x7fffffff, v98
	v_mov_b32_e32 v47, v35
	v_and_b32_e32 v30, 0x80, v30
                                        ; implicit-def: $vgpr44
	s_mov_b32 s10, exec_lo
	s_delay_alu instid0(VALU_DEP_2)
	v_cmpx_gt_u64_e32 0x47600001, v[46:47]
	s_xor_b32 s40, exec_lo, s10
	s_cbranch_execz .LBB2_1911
; %bb.1902:                             ;   in Loop: Header=BB2_1198 Depth=2
	v_mov_b32_e32 v44, 0
	s_mov_b32 s41, exec_lo
	v_cmpx_ne_u32_e32 0, v98
	s_cbranch_execz .LBB2_1910
; %bb.1903:                             ;   in Loop: Header=BB2_1198 Depth=2
	v_bfe_u32 v44, v98, 23, 8
	v_or_b32_e32 v47, 0x800000, v96
	s_delay_alu instid0(VALU_DEP_2) | instskip(SKIP_1) | instid1(VALU_DEP_2)
	v_sub_nc_u32_e32 v98, 0x71, v44
	v_cmp_gt_u32_e32 vcc_lo, 0x72, v44
	v_cndmask_b32_e32 v98, 0, v98, vcc_lo
	v_cmp_eq_u32_e32 vcc_lo, 0, v44
	v_cndmask_b32_e32 v96, v47, v96, vcc_lo
	s_delay_alu instid0(VALU_DEP_3) | instskip(NEXT) | instid1(VALU_DEP_1)
	v_cndmask_b32_e64 v46, v98, 0x70, vcc_lo
	v_dual_add_nc_u32 v98, 21, v46 :: v_dual_add_nc_u32 v73, 20, v46
	s_delay_alu instid0(VALU_DEP_1) | instskip(NEXT) | instid1(VALU_DEP_2)
	v_lshlrev_b64_e64 v[98:99], v98, -1
	v_lshlrev_b64_e64 v[74:75], v73, 1
	s_delay_alu instid0(VALU_DEP_2) | instskip(SKIP_1) | instid1(VALU_DEP_4)
	v_bfi_b32 v98, v98, 0, v96
	v_lshrrev_b64 v[96:97], v46, v[96:97]
	v_bfi_b32 v99, v99, 0, 0
	s_delay_alu instid0(VALU_DEP_1) | instskip(NEXT) | instid1(VALU_DEP_3)
	v_cmp_eq_u64_e64 s10, v[98:99], v[74:75]
	v_mov_b64_e32 v[98:99], v[96:97]
	s_and_saveexec_b32 s42, s10
; %bb.1904:                             ;   in Loop: Header=BB2_1198 Depth=2
	v_bfe_u32 v98, v96, 21, 1
	v_mov_b32_e32 v99, v35
	s_delay_alu instid0(VALU_DEP_1) | instskip(NEXT) | instid1(VALU_DEP_1)
	v_add_nc_u64_e32 v[98:99], v[96:97], v[98:99]
	v_add_nc_u64_e32 v[98:99], -1, v[98:99]
; %bb.1905:                             ;   in Loop: Header=BB2_1198 Depth=2
	s_or_b32 exec_lo, exec_lo, s42
	v_add_nc_u32_e32 v97, 0xffffff81, v44
	v_lshrrev_b32_e32 v99, 23, v96
	s_mov_b32 s10, exec_lo
	s_delay_alu instid0(VALU_DEP_2) | instskip(NEXT) | instid1(VALU_DEP_1)
	v_cndmask_b32_e64 v97, v97, 0xffffff82, vcc_lo
	v_add3_u32 v99, v46, v97, v99
	v_and_b32_e32 v97, 0x1fffff, v98
                                        ; implicit-def: $vgpr98
	s_delay_alu instid0(VALU_DEP_1) | instskip(SKIP_1) | instid1(VALU_DEP_2)
	v_dual_add_nc_u32 v44, 14, v99 :: v_dual_add_nc_u32 v96, v97, v96
	v_mov_b32_e32 v97, v35
	v_cmpx_ne_u32_e32 0, v44
	s_xor_b32 s10, exec_lo, s10
; %bb.1906:                             ;   in Loop: Header=BB2_1198 Depth=2
	s_delay_alu instid0(VALU_DEP_2) | instskip(SKIP_2) | instid1(VALU_DEP_2)
	v_cmp_lt_u64_e32 vcc_lo, 0xffffff, v[96:97]
	v_add_nc_u32_e32 v98, 15, v99
	v_cndmask_b32_e64 v99, 0, 1, vcc_lo
	v_cndmask_b32_e32 v98, v44, v98, vcc_lo
	s_delay_alu instid0(VALU_DEP_2)
	v_lshrrev_b64 v[96:97], v99, v[96:97]
; %bb.1907:                             ;   in Loop: Header=BB2_1198 Depth=2
	s_and_not1_saveexec_b32 s10, s10
; %bb.1908:                             ;   in Loop: Header=BB2_1198 Depth=2
	s_delay_alu instid0(VALU_DEP_1)
	v_bfe_u32 v98, v96, 23, 1
; %bb.1909:                             ;   in Loop: Header=BB2_1198 Depth=2
	s_or_b32 exec_lo, exec_lo, s10
	s_delay_alu instid0(VALU_DEP_2) | instskip(NEXT) | instid1(VALU_DEP_2)
	v_lshrrev_b64 v[96:97], 21, v[96:97]
	v_cmp_gt_i32_e32 vcc_lo, 32, v98
	v_min_i32_e32 v99, 31, v98
	v_cmp_eq_u32_e64 s10, 0, v98
	s_delay_alu instid0(VALU_DEP_2) | instskip(SKIP_1) | instid1(VALU_DEP_2)
	v_dual_cndmask_b32 v97, 0, v97, vcc_lo :: v_dual_lshlrev_b32 v99, 2, v99
	v_cndmask_b32_e32 v96, 3, v96, vcc_lo
	v_and_b32_e32 v99, 0xfc, v99
	s_delay_alu instid0(VALU_DEP_2) | instskip(NEXT) | instid1(VALU_DEP_2)
	v_cmp_eq_u64_e32 vcc_lo, 0, v[96:97]
	v_and_or_b32 v96, v96, 3, v99
	s_and_b32 s10, s10, vcc_lo
	s_delay_alu instid0(VALU_DEP_1) | instid1(SALU_CYCLE_1)
	v_cndmask_b32_e64 v96, v96, 0, s10
	s_delay_alu instid0(VALU_DEP_1)
	v_or_b32_e32 v44, v96, v30
.LBB2_1910:                             ;   in Loop: Header=BB2_1198 Depth=2
	s_or_b32 exec_lo, exec_lo, s41
                                        ; implicit-def: $vgpr30
.LBB2_1911:                             ;   in Loop: Header=BB2_1198 Depth=2
	s_and_not1_saveexec_b32 s10, s40
; %bb.1912:                             ;   in Loop: Header=BB2_1198 Depth=2
	v_or_b32_e32 v44, 0x7b, v30
; %bb.1913:                             ;   in Loop: Header=BB2_1198 Depth=2
	s_or_b32 exec_lo, exec_lo, s10
                                        ; implicit-def: $vgpr98
                                        ; implicit-def: $vgpr96_vgpr97
                                        ; implicit-def: $vgpr30
.LBB2_1914:                             ;   in Loop: Header=BB2_1198 Depth=2
	s_and_not1_saveexec_b32 s10, s29
	s_cbranch_execz .LBB2_1920
; %bb.1915:                             ;   in Loop: Header=BB2_1198 Depth=2
	s_mov_b32 s29, exec_lo
                                        ; implicit-def: $vgpr44
	v_cmpx_ne_u64_e32 0, v[96:97]
	s_xor_b32 s29, exec_lo, s29
; %bb.1916:                             ;   in Loop: Header=BB2_1198 Depth=2
	v_or_b32_e32 v44, 0x7f, v30
                                        ; implicit-def: $vgpr98
; %bb.1917:                             ;   in Loop: Header=BB2_1198 Depth=2
	s_and_not1_saveexec_b32 s29, s29
; %bb.1918:                             ;   in Loop: Header=BB2_1198 Depth=2
	v_cmp_lt_i32_e32 vcc_lo, -1, v98
	v_cndmask_b32_e32 v44, 0xfc, v63, vcc_lo
; %bb.1919:                             ;   in Loop: Header=BB2_1198 Depth=2
	s_or_b32 exec_lo, exec_lo, s29
.LBB2_1920:                             ;   in Loop: Header=BB2_1198 Depth=2
	s_delay_alu instid0(SALU_CYCLE_1)
	s_or_b32 exec_lo, exec_lo, s10
	v_mov_b32_e32 v96, 0
	s_mov_b32 s10, exec_lo
	v_cmpx_lt_u32_e32 0xffffff, v34
	s_cbranch_execz .LBB2_1930
; %bb.1921:                             ;   in Loop: Header=BB2_1198 Depth=2
	v_lshrrev_b32_e32 v30, 24, v34
	v_bfrev_b32_e32 v96, 1
	s_mov_b32 s29, exec_lo
	s_delay_alu instid0(VALU_DEP_2)
	v_cmpx_ne_u32_e32 0x80, v30
	s_cbranch_execz .LBB2_1929
; %bb.1922:                             ;   in Loop: Header=BB2_1198 Depth=2
	v_and_b32_e32 v96, 0x7c000000, v34
	v_bfe_u32 v97, v34, 24, 2
	s_delay_alu instid0(VALU_DEP_2) | instskip(SKIP_1) | instid1(SALU_CYCLE_1)
	v_cmp_ne_u32_e32 vcc_lo, 0x7c000000, v96
                                        ; implicit-def: $vgpr96
	s_and_saveexec_b32 s40, vcc_lo
	s_xor_b32 s40, exec_lo, s40
	s_cbranch_execz .LBB2_1926
; %bb.1923:                             ;   in Loop: Header=BB2_1198 Depth=2
	v_bfe_u32 v96, v34, 26, 5
	s_mov_b32 s41, exec_lo
	s_delay_alu instid0(VALU_DEP_1)
	v_cmpx_eq_u32_e32 0, v96
; %bb.1924:                             ;   in Loop: Header=BB2_1198 Depth=2
	v_clz_i32_u32_e32 v96, v97
	s_delay_alu instid0(VALU_DEP_1) | instskip(NEXT) | instid1(VALU_DEP_1)
	v_min_u32_e32 v96, 32, v96
	v_subrev_nc_u32_e32 v97, 29, v96
	s_delay_alu instid0(VALU_DEP_1) | instskip(NEXT) | instid1(VALU_DEP_1)
	v_lshlrev_b64_e32 v[98:99], v97, v[30:31]
	v_dual_sub_nc_u32 v96, 30, v96 :: v_dual_bitop2_b32 v97, 3, v98 bitop3:0x40
; %bb.1925:                             ;   in Loop: Header=BB2_1198 Depth=2
	s_or_b32 exec_lo, exec_lo, s41
	v_and_b32_e32 v30, 0x80000000, v34
	s_delay_alu instid0(VALU_DEP_1) | instskip(NEXT) | instid1(VALU_DEP_1)
	v_lshl_add_u32 v30, v96, 23, v30
	v_lshl_or_b32 v30, v97, 21, v30
                                        ; implicit-def: $vgpr97
	s_delay_alu instid0(VALU_DEP_1)
	v_add_nc_u32_e32 v96, 0x38000000, v30
.LBB2_1926:                             ;   in Loop: Header=BB2_1198 Depth=2
	s_and_not1_saveexec_b32 s40, s40
; %bb.1927:                             ;   in Loop: Header=BB2_1198 Depth=2
	v_cmp_lt_i32_e32 vcc_lo, -1, v34
	v_cndmask_b32_e32 v30, 0xff800000, v62, vcc_lo
	v_cmp_eq_u32_e32 vcc_lo, 0, v97
	s_delay_alu instid0(VALU_DEP_2)
	v_cndmask_b32_e32 v96, 0x7f800001, v30, vcc_lo
; %bb.1928:                             ;   in Loop: Header=BB2_1198 Depth=2
	s_or_b32 exec_lo, exec_lo, s40
.LBB2_1929:                             ;   in Loop: Header=BB2_1198 Depth=2
	s_delay_alu instid0(SALU_CYCLE_1)
	s_or_b32 exec_lo, exec_lo, s29
.LBB2_1930:                             ;   in Loop: Header=BB2_1198 Depth=2
	s_delay_alu instid0(SALU_CYCLE_1) | instskip(SKIP_3) | instid1(VALU_DEP_2)
	s_or_b32 exec_lo, exec_lo, s10
	v_bfe_u32 v34, v11, 24, 2
	v_bfe_u32 v46, v11, 26, 5
	s_mov_b32 s10, exec_lo
	v_clz_i32_u32_e32 v30, v34
	s_delay_alu instid0(VALU_DEP_2) | instskip(NEXT) | instid1(VALU_DEP_2)
	v_cmp_eq_u32_e32 vcc_lo, 0, v46
	v_min_u32_e32 v97, 32, v30
	v_lshrrev_b32_e32 v30, 24, v11
	s_delay_alu instid0(VALU_DEP_2) | instskip(SKIP_1) | instid1(VALU_DEP_2)
	v_subrev_nc_u32_e32 v98, 29, v97
	v_sub_nc_u32_e32 v97, 30, v97
	v_lshlrev_b64_e32 v[98:99], v98, v[30:31]
	s_delay_alu instid0(VALU_DEP_2) | instskip(SKIP_1) | instid1(VALU_DEP_3)
	v_cndmask_b32_e32 v97, v46, v97, vcc_lo
	v_and_b32_e32 v99, 0x80000000, v11
	v_and_b32_e32 v98, 3, v98
	s_delay_alu instid0(VALU_DEP_2) | instskip(NEXT) | instid1(VALU_DEP_2)
	v_lshl_add_u32 v97, v97, 23, v99
	v_cndmask_b32_e32 v98, v34, v98, vcc_lo
	v_cmp_lt_i64_e32 vcc_lo, -1, v[10:11]
	s_delay_alu instid0(VALU_DEP_2) | instskip(SKIP_3) | instid1(VALU_DEP_4)
	v_lshl_or_b32 v97, v98, 21, v97
	v_and_b32_e32 v98, 0x7c000000, v11
	v_cndmask_b32_e32 v99, 0xff800000, v62, vcc_lo
	v_cmp_eq_u32_e32 vcc_lo, 0, v34
	v_add_nc_u32_e32 v97, 0x38000000, v97
	s_delay_alu instid0(VALU_DEP_3) | instskip(SKIP_1) | instid1(VALU_DEP_2)
	v_cndmask_b32_e32 v34, 0x7f800001, v99, vcc_lo
	v_cmp_eq_u32_e32 vcc_lo, 0x7c000000, v98
	v_cndmask_b32_e32 v34, v97, v34, vcc_lo
	v_cmp_ne_u32_e32 vcc_lo, 0x80, v30
	s_delay_alu instid0(VALU_DEP_2) | instskip(SKIP_1) | instid1(VALU_DEP_2)
	v_dual_mov_b32 v97, v35 :: v_dual_cndmask_b32 v30, 0x80000000, v34
	v_cmp_lt_u64_e32 vcc_lo, s[12:13], v[10:11]
	v_cndmask_b32_e32 v10, 0, v30, vcc_lo
                                        ; implicit-def: $vgpr30
	s_delay_alu instid0(VALU_DEP_1) | instskip(NEXT) | instid1(VALU_DEP_1)
	v_add_f32_e32 v10, v10, v96
	v_and_b32_e32 v96, 0x7f800000, v10
	v_and_b32_e32 v34, 0x7fffff, v10
	v_lshrrev_b32_e32 v11, 24, v10
	s_delay_alu instid0(VALU_DEP_3)
	v_cmpx_ne_u64_e32 0x7f800000, v[96:97]
	s_xor_b32 s29, exec_lo, s10
	s_cbranch_execz .LBB2_1944
; %bb.1931:                             ;   in Loop: Header=BB2_1198 Depth=2
	v_and_b32_e32 v96, 0x7fffffff, v10
	v_mov_b32_e32 v97, v35
	v_and_b32_e32 v98, 0x80, v11
                                        ; implicit-def: $vgpr30
	s_mov_b32 s10, exec_lo
	s_delay_alu instid0(VALU_DEP_2)
	v_cmpx_gt_u64_e32 0x47600001, v[96:97]
	s_xor_b32 s40, exec_lo, s10
	s_cbranch_execz .LBB2_1941
; %bb.1932:                             ;   in Loop: Header=BB2_1198 Depth=2
	v_mov_b32_e32 v30, 0
	s_mov_b32 s41, exec_lo
	v_cmpx_ne_u32_e32 0, v10
	s_cbranch_execz .LBB2_1940
; %bb.1933:                             ;   in Loop: Header=BB2_1198 Depth=2
	v_bfe_u32 v30, v10, 23, 8
	v_or_b32_e32 v96, 0x800000, v34
	s_delay_alu instid0(VALU_DEP_2) | instskip(SKIP_1) | instid1(VALU_DEP_2)
	v_sub_nc_u32_e32 v10, 0x71, v30
	v_cmp_gt_u32_e32 vcc_lo, 0x72, v30
	v_cndmask_b32_e32 v10, 0, v10, vcc_lo
	v_cmp_eq_u32_e32 vcc_lo, 0, v30
	s_delay_alu instid0(VALU_DEP_2) | instskip(NEXT) | instid1(VALU_DEP_1)
	v_cndmask_b32_e64 v99, v10, 0x70, vcc_lo
	v_dual_cndmask_b32 v34, v96, v34, vcc_lo :: v_dual_add_nc_u32 v10, 21, v99
	v_add_nc_u32_e32 v97, 20, v99
	s_delay_alu instid0(VALU_DEP_2) | instskip(NEXT) | instid1(VALU_DEP_2)
	v_lshlrev_b64_e64 v[10:11], v10, -1
	v_lshlrev_b64_e64 v[96:97], v97, 1
	s_delay_alu instid0(VALU_DEP_2) | instskip(NEXT) | instid1(VALU_DEP_3)
	v_bfi_b32 v47, v11, 0, 0
	v_bfi_b32 v46, v10, 0, v34
	v_lshrrev_b64 v[10:11], v99, v[34:35]
	s_delay_alu instid0(VALU_DEP_2) | instskip(NEXT) | instid1(VALU_DEP_2)
	v_cmp_eq_u64_e64 s10, v[46:47], v[96:97]
	v_mov_b64_e32 v[96:97], v[10:11]
	s_and_saveexec_b32 s42, s10
; %bb.1934:                             ;   in Loop: Header=BB2_1198 Depth=2
	v_bfe_u32 v34, v10, 21, 1
	s_delay_alu instid0(VALU_DEP_1) | instskip(NEXT) | instid1(VALU_DEP_1)
	v_add_nc_u64_e32 v[96:97], v[10:11], v[34:35]
	v_add_nc_u64_e32 v[96:97], -1, v[96:97]
; %bb.1935:                             ;   in Loop: Header=BB2_1198 Depth=2
	s_or_b32 exec_lo, exec_lo, s42
	v_add_nc_u32_e32 v11, 0xffffff81, v30
	v_lshrrev_b32_e32 v30, 23, v10
	s_mov_b32 s10, exec_lo
	s_delay_alu instid0(VALU_DEP_2) | instskip(NEXT) | instid1(VALU_DEP_1)
	v_cndmask_b32_e64 v11, v11, 0xffffff82, vcc_lo
	v_add3_u32 v97, v99, v11, v30
	v_and_b32_e32 v11, 0x1fffff, v96
                                        ; implicit-def: $vgpr30
	s_delay_alu instid0(VALU_DEP_1) | instskip(NEXT) | instid1(VALU_DEP_1)
	v_dual_add_nc_u32 v96, 14, v97 :: v_dual_add_nc_u32 v34, v11, v10
                                        ; implicit-def: $vgpr10_vgpr11
	v_cmpx_ne_u32_e32 0, v96
	s_xor_b32 s10, exec_lo, s10
; %bb.1936:                             ;   in Loop: Header=BB2_1198 Depth=2
	s_delay_alu instid0(VALU_DEP_2) | instskip(SKIP_1) | instid1(VALU_DEP_1)
	v_cmp_lt_u64_e32 vcc_lo, 0xffffff, v[34:35]
	v_add_nc_u32_e32 v10, 15, v97
	v_cndmask_b32_e32 v30, v96, v10, vcc_lo
	v_cndmask_b32_e64 v10, 0, 1, vcc_lo
	s_delay_alu instid0(VALU_DEP_1)
	v_lshrrev_b64 v[10:11], v10, v[34:35]
; %bb.1937:                             ;   in Loop: Header=BB2_1198 Depth=2
	s_and_not1_saveexec_b32 s10, s10
; %bb.1938:                             ;   in Loop: Header=BB2_1198 Depth=2
	v_mov_b64_e32 v[10:11], v[34:35]
	v_bfe_u32 v30, v34, 23, 1
; %bb.1939:                             ;   in Loop: Header=BB2_1198 Depth=2
	s_or_b32 exec_lo, exec_lo, s10
	s_delay_alu instid0(VALU_DEP_2) | instskip(NEXT) | instid1(VALU_DEP_2)
	v_lshrrev_b64 v[10:11], 21, v[10:11]
	v_cmp_gt_i32_e32 vcc_lo, 32, v30
	v_min_i32_e32 v34, 31, v30
	v_cmp_eq_u32_e64 s10, 0, v30
	s_delay_alu instid0(VALU_DEP_2) | instskip(SKIP_1) | instid1(VALU_DEP_2)
	v_dual_cndmask_b32 v11, 0, v11 :: v_dual_lshlrev_b32 v34, 2, v34
	v_cndmask_b32_e32 v10, 3, v10, vcc_lo
	v_and_b32_e32 v34, 0xfc, v34
	s_delay_alu instid0(VALU_DEP_2) | instskip(NEXT) | instid1(VALU_DEP_2)
	v_cmp_eq_u64_e32 vcc_lo, 0, v[10:11]
	v_and_or_b32 v10, v10, 3, v34
	s_and_b32 s10, s10, vcc_lo
	s_delay_alu instid0(VALU_DEP_1) | instid1(SALU_CYCLE_1)
	v_cndmask_b32_e64 v10, v10, 0, s10
	s_delay_alu instid0(VALU_DEP_1)
	v_or_b32_e32 v30, v10, v98
.LBB2_1940:                             ;   in Loop: Header=BB2_1198 Depth=2
	s_or_b32 exec_lo, exec_lo, s41
                                        ; implicit-def: $vgpr98
.LBB2_1941:                             ;   in Loop: Header=BB2_1198 Depth=2
	s_and_not1_saveexec_b32 s10, s40
; %bb.1942:                             ;   in Loop: Header=BB2_1198 Depth=2
	v_or_b32_e32 v30, 0x7b, v98
; %bb.1943:                             ;   in Loop: Header=BB2_1198 Depth=2
	s_or_b32 exec_lo, exec_lo, s10
                                        ; implicit-def: $vgpr10
                                        ; implicit-def: $vgpr11
.LBB2_1944:                             ;   in Loop: Header=BB2_1198 Depth=2
	s_and_not1_saveexec_b32 s10, s29
	s_cbranch_execz .LBB2_1950
; %bb.1945:                             ;   in Loop: Header=BB2_1198 Depth=2
	s_mov_b32 s29, exec_lo
                                        ; implicit-def: $vgpr30
	v_cmpx_ne_u64_e32 0, v[34:35]
	s_xor_b32 s29, exec_lo, s29
; %bb.1946:                             ;   in Loop: Header=BB2_1198 Depth=2
	v_or_b32_e32 v30, 0x7f, v11
                                        ; implicit-def: $vgpr10
; %bb.1947:                             ;   in Loop: Header=BB2_1198 Depth=2
	s_and_not1_saveexec_b32 s29, s29
; %bb.1948:                             ;   in Loop: Header=BB2_1198 Depth=2
	v_cmp_lt_i32_e32 vcc_lo, -1, v10
	v_cndmask_b32_e32 v30, 0xfc, v63, vcc_lo
; %bb.1949:                             ;   in Loop: Header=BB2_1198 Depth=2
	s_or_b32 exec_lo, exec_lo, s29
.LBB2_1950:                             ;   in Loop: Header=BB2_1198 Depth=2
	s_delay_alu instid0(SALU_CYCLE_1) | instskip(SKIP_3) | instid1(VALU_DEP_1)
	s_or_b32 exec_lo, exec_lo, s10
	v_lshl_or_b32 v98, v40, 8, v116
	v_dual_lshlrev_b32 v10, 16, v43 :: v_dual_lshlrev_b32 v11, 24, v45
	s_mov_b32 s10, exec_lo
	v_or3_b32 v34, v10, v11, v98
	v_mov_b32_e32 v10, 0
	v_cmpx_ne_u32_e32 0, v116
	s_cbranch_execz .LBB2_1960
; %bb.1951:                             ;   in Loop: Header=BB2_1198 Depth=2
	v_bfrev_b32_e32 v10, 1
	s_mov_b32 s29, exec_lo
	v_cmpx_ne_u32_e32 0x80, v116
	s_cbranch_execz .LBB2_1959
; %bb.1952:                             ;   in Loop: Header=BB2_1198 Depth=2
	v_and_b32_e32 v10, 0x7c, v116
	v_and_b32_e32 v11, 3, v116
	s_delay_alu instid0(VALU_DEP_2) | instskip(SKIP_1) | instid1(SALU_CYCLE_1)
	v_cmp_ne_u32_e32 vcc_lo, 0x7c, v10
                                        ; implicit-def: $vgpr10
	s_and_saveexec_b32 s40, vcc_lo
	s_xor_b32 s40, exec_lo, s40
	s_cbranch_execz .LBB2_1956
; %bb.1953:                             ;   in Loop: Header=BB2_1198 Depth=2
	v_bfe_u32 v10, v116, 2, 5
	s_mov_b32 s41, exec_lo
	s_delay_alu instid0(VALU_DEP_1)
	v_cmpx_eq_u32_e32 0, v10
; %bb.1954:                             ;   in Loop: Header=BB2_1198 Depth=2
	v_clz_i32_u32_e32 v10, v11
	s_delay_alu instid0(VALU_DEP_1) | instskip(NEXT) | instid1(VALU_DEP_1)
	v_min_u32_e32 v10, 32, v10
	v_subrev_nc_u32_e32 v11, 29, v10
	s_delay_alu instid0(VALU_DEP_1) | instskip(NEXT) | instid1(VALU_DEP_1)
	v_lshlrev_b64_e32 v[96:97], v11, v[34:35]
	v_dual_sub_nc_u32 v10, 30, v10 :: v_dual_bitop2_b32 v11, 3, v96 bitop3:0x40
; %bb.1955:                             ;   in Loop: Header=BB2_1198 Depth=2
	s_or_b32 exec_lo, exec_lo, s41
	v_lshlrev_b32_e32 v96, 24, v116
                                        ; implicit-def: $vgpr116
	s_delay_alu instid0(VALU_DEP_1) | instskip(NEXT) | instid1(VALU_DEP_1)
	v_and_b32_e32 v96, 0x80000000, v96
	v_lshl_add_u32 v10, v10, 23, v96
	s_delay_alu instid0(VALU_DEP_1) | instskip(NEXT) | instid1(VALU_DEP_1)
	v_lshl_or_b32 v10, v11, 21, v10
                                        ; implicit-def: $vgpr11
	v_add_nc_u32_e32 v10, 0x38000000, v10
.LBB2_1956:                             ;   in Loop: Header=BB2_1198 Depth=2
	s_and_not1_saveexec_b32 s40, s40
; %bb.1957:                             ;   in Loop: Header=BB2_1198 Depth=2
	v_and_b32_e32 v10, 0x80, v116
	s_delay_alu instid0(VALU_DEP_1) | instskip(SKIP_2) | instid1(VALU_DEP_2)
	v_cmp_eq_u32_e32 vcc_lo, 0, v10
	v_cndmask_b32_e32 v10, 0xff800000, v62, vcc_lo
	v_cmp_eq_u32_e32 vcc_lo, 0, v11
	v_cndmask_b32_e32 v10, 0x7f800001, v10, vcc_lo
; %bb.1958:                             ;   in Loop: Header=BB2_1198 Depth=2
	s_or_b32 exec_lo, exec_lo, s40
.LBB2_1959:                             ;   in Loop: Header=BB2_1198 Depth=2
	s_delay_alu instid0(SALU_CYCLE_1)
	s_or_b32 exec_lo, exec_lo, s29
.LBB2_1960:                             ;   in Loop: Header=BB2_1198 Depth=2
	s_delay_alu instid0(SALU_CYCLE_1) | instskip(SKIP_3) | instid1(VALU_DEP_1)
	s_or_b32 exec_lo, exec_lo, s10
	v_and_b32_e32 v96, 0xff, v12
	s_mov_b32 s29, 0
	s_mov_b32 s10, exec_lo
	v_cmpx_lt_i16_e32 0x7f, v96
	s_xor_b32 s10, exec_lo, s10
	s_cbranch_execnz .LBB2_2237
; %bb.1961:                             ;   in Loop: Header=BB2_1198 Depth=2
	s_or_saveexec_b32 s10, s10
	v_bfrev_b32_e32 v11, 1
	s_xor_b32 exec_lo, exec_lo, s10
	s_cbranch_execnz .LBB2_2240
.LBB2_1962:                             ;   in Loop: Header=BB2_1198 Depth=2
	s_or_b32 exec_lo, exec_lo, s10
	s_and_saveexec_b32 s10, s29
	s_cbranch_execz .LBB2_1964
.LBB2_1963:                             ;   in Loop: Header=BB2_1198 Depth=2
	v_and_b32_e32 v11, 3, v12
	v_bfe_u32 v116, v12, 2, 5
	s_delay_alu instid0(VALU_DEP_2) | instskip(NEXT) | instid1(VALU_DEP_2)
	v_clz_i32_u32_e32 v96, v11
	v_cmp_eq_u32_e32 vcc_lo, 0, v116
	s_delay_alu instid0(VALU_DEP_2) | instskip(NEXT) | instid1(VALU_DEP_1)
	v_min_u32_e32 v99, 32, v96
	v_subrev_nc_u32_e32 v96, 29, v99
	s_delay_alu instid0(VALU_DEP_1) | instskip(SKIP_1) | instid1(VALU_DEP_1)
	v_lshlrev_b64_e32 v[96:97], v96, v[12:13]
	v_dual_lshlrev_b32 v97, 24, v12 :: v_dual_sub_nc_u32 v99, 30, v99
	v_and_b32_e32 v97, 0x80000000, v97
	s_delay_alu instid0(VALU_DEP_2) | instskip(SKIP_1) | instid1(VALU_DEP_2)
	v_dual_cndmask_b32 v99, v116, v99, vcc_lo :: v_dual_bitop2_b32 v96, 3, v96 bitop3:0x40
	v_bfe_i32 v116, v12, 0, 8
	v_cndmask_b32_e32 v96, v11, v96, vcc_lo
	s_delay_alu instid0(VALU_DEP_3) | instskip(NEXT) | instid1(VALU_DEP_3)
	v_lshl_add_u32 v97, v99, 23, v97
	v_cmp_lt_i16_e32 vcc_lo, -1, v116
	s_delay_alu instid0(VALU_DEP_2) | instskip(SKIP_3) | instid1(VALU_DEP_4)
	v_lshl_or_b32 v96, v96, 21, v97
	v_cndmask_b32_e32 v99, 0xff800000, v62, vcc_lo
	v_and_b32_e32 v97, 0x7c, v12
	v_cmp_eq_u32_e32 vcc_lo, 0, v11
	v_add_nc_u32_e32 v96, 0x38000000, v96
	s_delay_alu instid0(VALU_DEP_4) | instskip(NEXT) | instid1(VALU_DEP_4)
	v_cndmask_b32_e32 v11, 0x7f800001, v99, vcc_lo
	v_cmp_eq_u32_e32 vcc_lo, 0x7c, v97
	s_delay_alu instid0(VALU_DEP_2)
	v_cndmask_b32_e32 v11, v96, v11, vcc_lo
.LBB2_1964:                             ;   in Loop: Header=BB2_1198 Depth=2
	s_or_b32 exec_lo, exec_lo, s10
	s_delay_alu instid0(VALU_DEP_1) | instskip(SKIP_2) | instid1(VALU_DEP_2)
	v_dual_add_f32 v96, v10, v11 :: v_dual_mov_b32 v47, v35
	v_mov_b32_e32 v11, v35
                                        ; implicit-def: $vgpr116
	s_mov_b32 s10, exec_lo
	v_and_b32_e32 v46, 0x7f800000, v96
	v_and_b32_e32 v10, 0x7fffff, v96
	v_lshrrev_b32_e32 v97, 24, v96
	s_delay_alu instid0(VALU_DEP_3)
	v_cmpx_ne_u64_e32 0x7f800000, v[46:47]
	s_xor_b32 s29, exec_lo, s10
	s_cbranch_execz .LBB2_1978
; %bb.1965:                             ;   in Loop: Header=BB2_1198 Depth=2
	v_and_b32_e32 v46, 0x7fffffff, v96
	v_mov_b32_e32 v47, v35
	v_and_b32_e32 v99, 0x80, v97
                                        ; implicit-def: $vgpr116
	s_mov_b32 s10, exec_lo
	s_delay_alu instid0(VALU_DEP_2)
	v_cmpx_gt_u64_e32 0x47600001, v[46:47]
	s_xor_b32 s40, exec_lo, s10
	s_cbranch_execz .LBB2_1975
; %bb.1966:                             ;   in Loop: Header=BB2_1198 Depth=2
	v_mov_b32_e32 v116, 0
	s_mov_b32 s41, exec_lo
	v_cmpx_ne_u32_e32 0, v96
	s_cbranch_execz .LBB2_1974
; %bb.1967:                             ;   in Loop: Header=BB2_1198 Depth=2
	v_bfe_u32 v116, v96, 23, 8
	v_or_b32_e32 v43, 0x800000, v10
	s_delay_alu instid0(VALU_DEP_2) | instskip(SKIP_1) | instid1(VALU_DEP_2)
	v_sub_nc_u32_e32 v96, 0x71, v116
	v_cmp_gt_u32_e32 vcc_lo, 0x72, v116
	v_cndmask_b32_e32 v96, 0, v96, vcc_lo
	v_cmp_eq_u32_e32 vcc_lo, 0, v116
	v_cndmask_b32_e32 v10, v43, v10, vcc_lo
	s_delay_alu instid0(VALU_DEP_3) | instskip(NEXT) | instid1(VALU_DEP_1)
	v_cndmask_b32_e64 v40, v96, 0x70, vcc_lo
	v_dual_add_nc_u32 v96, 21, v40 :: v_dual_add_nc_u32 v45, 20, v40
	s_delay_alu instid0(VALU_DEP_1) | instskip(NEXT) | instid1(VALU_DEP_2)
	v_lshlrev_b64_e64 v[96:97], v96, -1
	v_lshlrev_b64_e64 v[46:47], v45, 1
	s_delay_alu instid0(VALU_DEP_2) | instskip(SKIP_1) | instid1(VALU_DEP_4)
	v_bfi_b32 v96, v96, 0, v10
	v_lshrrev_b64 v[10:11], v40, v[10:11]
	v_bfi_b32 v97, v97, 0, 0
	s_delay_alu instid0(VALU_DEP_1) | instskip(NEXT) | instid1(VALU_DEP_3)
	v_cmp_eq_u64_e64 s10, v[96:97], v[46:47]
	v_mov_b64_e32 v[96:97], v[10:11]
	s_and_saveexec_b32 s42, s10
; %bb.1968:                             ;   in Loop: Header=BB2_1198 Depth=2
	v_bfe_u32 v96, v10, 21, 1
	v_mov_b32_e32 v97, v35
	s_delay_alu instid0(VALU_DEP_1) | instskip(NEXT) | instid1(VALU_DEP_1)
	v_add_nc_u64_e32 v[96:97], v[10:11], v[96:97]
	v_add_nc_u64_e32 v[96:97], -1, v[96:97]
; %bb.1969:                             ;   in Loop: Header=BB2_1198 Depth=2
	s_or_b32 exec_lo, exec_lo, s42
	v_add_nc_u32_e32 v11, 0xffffff81, v116
	v_lshrrev_b32_e32 v97, 23, v10
	s_mov_b32 s10, exec_lo
	s_delay_alu instid0(VALU_DEP_2) | instskip(NEXT) | instid1(VALU_DEP_1)
	v_cndmask_b32_e64 v11, v11, 0xffffff82, vcc_lo
	v_add3_u32 v97, v40, v11, v97
	v_and_b32_e32 v11, 0x1fffff, v96
                                        ; implicit-def: $vgpr96
	s_delay_alu instid0(VALU_DEP_1) | instskip(SKIP_1) | instid1(VALU_DEP_2)
	v_dual_add_nc_u32 v116, 14, v97 :: v_dual_add_nc_u32 v10, v11, v10
	v_mov_b32_e32 v11, v35
	v_cmpx_ne_u32_e32 0, v116
	s_xor_b32 s10, exec_lo, s10
; %bb.1970:                             ;   in Loop: Header=BB2_1198 Depth=2
	s_delay_alu instid0(VALU_DEP_2) | instskip(SKIP_2) | instid1(VALU_DEP_2)
	v_cmp_lt_u64_e32 vcc_lo, 0xffffff, v[10:11]
	v_add_nc_u32_e32 v96, 15, v97
	v_cndmask_b32_e64 v97, 0, 1, vcc_lo
	v_cndmask_b32_e32 v96, v116, v96, vcc_lo
	s_delay_alu instid0(VALU_DEP_2)
	v_lshrrev_b64 v[10:11], v97, v[10:11]
; %bb.1971:                             ;   in Loop: Header=BB2_1198 Depth=2
	s_and_not1_saveexec_b32 s10, s10
; %bb.1972:                             ;   in Loop: Header=BB2_1198 Depth=2
	s_delay_alu instid0(VALU_DEP_1)
	v_bfe_u32 v96, v10, 23, 1
; %bb.1973:                             ;   in Loop: Header=BB2_1198 Depth=2
	s_or_b32 exec_lo, exec_lo, s10
	s_delay_alu instid0(VALU_DEP_2) | instskip(NEXT) | instid1(VALU_DEP_2)
	v_lshrrev_b64 v[10:11], 21, v[10:11]
	v_cmp_gt_i32_e32 vcc_lo, 32, v96
	v_min_i32_e32 v97, 31, v96
	v_cmp_eq_u32_e64 s10, 0, v96
	s_delay_alu instid0(VALU_DEP_2) | instskip(SKIP_1) | instid1(VALU_DEP_2)
	v_dual_cndmask_b32 v11, 0, v11, vcc_lo :: v_dual_lshlrev_b32 v97, 2, v97
	v_cndmask_b32_e32 v10, 3, v10, vcc_lo
	v_and_b32_e32 v97, 0xfc, v97
	s_delay_alu instid0(VALU_DEP_2) | instskip(NEXT) | instid1(VALU_DEP_2)
	v_cmp_eq_u64_e32 vcc_lo, 0, v[10:11]
	v_and_or_b32 v10, v10, 3, v97
	s_and_b32 s10, s10, vcc_lo
	s_delay_alu instid0(VALU_DEP_1) | instid1(SALU_CYCLE_1)
	v_cndmask_b32_e64 v10, v10, 0, s10
	s_delay_alu instid0(VALU_DEP_1)
	v_or_b32_e32 v116, v10, v99
.LBB2_1974:                             ;   in Loop: Header=BB2_1198 Depth=2
	s_or_b32 exec_lo, exec_lo, s41
                                        ; implicit-def: $vgpr99
.LBB2_1975:                             ;   in Loop: Header=BB2_1198 Depth=2
	s_and_not1_saveexec_b32 s10, s40
; %bb.1976:                             ;   in Loop: Header=BB2_1198 Depth=2
	v_or_b32_e32 v116, 0x7b, v99
; %bb.1977:                             ;   in Loop: Header=BB2_1198 Depth=2
	s_or_b32 exec_lo, exec_lo, s10
                                        ; implicit-def: $vgpr96
                                        ; implicit-def: $vgpr10_vgpr11
                                        ; implicit-def: $vgpr97
.LBB2_1978:                             ;   in Loop: Header=BB2_1198 Depth=2
	s_and_not1_saveexec_b32 s10, s29
	s_cbranch_execz .LBB2_1984
; %bb.1979:                             ;   in Loop: Header=BB2_1198 Depth=2
	s_mov_b32 s29, exec_lo
                                        ; implicit-def: $vgpr116
	v_cmpx_ne_u64_e32 0, v[10:11]
	s_xor_b32 s29, exec_lo, s29
; %bb.1980:                             ;   in Loop: Header=BB2_1198 Depth=2
	v_or_b32_e32 v116, 0x7f, v97
                                        ; implicit-def: $vgpr96
; %bb.1981:                             ;   in Loop: Header=BB2_1198 Depth=2
	s_and_not1_saveexec_b32 s29, s29
; %bb.1982:                             ;   in Loop: Header=BB2_1198 Depth=2
	v_cmp_lt_i32_e32 vcc_lo, -1, v96
	v_cndmask_b32_e32 v116, 0xfc, v63, vcc_lo
; %bb.1983:                             ;   in Loop: Header=BB2_1198 Depth=2
	s_or_b32 exec_lo, exec_lo, s29
.LBB2_1984:                             ;   in Loop: Header=BB2_1198 Depth=2
	s_delay_alu instid0(SALU_CYCLE_1) | instskip(SKIP_3) | instid1(VALU_DEP_2)
	s_or_b32 exec_lo, exec_lo, s10
	v_lshrrev_b16 v10, 8, v98
	v_mov_b32_e32 v96, 0
	s_mov_b32 s10, exec_lo
	v_cmpx_ne_u16_e32 0, v10
	s_cbranch_execz .LBB2_1994
; %bb.1985:                             ;   in Loop: Header=BB2_1198 Depth=2
	v_bfrev_b32_e32 v96, 1
	s_mov_b32 s29, exec_lo
	v_cmpx_ne_u16_e32 0x80, v10
	s_cbranch_execz .LBB2_1993
; %bb.1986:                             ;   in Loop: Header=BB2_1198 Depth=2
	v_and_b32_e32 v97, 0xffff, v10
	s_delay_alu instid0(VALU_DEP_1) | instskip(SKIP_1) | instid1(VALU_DEP_2)
	v_and_b32_e32 v96, 0x7c, v97
	v_and_b32_e32 v11, 3, v97
	v_cmp_ne_u32_e32 vcc_lo, 0x7c, v96
                                        ; implicit-def: $vgpr96
	s_and_saveexec_b32 s40, vcc_lo
	s_delay_alu instid0(SALU_CYCLE_1)
	s_xor_b32 s40, exec_lo, s40
	s_cbranch_execz .LBB2_1990
; %bb.1987:                             ;   in Loop: Header=BB2_1198 Depth=2
	v_bfe_u32 v96, v97, 2, 5
	s_mov_b32 s41, exec_lo
	s_delay_alu instid0(VALU_DEP_1)
	v_cmpx_eq_u32_e32 0, v96
	s_cbranch_execz .LBB2_1989
; %bb.1988:                             ;   in Loop: Header=BB2_1198 Depth=2
	v_clz_i32_u32_e32 v11, v11
	s_delay_alu instid0(VALU_DEP_1) | instskip(SKIP_1) | instid1(VALU_DEP_2)
	v_min_u32_e32 v96, 32, v11
	v_mov_b32_e32 v11, v35
	v_subrev_nc_u32_e32 v97, 29, v96
	v_sub_nc_u32_e32 v96, 30, v96
	s_delay_alu instid0(VALU_DEP_2) | instskip(NEXT) | instid1(VALU_DEP_1)
	v_lshlrev_b64_e32 v[10:11], v97, v[10:11]
	v_and_b32_e32 v11, 3, v10
.LBB2_1989:                             ;   in Loop: Header=BB2_1198 Depth=2
	s_or_b32 exec_lo, exec_lo, s41
	v_lshlrev_b32_e32 v10, 16, v98
                                        ; implicit-def: $vgpr98
	s_delay_alu instid0(VALU_DEP_1) | instskip(NEXT) | instid1(VALU_DEP_1)
	v_and_b32_e32 v10, 0x80000000, v10
	v_lshl_add_u32 v10, v96, 23, v10
	s_delay_alu instid0(VALU_DEP_1) | instskip(NEXT) | instid1(VALU_DEP_1)
	v_lshl_or_b32 v10, v11, 21, v10
                                        ; implicit-def: $vgpr11
	v_add_nc_u32_e32 v96, 0x38000000, v10
.LBB2_1990:                             ;   in Loop: Header=BB2_1198 Depth=2
	s_and_not1_saveexec_b32 s40, s40
; %bb.1991:                             ;   in Loop: Header=BB2_1198 Depth=2
	v_cmp_lt_i16_e32 vcc_lo, -1, v98
	v_cndmask_b32_e32 v10, 0xff800000, v62, vcc_lo
	v_cmp_eq_u32_e32 vcc_lo, 0, v11
	s_delay_alu instid0(VALU_DEP_2)
	v_cndmask_b32_e32 v96, 0x7f800001, v10, vcc_lo
; %bb.1992:                             ;   in Loop: Header=BB2_1198 Depth=2
	s_or_b32 exec_lo, exec_lo, s40
.LBB2_1993:                             ;   in Loop: Header=BB2_1198 Depth=2
	s_delay_alu instid0(SALU_CYCLE_1)
	s_or_b32 exec_lo, exec_lo, s29
.LBB2_1994:                             ;   in Loop: Header=BB2_1198 Depth=2
	s_delay_alu instid0(SALU_CYCLE_1) | instskip(SKIP_3) | instid1(VALU_DEP_1)
	s_or_b32 exec_lo, exec_lo, s10
	v_lshrrev_b16 v10, 8, v12
	s_mov_b32 s29, 0
	s_mov_b32 s10, exec_lo
	v_cmpx_lt_i16_e32 0x7f, v10
	s_xor_b32 s10, exec_lo, s10
	s_cbranch_execnz .LBB2_2241
; %bb.1995:                             ;   in Loop: Header=BB2_1198 Depth=2
	s_or_saveexec_b32 s10, s10
	v_bfrev_b32_e32 v11, 1
	s_xor_b32 exec_lo, exec_lo, s10
	s_cbranch_execnz .LBB2_2244
.LBB2_1996:                             ;   in Loop: Header=BB2_1198 Depth=2
	s_or_b32 exec_lo, exec_lo, s10
	s_and_saveexec_b32 s10, s29
	s_cbranch_execz .LBB2_1998
.LBB2_1997:                             ;   in Loop: Header=BB2_1198 Depth=2
	v_and_b32_e32 v97, 0xffff, v10
	s_delay_alu instid0(VALU_DEP_1) | instskip(NEXT) | instid1(VALU_DEP_1)
	v_and_b32_e32 v40, 3, v97
	v_clz_i32_u32_e32 v11, v40
	s_delay_alu instid0(VALU_DEP_1) | instskip(SKIP_1) | instid1(VALU_DEP_2)
	v_min_u32_e32 v43, 32, v11
	v_mov_b32_e32 v11, v35
	v_subrev_nc_u32_e32 v98, 29, v43
	s_delay_alu instid0(VALU_DEP_1) | instskip(SKIP_3) | instid1(VALU_DEP_3)
	v_lshlrev_b64_e32 v[98:99], v98, v[10:11]
	v_bfe_u32 v11, v97, 2, 5
	v_dual_lshlrev_b32 v10, 24, v10 :: v_dual_sub_nc_u32 v99, 30, v43
	v_and_b32_e32 v97, 0x7c, v97
	v_cmp_eq_u32_e32 vcc_lo, 0, v11
	s_delay_alu instid0(VALU_DEP_3) | instskip(NEXT) | instid1(VALU_DEP_4)
	v_and_b32_e32 v10, 0x80000000, v10
	v_dual_cndmask_b32 v11, v11, v99, vcc_lo :: v_dual_bitop2_b32 v98, 3, v98 bitop3:0x40
	s_delay_alu instid0(VALU_DEP_1) | instskip(SKIP_1) | instid1(VALU_DEP_3)
	v_cndmask_b32_e32 v98, v40, v98, vcc_lo
	v_cmp_lt_i16_e32 vcc_lo, -1, v12
	v_lshl_add_u32 v10, v11, 23, v10
	v_cndmask_b32_e32 v11, 0xff800000, v62, vcc_lo
	v_cmp_eq_u32_e32 vcc_lo, 0, v40
	s_delay_alu instid0(VALU_DEP_3) | instskip(NEXT) | instid1(VALU_DEP_3)
	v_lshl_or_b32 v10, v98, 21, v10
	v_cndmask_b32_e32 v11, 0x7f800001, v11, vcc_lo
	s_delay_alu instid0(VALU_DEP_2) | instskip(SKIP_1) | instid1(VALU_DEP_2)
	v_add_nc_u32_e32 v10, 0x38000000, v10
	v_cmp_eq_u32_e32 vcc_lo, 0x7c, v97
	v_cndmask_b32_e32 v11, v10, v11, vcc_lo
.LBB2_1998:                             ;   in Loop: Header=BB2_1198 Depth=2
	s_or_b32 exec_lo, exec_lo, s10
	s_delay_alu instid0(VALU_DEP_1) | instskip(SKIP_2) | instid1(VALU_DEP_2)
	v_dual_add_f32 v96, v96, v11 :: v_dual_mov_b32 v99, v35
	v_mov_b32_e32 v11, v35
                                        ; implicit-def: $vgpr40
	s_mov_b32 s10, exec_lo
	v_and_b32_e32 v98, 0x7f800000, v96
	v_and_b32_e32 v10, 0x7fffff, v96
	v_lshrrev_b32_e32 v97, 24, v96
	s_delay_alu instid0(VALU_DEP_3)
	v_cmpx_ne_u64_e32 0x7f800000, v[98:99]
	s_xor_b32 s29, exec_lo, s10
	s_cbranch_execz .LBB2_2012
; %bb.1999:                             ;   in Loop: Header=BB2_1198 Depth=2
	v_and_b32_e32 v98, 0x7fffffff, v96
	v_mov_b32_e32 v99, v35
                                        ; implicit-def: $vgpr40
	s_delay_alu instid0(VALU_DEP_1) | instskip(SKIP_2) | instid1(SALU_CYCLE_1)
	v_cmp_gt_u64_e32 vcc_lo, 0x47600001, v[98:99]
	v_and_b32_e32 v98, 0x80, v97
	s_and_saveexec_b32 s10, vcc_lo
	s_xor_b32 s40, exec_lo, s10
	s_cbranch_execz .LBB2_2009
; %bb.2000:                             ;   in Loop: Header=BB2_1198 Depth=2
	v_mov_b32_e32 v40, 0
	s_mov_b32 s41, exec_lo
	v_cmpx_ne_u32_e32 0, v96
	s_cbranch_execz .LBB2_2008
; %bb.2001:                             ;   in Loop: Header=BB2_1198 Depth=2
	v_bfe_u32 v99, v96, 23, 8
	v_or_b32_e32 v43, 0x800000, v10
	s_delay_alu instid0(VALU_DEP_2) | instskip(SKIP_1) | instid1(VALU_DEP_2)
	v_sub_nc_u32_e32 v96, 0x71, v99
	v_cmp_gt_u32_e32 vcc_lo, 0x72, v99
	v_cndmask_b32_e32 v96, 0, v96, vcc_lo
	v_cmp_eq_u32_e32 vcc_lo, 0, v99
	v_cndmask_b32_e32 v10, v43, v10, vcc_lo
	s_delay_alu instid0(VALU_DEP_3) | instskip(NEXT) | instid1(VALU_DEP_1)
	v_cndmask_b32_e64 v40, v96, 0x70, vcc_lo
	v_dual_add_nc_u32 v96, 21, v40 :: v_dual_add_nc_u32 v45, 20, v40
	s_delay_alu instid0(VALU_DEP_1) | instskip(NEXT) | instid1(VALU_DEP_2)
	v_lshlrev_b64_e64 v[96:97], v96, -1
	v_lshlrev_b64_e64 v[46:47], v45, 1
	s_delay_alu instid0(VALU_DEP_2) | instskip(SKIP_1) | instid1(VALU_DEP_4)
	v_bfi_b32 v96, v96, 0, v10
	v_lshrrev_b64 v[10:11], v40, v[10:11]
	v_bfi_b32 v97, v97, 0, 0
	s_delay_alu instid0(VALU_DEP_1) | instskip(NEXT) | instid1(VALU_DEP_3)
	v_cmp_eq_u64_e64 s10, v[96:97], v[46:47]
	v_mov_b64_e32 v[96:97], v[10:11]
	s_and_saveexec_b32 s42, s10
; %bb.2002:                             ;   in Loop: Header=BB2_1198 Depth=2
	v_bfe_u32 v96, v10, 21, 1
	v_mov_b32_e32 v97, v35
	s_delay_alu instid0(VALU_DEP_1) | instskip(NEXT) | instid1(VALU_DEP_1)
	v_add_nc_u64_e32 v[96:97], v[10:11], v[96:97]
	v_add_nc_u64_e32 v[96:97], -1, v[96:97]
; %bb.2003:                             ;   in Loop: Header=BB2_1198 Depth=2
	s_or_b32 exec_lo, exec_lo, s42
	v_add_nc_u32_e32 v11, 0xffffff81, v99
	v_lshrrev_b32_e32 v97, 23, v10
	s_mov_b32 s10, exec_lo
	s_delay_alu instid0(VALU_DEP_2) | instskip(NEXT) | instid1(VALU_DEP_1)
	v_cndmask_b32_e64 v11, v11, 0xffffff82, vcc_lo
	v_add3_u32 v97, v40, v11, v97
	v_and_b32_e32 v11, 0x1fffff, v96
                                        ; implicit-def: $vgpr96
	s_delay_alu instid0(VALU_DEP_1) | instskip(SKIP_1) | instid1(VALU_DEP_2)
	v_dual_add_nc_u32 v99, 14, v97 :: v_dual_add_nc_u32 v10, v11, v10
	v_mov_b32_e32 v11, v35
	v_cmpx_ne_u32_e32 0, v99
	s_xor_b32 s10, exec_lo, s10
; %bb.2004:                             ;   in Loop: Header=BB2_1198 Depth=2
	s_delay_alu instid0(VALU_DEP_2) | instskip(SKIP_2) | instid1(VALU_DEP_2)
	v_cmp_lt_u64_e32 vcc_lo, 0xffffff, v[10:11]
	v_add_nc_u32_e32 v96, 15, v97
	v_cndmask_b32_e64 v97, 0, 1, vcc_lo
	v_cndmask_b32_e32 v96, v99, v96, vcc_lo
	s_delay_alu instid0(VALU_DEP_2)
	v_lshrrev_b64 v[10:11], v97, v[10:11]
; %bb.2005:                             ;   in Loop: Header=BB2_1198 Depth=2
	s_and_not1_saveexec_b32 s10, s10
; %bb.2006:                             ;   in Loop: Header=BB2_1198 Depth=2
	s_delay_alu instid0(VALU_DEP_1)
	v_bfe_u32 v96, v10, 23, 1
; %bb.2007:                             ;   in Loop: Header=BB2_1198 Depth=2
	s_or_b32 exec_lo, exec_lo, s10
	s_delay_alu instid0(VALU_DEP_2) | instskip(NEXT) | instid1(VALU_DEP_2)
	v_lshrrev_b64 v[10:11], 21, v[10:11]
	v_cmp_gt_i32_e32 vcc_lo, 32, v96
	v_min_i32_e32 v97, 31, v96
	v_cmp_eq_u32_e64 s10, 0, v96
	s_delay_alu instid0(VALU_DEP_2) | instskip(SKIP_1) | instid1(VALU_DEP_2)
	v_dual_cndmask_b32 v11, 0, v11, vcc_lo :: v_dual_lshlrev_b32 v97, 2, v97
	v_cndmask_b32_e32 v10, 3, v10, vcc_lo
	v_and_b32_e32 v97, 0xfc, v97
	s_delay_alu instid0(VALU_DEP_2) | instskip(NEXT) | instid1(VALU_DEP_2)
	v_cmp_eq_u64_e32 vcc_lo, 0, v[10:11]
	v_and_or_b32 v10, v10, 3, v97
	s_and_b32 s10, s10, vcc_lo
	s_delay_alu instid0(VALU_DEP_1) | instid1(SALU_CYCLE_1)
	v_cndmask_b32_e64 v10, v10, 0, s10
	s_delay_alu instid0(VALU_DEP_1)
	v_or_b32_e32 v40, v10, v98
.LBB2_2008:                             ;   in Loop: Header=BB2_1198 Depth=2
	s_or_b32 exec_lo, exec_lo, s41
                                        ; implicit-def: $vgpr98
.LBB2_2009:                             ;   in Loop: Header=BB2_1198 Depth=2
	s_and_not1_saveexec_b32 s10, s40
; %bb.2010:                             ;   in Loop: Header=BB2_1198 Depth=2
	v_or_b32_e32 v40, 0x7b, v98
; %bb.2011:                             ;   in Loop: Header=BB2_1198 Depth=2
	s_or_b32 exec_lo, exec_lo, s10
                                        ; implicit-def: $vgpr96
                                        ; implicit-def: $vgpr10_vgpr11
                                        ; implicit-def: $vgpr97
.LBB2_2012:                             ;   in Loop: Header=BB2_1198 Depth=2
	s_and_not1_saveexec_b32 s10, s29
	s_cbranch_execz .LBB2_2018
; %bb.2013:                             ;   in Loop: Header=BB2_1198 Depth=2
	s_mov_b32 s29, exec_lo
                                        ; implicit-def: $vgpr40
	v_cmpx_ne_u64_e32 0, v[10:11]
	s_xor_b32 s29, exec_lo, s29
; %bb.2014:                             ;   in Loop: Header=BB2_1198 Depth=2
	v_or_b32_e32 v40, 0x7f, v97
                                        ; implicit-def: $vgpr96
; %bb.2015:                             ;   in Loop: Header=BB2_1198 Depth=2
	s_and_not1_saveexec_b32 s29, s29
; %bb.2016:                             ;   in Loop: Header=BB2_1198 Depth=2
	v_cmp_lt_i32_e32 vcc_lo, -1, v96
	v_cndmask_b32_e32 v40, 0xfc, v63, vcc_lo
; %bb.2017:                             ;   in Loop: Header=BB2_1198 Depth=2
	s_or_b32 exec_lo, exec_lo, s29
.LBB2_2018:                             ;   in Loop: Header=BB2_1198 Depth=2
	s_delay_alu instid0(SALU_CYCLE_1) | instskip(SKIP_2) | instid1(VALU_DEP_1)
	s_or_b32 exec_lo, exec_lo, s10
	v_dual_mov_b32 v11, 0 :: v_dual_lshrrev_b32 v10, 16, v34
	s_mov_b32 s10, exec_lo
	v_and_b32_e32 v96, 0xff, v10
	s_delay_alu instid0(VALU_DEP_1)
	v_cmpx_ne_u16_e32 0, v96
	s_cbranch_execz .LBB2_2028
; %bb.2019:                             ;   in Loop: Header=BB2_1198 Depth=2
	v_bfrev_b32_e32 v11, 1
	s_mov_b32 s29, exec_lo
	v_cmpx_ne_u16_e32 0x80, v96
	s_cbranch_execz .LBB2_2027
; %bb.2020:                             ;   in Loop: Header=BB2_1198 Depth=2
	v_and_b32_e32 v11, 0x7c0000, v34
	v_bfe_u32 v96, v34, 16, 2
	s_delay_alu instid0(VALU_DEP_2) | instskip(SKIP_1) | instid1(SALU_CYCLE_1)
	v_cmp_ne_u32_e32 vcc_lo, 0x7c0000, v11
                                        ; implicit-def: $vgpr11
	s_and_saveexec_b32 s40, vcc_lo
	s_xor_b32 s40, exec_lo, s40
	s_cbranch_execz .LBB2_2024
; %bb.2021:                             ;   in Loop: Header=BB2_1198 Depth=2
	v_bfe_u32 v11, v34, 18, 5
	s_mov_b32 s41, exec_lo
	s_delay_alu instid0(VALU_DEP_1)
	v_cmpx_eq_u32_e32 0, v11
; %bb.2022:                             ;   in Loop: Header=BB2_1198 Depth=2
	v_clz_i32_u32_e32 v11, v96
	s_delay_alu instid0(VALU_DEP_1) | instskip(NEXT) | instid1(VALU_DEP_1)
	v_min_u32_e32 v11, 32, v11
	v_subrev_nc_u32_e32 v96, 29, v11
	s_delay_alu instid0(VALU_DEP_1) | instskip(NEXT) | instid1(VALU_DEP_1)
	v_lshlrev_b64_e32 v[96:97], v96, v[10:11]
	v_dual_sub_nc_u32 v11, 30, v11 :: v_dual_bitop2_b32 v96, 3, v96 bitop3:0x40
; %bb.2023:                             ;   in Loop: Header=BB2_1198 Depth=2
	s_or_b32 exec_lo, exec_lo, s41
	v_lshlrev_b32_e32 v10, 24, v10
	s_delay_alu instid0(VALU_DEP_1) | instskip(NEXT) | instid1(VALU_DEP_1)
	v_and_b32_e32 v10, 0x80000000, v10
	v_lshl_add_u32 v10, v11, 23, v10
	s_delay_alu instid0(VALU_DEP_1) | instskip(NEXT) | instid1(VALU_DEP_1)
	v_lshl_or_b32 v10, v96, 21, v10
                                        ; implicit-def: $vgpr96
	v_add_nc_u32_e32 v11, 0x38000000, v10
                                        ; implicit-def: $vgpr10
.LBB2_2024:                             ;   in Loop: Header=BB2_1198 Depth=2
	s_and_not1_saveexec_b32 s40, s40
; %bb.2025:                             ;   in Loop: Header=BB2_1198 Depth=2
	v_bfe_i32 v10, v10, 0, 8
	s_delay_alu instid0(VALU_DEP_1) | instskip(SKIP_2) | instid1(VALU_DEP_2)
	v_cmp_lt_i16_e32 vcc_lo, -1, v10
	v_cndmask_b32_e32 v10, 0xff800000, v62, vcc_lo
	v_cmp_eq_u32_e32 vcc_lo, 0, v96
	v_cndmask_b32_e32 v11, 0x7f800001, v10, vcc_lo
; %bb.2026:                             ;   in Loop: Header=BB2_1198 Depth=2
	s_or_b32 exec_lo, exec_lo, s40
.LBB2_2027:                             ;   in Loop: Header=BB2_1198 Depth=2
	s_delay_alu instid0(SALU_CYCLE_1)
	s_or_b32 exec_lo, exec_lo, s29
.LBB2_2028:                             ;   in Loop: Header=BB2_1198 Depth=2
	s_delay_alu instid0(SALU_CYCLE_1) | instskip(SKIP_3) | instid1(VALU_DEP_1)
	s_or_b32 exec_lo, exec_lo, s10
	v_lshrrev_b32_e32 v10, 16, v12
	s_mov_b32 s29, 0
	s_mov_b32 s10, exec_lo
	v_and_b32_e32 v97, 0xff, v10
	s_delay_alu instid0(VALU_DEP_1)
	v_cmpx_lt_i16_e32 0x7f, v97
	s_xor_b32 s10, exec_lo, s10
	s_cbranch_execnz .LBB2_2245
; %bb.2029:                             ;   in Loop: Header=BB2_1198 Depth=2
	s_or_saveexec_b32 s10, s10
	v_bfrev_b32_e32 v96, 1
	s_xor_b32 exec_lo, exec_lo, s10
	s_cbranch_execnz .LBB2_2248
.LBB2_2030:                             ;   in Loop: Header=BB2_1198 Depth=2
	s_or_b32 exec_lo, exec_lo, s10
	s_and_saveexec_b32 s10, s29
	s_cbranch_execz .LBB2_2032
.LBB2_2031:                             ;   in Loop: Header=BB2_1198 Depth=2
	v_and_b32_e32 v98, 3, v10
	v_bfe_u32 v43, v12, 18, 5
	s_delay_alu instid0(VALU_DEP_2) | instskip(NEXT) | instid1(VALU_DEP_2)
	v_clz_i32_u32_e32 v96, v98
	v_cmp_eq_u32_e32 vcc_lo, 0, v43
	s_delay_alu instid0(VALU_DEP_2) | instskip(NEXT) | instid1(VALU_DEP_1)
	v_min_u32_e32 v99, 32, v96
	v_subrev_nc_u32_e32 v96, 29, v99
	s_delay_alu instid0(VALU_DEP_1) | instskip(SKIP_2) | instid1(VALU_DEP_2)
	v_lshlrev_b64_e32 v[96:97], v96, v[10:11]
	v_dual_lshlrev_b32 v97, 24, v10 :: v_dual_sub_nc_u32 v99, 30, v99
	v_bfe_i32 v10, v10, 0, 8
	v_and_b32_e32 v97, 0x80000000, v97
	s_delay_alu instid0(VALU_DEP_3) | instskip(NEXT) | instid1(VALU_DEP_1)
	v_dual_cndmask_b32 v99, v43, v99, vcc_lo :: v_dual_bitop2_b32 v96, 3, v96 bitop3:0x40
	v_cndmask_b32_e32 v96, v98, v96, vcc_lo
	s_delay_alu instid0(VALU_DEP_2) | instskip(SKIP_1) | instid1(VALU_DEP_2)
	v_lshl_add_u32 v97, v99, 23, v97
	v_cmp_lt_i16_e32 vcc_lo, -1, v10
	v_lshl_or_b32 v96, v96, 21, v97
	v_cndmask_b32_e32 v10, 0xff800000, v62, vcc_lo
	v_and_b32_e32 v97, 0x7c0000, v12
	v_cmp_eq_u32_e32 vcc_lo, 0, v98
	s_delay_alu instid0(VALU_DEP_4) | instskip(NEXT) | instid1(VALU_DEP_4)
	v_add_nc_u32_e32 v96, 0x38000000, v96
	v_cndmask_b32_e32 v10, 0x7f800001, v10, vcc_lo
	s_delay_alu instid0(VALU_DEP_4) | instskip(NEXT) | instid1(VALU_DEP_2)
	v_cmp_eq_u32_e32 vcc_lo, 0x7c0000, v97
	v_cndmask_b32_e32 v96, v96, v10, vcc_lo
.LBB2_2032:                             ;   in Loop: Header=BB2_1198 Depth=2
	s_or_b32 exec_lo, exec_lo, s10
	s_delay_alu instid0(VALU_DEP_1) | instskip(SKIP_2) | instid1(VALU_DEP_2)
	v_add_f32_e32 v96, v11, v96
	v_dual_mov_b32 v99, v35 :: v_dual_mov_b32 v11, v35
                                        ; implicit-def: $vgpr43
	s_mov_b32 s10, exec_lo
	v_and_b32_e32 v98, 0x7f800000, v96
	v_and_b32_e32 v10, 0x7fffff, v96
	v_lshrrev_b32_e32 v97, 24, v96
	s_delay_alu instid0(VALU_DEP_3)
	v_cmpx_ne_u64_e32 0x7f800000, v[98:99]
	s_xor_b32 s29, exec_lo, s10
	s_cbranch_execz .LBB2_2046
; %bb.2033:                             ;   in Loop: Header=BB2_1198 Depth=2
	v_and_b32_e32 v98, 0x7fffffff, v96
	v_mov_b32_e32 v99, v35
                                        ; implicit-def: $vgpr43
	s_delay_alu instid0(VALU_DEP_1) | instskip(SKIP_2) | instid1(SALU_CYCLE_1)
	v_cmp_gt_u64_e32 vcc_lo, 0x47600001, v[98:99]
	v_and_b32_e32 v98, 0x80, v97
	s_and_saveexec_b32 s10, vcc_lo
	s_xor_b32 s40, exec_lo, s10
	s_cbranch_execz .LBB2_2043
; %bb.2034:                             ;   in Loop: Header=BB2_1198 Depth=2
	v_mov_b32_e32 v43, 0
	s_mov_b32 s41, exec_lo
	v_cmpx_ne_u32_e32 0, v96
	s_cbranch_execz .LBB2_2042
; %bb.2035:                             ;   in Loop: Header=BB2_1198 Depth=2
	v_bfe_u32 v99, v96, 23, 8
	v_or_b32_e32 v45, 0x800000, v10
	s_delay_alu instid0(VALU_DEP_2) | instskip(SKIP_1) | instid1(VALU_DEP_2)
	v_sub_nc_u32_e32 v96, 0x71, v99
	v_cmp_gt_u32_e32 vcc_lo, 0x72, v99
	v_cndmask_b32_e32 v96, 0, v96, vcc_lo
	v_cmp_eq_u32_e32 vcc_lo, 0, v99
	s_delay_alu instid0(VALU_DEP_2) | instskip(NEXT) | instid1(VALU_DEP_1)
	v_cndmask_b32_e64 v43, v96, 0x70, vcc_lo
	v_dual_cndmask_b32 v10, v45, v10, vcc_lo :: v_dual_add_nc_u32 v96, 21, v43
	v_add_nc_u32_e32 v46, 20, v43
	s_delay_alu instid0(VALU_DEP_2) | instskip(NEXT) | instid1(VALU_DEP_2)
	v_lshlrev_b64_e64 v[96:97], v96, -1
	v_lshlrev_b64_e64 v[46:47], v46, 1
	s_delay_alu instid0(VALU_DEP_2) | instskip(SKIP_1) | instid1(VALU_DEP_4)
	v_bfi_b32 v96, v96, 0, v10
	v_lshrrev_b64 v[10:11], v43, v[10:11]
	v_bfi_b32 v97, v97, 0, 0
	s_delay_alu instid0(VALU_DEP_1) | instskip(NEXT) | instid1(VALU_DEP_3)
	v_cmp_eq_u64_e64 s10, v[96:97], v[46:47]
	v_mov_b64_e32 v[96:97], v[10:11]
	s_and_saveexec_b32 s42, s10
; %bb.2036:                             ;   in Loop: Header=BB2_1198 Depth=2
	v_bfe_u32 v96, v10, 21, 1
	v_mov_b32_e32 v97, v35
	s_delay_alu instid0(VALU_DEP_1) | instskip(NEXT) | instid1(VALU_DEP_1)
	v_add_nc_u64_e32 v[96:97], v[10:11], v[96:97]
	v_add_nc_u64_e32 v[96:97], -1, v[96:97]
; %bb.2037:                             ;   in Loop: Header=BB2_1198 Depth=2
	s_or_b32 exec_lo, exec_lo, s42
	v_add_nc_u32_e32 v11, 0xffffff81, v99
	v_lshrrev_b32_e32 v97, 23, v10
	s_mov_b32 s10, exec_lo
	s_delay_alu instid0(VALU_DEP_2) | instskip(NEXT) | instid1(VALU_DEP_1)
	v_cndmask_b32_e64 v11, v11, 0xffffff82, vcc_lo
	v_add3_u32 v97, v43, v11, v97
	v_and_b32_e32 v11, 0x1fffff, v96
                                        ; implicit-def: $vgpr96
	s_delay_alu instid0(VALU_DEP_1) | instskip(SKIP_1) | instid1(VALU_DEP_2)
	v_dual_add_nc_u32 v99, 14, v97 :: v_dual_add_nc_u32 v10, v11, v10
	v_mov_b32_e32 v11, v35
	v_cmpx_ne_u32_e32 0, v99
	s_xor_b32 s10, exec_lo, s10
; %bb.2038:                             ;   in Loop: Header=BB2_1198 Depth=2
	s_delay_alu instid0(VALU_DEP_2) | instskip(SKIP_2) | instid1(VALU_DEP_2)
	v_cmp_lt_u64_e32 vcc_lo, 0xffffff, v[10:11]
	v_add_nc_u32_e32 v96, 15, v97
	v_cndmask_b32_e64 v97, 0, 1, vcc_lo
	v_cndmask_b32_e32 v96, v99, v96, vcc_lo
	s_delay_alu instid0(VALU_DEP_2)
	v_lshrrev_b64 v[10:11], v97, v[10:11]
; %bb.2039:                             ;   in Loop: Header=BB2_1198 Depth=2
	s_and_not1_saveexec_b32 s10, s10
; %bb.2040:                             ;   in Loop: Header=BB2_1198 Depth=2
	s_delay_alu instid0(VALU_DEP_1)
	v_bfe_u32 v96, v10, 23, 1
; %bb.2041:                             ;   in Loop: Header=BB2_1198 Depth=2
	s_or_b32 exec_lo, exec_lo, s10
	s_delay_alu instid0(VALU_DEP_2) | instskip(NEXT) | instid1(VALU_DEP_2)
	v_lshrrev_b64 v[10:11], 21, v[10:11]
	v_cmp_gt_i32_e32 vcc_lo, 32, v96
	v_min_i32_e32 v97, 31, v96
	v_cmp_eq_u32_e64 s10, 0, v96
	s_delay_alu instid0(VALU_DEP_2) | instskip(SKIP_1) | instid1(VALU_DEP_2)
	v_dual_cndmask_b32 v11, 0, v11, vcc_lo :: v_dual_lshlrev_b32 v97, 2, v97
	v_cndmask_b32_e32 v10, 3, v10, vcc_lo
	v_and_b32_e32 v97, 0xfc, v97
	s_delay_alu instid0(VALU_DEP_2) | instskip(NEXT) | instid1(VALU_DEP_2)
	v_cmp_eq_u64_e32 vcc_lo, 0, v[10:11]
	v_and_or_b32 v10, v10, 3, v97
	s_and_b32 s10, s10, vcc_lo
	s_delay_alu instid0(VALU_DEP_1) | instid1(SALU_CYCLE_1)
	v_cndmask_b32_e64 v10, v10, 0, s10
	s_delay_alu instid0(VALU_DEP_1)
	v_or_b32_e32 v43, v10, v98
.LBB2_2042:                             ;   in Loop: Header=BB2_1198 Depth=2
	s_or_b32 exec_lo, exec_lo, s41
                                        ; implicit-def: $vgpr98
.LBB2_2043:                             ;   in Loop: Header=BB2_1198 Depth=2
	s_and_not1_saveexec_b32 s10, s40
; %bb.2044:                             ;   in Loop: Header=BB2_1198 Depth=2
	v_or_b32_e32 v43, 0x7b, v98
; %bb.2045:                             ;   in Loop: Header=BB2_1198 Depth=2
	s_or_b32 exec_lo, exec_lo, s10
                                        ; implicit-def: $vgpr96
                                        ; implicit-def: $vgpr10_vgpr11
                                        ; implicit-def: $vgpr97
.LBB2_2046:                             ;   in Loop: Header=BB2_1198 Depth=2
	s_and_not1_saveexec_b32 s10, s29
	s_cbranch_execz .LBB2_2052
; %bb.2047:                             ;   in Loop: Header=BB2_1198 Depth=2
	s_mov_b32 s29, exec_lo
                                        ; implicit-def: $vgpr43
	v_cmpx_ne_u64_e32 0, v[10:11]
	s_xor_b32 s29, exec_lo, s29
; %bb.2048:                             ;   in Loop: Header=BB2_1198 Depth=2
	v_or_b32_e32 v43, 0x7f, v97
                                        ; implicit-def: $vgpr96
; %bb.2049:                             ;   in Loop: Header=BB2_1198 Depth=2
	s_and_not1_saveexec_b32 s29, s29
; %bb.2050:                             ;   in Loop: Header=BB2_1198 Depth=2
	v_cmp_lt_i32_e32 vcc_lo, -1, v96
	v_cndmask_b32_e32 v43, 0xfc, v63, vcc_lo
; %bb.2051:                             ;   in Loop: Header=BB2_1198 Depth=2
	s_or_b32 exec_lo, exec_lo, s29
.LBB2_2052:                             ;   in Loop: Header=BB2_1198 Depth=2
	s_delay_alu instid0(SALU_CYCLE_1)
	s_or_b32 exec_lo, exec_lo, s10
	v_mov_b32_e32 v11, 0
	s_mov_b32 s10, exec_lo
	v_cmpx_lt_u32_e32 0xffffff, v34
	s_cbranch_execz .LBB2_2062
; %bb.2053:                             ;   in Loop: Header=BB2_1198 Depth=2
	v_lshrrev_b32_e32 v10, 24, v34
	v_bfrev_b32_e32 v11, 1
	s_mov_b32 s29, exec_lo
	s_delay_alu instid0(VALU_DEP_2)
	v_cmpx_ne_u32_e32 0x80, v10
	s_cbranch_execz .LBB2_2061
; %bb.2054:                             ;   in Loop: Header=BB2_1198 Depth=2
	v_and_b32_e32 v11, 0x7c000000, v34
	v_bfe_u32 v96, v34, 24, 2
	s_delay_alu instid0(VALU_DEP_2) | instskip(SKIP_1) | instid1(SALU_CYCLE_1)
	v_cmp_ne_u32_e32 vcc_lo, 0x7c000000, v11
                                        ; implicit-def: $vgpr11
	s_and_saveexec_b32 s40, vcc_lo
	s_xor_b32 s40, exec_lo, s40
	s_cbranch_execz .LBB2_2058
; %bb.2055:                             ;   in Loop: Header=BB2_1198 Depth=2
	v_bfe_u32 v11, v34, 26, 5
	s_mov_b32 s41, exec_lo
	s_delay_alu instid0(VALU_DEP_1)
	v_cmpx_eq_u32_e32 0, v11
; %bb.2056:                             ;   in Loop: Header=BB2_1198 Depth=2
	v_clz_i32_u32_e32 v11, v96
	s_delay_alu instid0(VALU_DEP_1) | instskip(NEXT) | instid1(VALU_DEP_1)
	v_min_u32_e32 v96, 32, v11
	v_subrev_nc_u32_e32 v11, 29, v96
	s_delay_alu instid0(VALU_DEP_1) | instskip(NEXT) | instid1(VALU_DEP_1)
	v_lshlrev_b64_e32 v[10:11], v11, v[10:11]
	v_dual_sub_nc_u32 v11, 30, v96 :: v_dual_bitop2_b32 v96, 3, v10 bitop3:0x40
; %bb.2057:                             ;   in Loop: Header=BB2_1198 Depth=2
	s_or_b32 exec_lo, exec_lo, s41
	v_and_b32_e32 v10, 0x80000000, v34
	s_delay_alu instid0(VALU_DEP_1) | instskip(NEXT) | instid1(VALU_DEP_1)
	v_lshl_add_u32 v10, v11, 23, v10
	v_lshl_or_b32 v10, v96, 21, v10
                                        ; implicit-def: $vgpr96
	s_delay_alu instid0(VALU_DEP_1)
	v_add_nc_u32_e32 v11, 0x38000000, v10
.LBB2_2058:                             ;   in Loop: Header=BB2_1198 Depth=2
	s_and_not1_saveexec_b32 s40, s40
; %bb.2059:                             ;   in Loop: Header=BB2_1198 Depth=2
	v_cmp_lt_i32_e32 vcc_lo, -1, v34
	v_cndmask_b32_e32 v10, 0xff800000, v62, vcc_lo
	v_cmp_eq_u32_e32 vcc_lo, 0, v96
	s_delay_alu instid0(VALU_DEP_2)
	v_cndmask_b32_e32 v11, 0x7f800001, v10, vcc_lo
; %bb.2060:                             ;   in Loop: Header=BB2_1198 Depth=2
	s_or_b32 exec_lo, exec_lo, s40
.LBB2_2061:                             ;   in Loop: Header=BB2_1198 Depth=2
	s_delay_alu instid0(SALU_CYCLE_1)
	s_or_b32 exec_lo, exec_lo, s29
.LBB2_2062:                             ;   in Loop: Header=BB2_1198 Depth=2
	s_delay_alu instid0(SALU_CYCLE_1) | instskip(SKIP_3) | instid1(VALU_DEP_2)
	s_or_b32 exec_lo, exec_lo, s10
	v_bfe_u32 v34, v12, 24, 2
	v_bfe_u32 v99, v12, 26, 5
                                        ; implicit-def: $vgpr45
	s_mov_b32 s10, exec_lo
	v_clz_i32_u32_e32 v10, v34
	s_delay_alu instid0(VALU_DEP_2) | instskip(NEXT) | instid1(VALU_DEP_2)
	v_cmp_eq_u32_e32 vcc_lo, 0, v99
	v_min_u32_e32 v98, 32, v10
	v_lshrrev_b32_e32 v10, 24, v12
	s_delay_alu instid0(VALU_DEP_2) | instskip(NEXT) | instid1(VALU_DEP_1)
	v_subrev_nc_u32_e32 v96, 29, v98
	v_lshlrev_b64_e32 v[96:97], v96, v[10:11]
	v_sub_nc_u32_e32 v97, 30, v98
	v_and_b32_e32 v98, 0x80000000, v12
	s_delay_alu instid0(VALU_DEP_2) | instskip(NEXT) | instid1(VALU_DEP_1)
	v_dual_cndmask_b32 v97, v99, v97, vcc_lo :: v_dual_bitop2_b32 v96, 3, v96 bitop3:0x40
	v_lshl_add_u32 v97, v97, 23, v98
	s_delay_alu instid0(VALU_DEP_2) | instskip(SKIP_1) | instid1(VALU_DEP_2)
	v_cndmask_b32_e32 v96, v34, v96, vcc_lo
	v_cmp_lt_i32_e32 vcc_lo, -1, v12
	v_lshl_or_b32 v96, v96, 21, v97
	v_cndmask_b32_e32 v98, 0xff800000, v62, vcc_lo
	v_and_b32_e32 v97, 0x7c000000, v12
	v_cmp_eq_u32_e32 vcc_lo, 0, v34
	s_delay_alu instid0(VALU_DEP_4) | instskip(NEXT) | instid1(VALU_DEP_4)
	v_add_nc_u32_e32 v96, 0x38000000, v96
	v_cndmask_b32_e32 v34, 0x7f800001, v98, vcc_lo
	s_delay_alu instid0(VALU_DEP_4) | instskip(NEXT) | instid1(VALU_DEP_2)
	v_cmp_eq_u32_e32 vcc_lo, 0x7c000000, v97
	v_dual_mov_b32 v97, v35 :: v_dual_cndmask_b32 v34, v96, v34
	v_cmp_ne_u32_e32 vcc_lo, 0x80, v10
	s_delay_alu instid0(VALU_DEP_2) | instskip(SKIP_1) | instid1(VALU_DEP_2)
	v_cndmask_b32_e32 v10, 0x80000000, v34, vcc_lo
	v_cmp_lt_u32_e32 vcc_lo, 0xffffff, v12
	v_cndmask_b32_e32 v10, 0, v10, vcc_lo
	s_delay_alu instid0(VALU_DEP_1) | instskip(NEXT) | instid1(VALU_DEP_1)
	v_add_f32_e32 v10, v10, v11
	v_and_b32_e32 v96, 0x7f800000, v10
	v_and_b32_e32 v34, 0x7fffff, v10
	v_lshrrev_b32_e32 v11, 24, v10
	s_delay_alu instid0(VALU_DEP_3)
	v_cmpx_ne_u64_e32 0x7f800000, v[96:97]
	s_xor_b32 s29, exec_lo, s10
	s_cbranch_execz .LBB2_2076
; %bb.2063:                             ;   in Loop: Header=BB2_1198 Depth=2
	v_and_b32_e32 v96, 0x7fffffff, v10
	v_mov_b32_e32 v97, v35
	v_and_b32_e32 v98, 0x80, v11
                                        ; implicit-def: $vgpr45
	s_mov_b32 s10, exec_lo
	s_delay_alu instid0(VALU_DEP_2)
	v_cmpx_gt_u64_e32 0x47600001, v[96:97]
	s_xor_b32 s40, exec_lo, s10
	s_cbranch_execz .LBB2_2073
; %bb.2064:                             ;   in Loop: Header=BB2_1198 Depth=2
	v_mov_b32_e32 v45, 0
	s_mov_b32 s41, exec_lo
	v_cmpx_ne_u32_e32 0, v10
	s_cbranch_execz .LBB2_2072
; %bb.2065:                             ;   in Loop: Header=BB2_1198 Depth=2
	v_bfe_u32 v99, v10, 23, 8
	v_or_b32_e32 v96, 0x800000, v34
	s_delay_alu instid0(VALU_DEP_2) | instskip(SKIP_1) | instid1(VALU_DEP_2)
	v_sub_nc_u32_e32 v10, 0x71, v99
	v_cmp_gt_u32_e32 vcc_lo, 0x72, v99
	v_cndmask_b32_e32 v10, 0, v10, vcc_lo
	v_cmp_eq_u32_e32 vcc_lo, 0, v99
	s_delay_alu instid0(VALU_DEP_2) | instskip(NEXT) | instid1(VALU_DEP_1)
	v_cndmask_b32_e64 v45, v10, 0x70, vcc_lo
	v_dual_cndmask_b32 v34, v96, v34, vcc_lo :: v_dual_add_nc_u32 v10, 21, v45
	v_add_nc_u32_e32 v97, 20, v45
	s_delay_alu instid0(VALU_DEP_2) | instskip(NEXT) | instid1(VALU_DEP_2)
	v_lshlrev_b64_e64 v[10:11], v10, -1
	v_lshlrev_b64_e64 v[96:97], v97, 1
	s_delay_alu instid0(VALU_DEP_2) | instskip(NEXT) | instid1(VALU_DEP_3)
	v_bfi_b32 v47, v11, 0, 0
	v_bfi_b32 v46, v10, 0, v34
	v_lshrrev_b64 v[10:11], v45, v[34:35]
	s_delay_alu instid0(VALU_DEP_2) | instskip(NEXT) | instid1(VALU_DEP_2)
	v_cmp_eq_u64_e64 s10, v[46:47], v[96:97]
	v_mov_b64_e32 v[96:97], v[10:11]
	s_and_saveexec_b32 s42, s10
; %bb.2066:                             ;   in Loop: Header=BB2_1198 Depth=2
	v_bfe_u32 v34, v10, 21, 1
	s_delay_alu instid0(VALU_DEP_1) | instskip(NEXT) | instid1(VALU_DEP_1)
	v_add_nc_u64_e32 v[96:97], v[10:11], v[34:35]
	v_add_nc_u64_e32 v[96:97], -1, v[96:97]
; %bb.2067:                             ;   in Loop: Header=BB2_1198 Depth=2
	s_or_b32 exec_lo, exec_lo, s42
	v_add_nc_u32_e32 v11, 0xffffff81, v99
	v_lshrrev_b32_e32 v34, 23, v10
	s_mov_b32 s10, exec_lo
	s_delay_alu instid0(VALU_DEP_2) | instskip(NEXT) | instid1(VALU_DEP_1)
	v_cndmask_b32_e64 v11, v11, 0xffffff82, vcc_lo
	v_add3_u32 v97, v45, v11, v34
	v_and_b32_e32 v11, 0x1fffff, v96
                                        ; implicit-def: $vgpr96
	s_delay_alu instid0(VALU_DEP_1) | instskip(NEXT) | instid1(VALU_DEP_1)
	v_dual_add_nc_u32 v99, 14, v97 :: v_dual_add_nc_u32 v34, v11, v10
                                        ; implicit-def: $vgpr10_vgpr11
	v_cmpx_ne_u32_e32 0, v99
	s_xor_b32 s10, exec_lo, s10
; %bb.2068:                             ;   in Loop: Header=BB2_1198 Depth=2
	s_delay_alu instid0(VALU_DEP_2) | instskip(SKIP_1) | instid1(VALU_DEP_1)
	v_cmp_lt_u64_e32 vcc_lo, 0xffffff, v[34:35]
	v_add_nc_u32_e32 v10, 15, v97
	v_cndmask_b32_e32 v96, v99, v10, vcc_lo
	v_cndmask_b32_e64 v10, 0, 1, vcc_lo
	s_delay_alu instid0(VALU_DEP_1)
	v_lshrrev_b64 v[10:11], v10, v[34:35]
; %bb.2069:                             ;   in Loop: Header=BB2_1198 Depth=2
	s_and_not1_saveexec_b32 s10, s10
; %bb.2070:                             ;   in Loop: Header=BB2_1198 Depth=2
	v_mov_b64_e32 v[10:11], v[34:35]
	v_bfe_u32 v96, v34, 23, 1
; %bb.2071:                             ;   in Loop: Header=BB2_1198 Depth=2
	s_or_b32 exec_lo, exec_lo, s10
	s_delay_alu instid0(VALU_DEP_2) | instskip(NEXT) | instid1(VALU_DEP_2)
	v_lshrrev_b64 v[10:11], 21, v[10:11]
	v_cmp_gt_i32_e32 vcc_lo, 32, v96
	v_min_i32_e32 v34, 31, v96
	v_cmp_eq_u32_e64 s10, 0, v96
	s_delay_alu instid0(VALU_DEP_2) | instskip(SKIP_1) | instid1(VALU_DEP_2)
	v_dual_cndmask_b32 v11, 0, v11 :: v_dual_lshlrev_b32 v34, 2, v34
	v_cndmask_b32_e32 v10, 3, v10, vcc_lo
	v_and_b32_e32 v34, 0xfc, v34
	s_delay_alu instid0(VALU_DEP_2) | instskip(NEXT) | instid1(VALU_DEP_2)
	v_cmp_eq_u64_e32 vcc_lo, 0, v[10:11]
	v_and_or_b32 v10, v10, 3, v34
	s_and_b32 s10, s10, vcc_lo
	s_delay_alu instid0(VALU_DEP_1) | instid1(SALU_CYCLE_1)
	v_cndmask_b32_e64 v10, v10, 0, s10
	s_delay_alu instid0(VALU_DEP_1)
	v_or_b32_e32 v45, v10, v98
.LBB2_2072:                             ;   in Loop: Header=BB2_1198 Depth=2
	s_or_b32 exec_lo, exec_lo, s41
                                        ; implicit-def: $vgpr98
.LBB2_2073:                             ;   in Loop: Header=BB2_1198 Depth=2
	s_and_not1_saveexec_b32 s10, s40
; %bb.2074:                             ;   in Loop: Header=BB2_1198 Depth=2
	v_or_b32_e32 v45, 0x7b, v98
; %bb.2075:                             ;   in Loop: Header=BB2_1198 Depth=2
	s_or_b32 exec_lo, exec_lo, s10
                                        ; implicit-def: $vgpr10
                                        ; implicit-def: $vgpr11
.LBB2_2076:                             ;   in Loop: Header=BB2_1198 Depth=2
	s_and_not1_saveexec_b32 s10, s29
	s_cbranch_execz .LBB2_2082
; %bb.2077:                             ;   in Loop: Header=BB2_1198 Depth=2
	s_mov_b32 s29, exec_lo
                                        ; implicit-def: $vgpr45
	v_cmpx_ne_u64_e32 0, v[34:35]
	s_xor_b32 s29, exec_lo, s29
; %bb.2078:                             ;   in Loop: Header=BB2_1198 Depth=2
	v_or_b32_e32 v45, 0x7f, v11
                                        ; implicit-def: $vgpr10
; %bb.2079:                             ;   in Loop: Header=BB2_1198 Depth=2
	s_and_not1_saveexec_b32 s29, s29
; %bb.2080:                             ;   in Loop: Header=BB2_1198 Depth=2
	v_cmp_lt_i32_e32 vcc_lo, -1, v10
	v_cndmask_b32_e32 v45, 0xfc, v63, vcc_lo
; %bb.2081:                             ;   in Loop: Header=BB2_1198 Depth=2
	s_or_b32 exec_lo, exec_lo, s29
.LBB2_2082:                             ;   in Loop: Header=BB2_1198 Depth=2
	s_delay_alu instid0(SALU_CYCLE_1) | instskip(SKIP_4) | instid1(VALU_DEP_2)
	s_or_b32 exec_lo, exec_lo, s10
	v_dual_lshlrev_b32 v10, 24, v42 :: v_dual_lshlrev_b32 v11, 16, v119
	v_lshl_or_b32 v117, v117, 8, v114
	v_mov_b32_e32 v96, 0
	s_mov_b32 s10, exec_lo
	v_or3_b32 v34, v11, v10, v117
	v_cmpx_ne_u32_e32 0, v114
	s_cbranch_execz .LBB2_2092
; %bb.2083:                             ;   in Loop: Header=BB2_1198 Depth=2
	v_bfrev_b32_e32 v96, 1
	s_mov_b32 s29, exec_lo
	v_cmpx_ne_u32_e32 0x80, v114
	s_cbranch_execz .LBB2_2091
; %bb.2084:                             ;   in Loop: Header=BB2_1198 Depth=2
	v_and_b32_e32 v11, 0x7c, v114
	v_and_b32_e32 v10, 3, v114
	s_mov_b32 s40, exec_lo
                                        ; implicit-def: $vgpr96
	s_delay_alu instid0(VALU_DEP_2)
	v_cmpx_ne_u32_e32 0x7c, v11
	s_xor_b32 s40, exec_lo, s40
	s_cbranch_execz .LBB2_2088
; %bb.2085:                             ;   in Loop: Header=BB2_1198 Depth=2
	v_bfe_u32 v11, v114, 2, 5
	s_mov_b32 s41, exec_lo
	s_delay_alu instid0(VALU_DEP_1)
	v_cmpx_eq_u32_e32 0, v11
; %bb.2086:                             ;   in Loop: Header=BB2_1198 Depth=2
	v_clz_i32_u32_e32 v10, v10
	s_delay_alu instid0(VALU_DEP_1) | instskip(NEXT) | instid1(VALU_DEP_1)
	v_min_u32_e32 v96, 32, v10
	v_subrev_nc_u32_e32 v10, 29, v96
	s_delay_alu instid0(VALU_DEP_1) | instskip(NEXT) | instid1(VALU_DEP_1)
	v_lshlrev_b64_e32 v[10:11], v10, v[34:35]
	v_dual_sub_nc_u32 v11, 30, v96 :: v_dual_bitop2_b32 v10, 3, v10 bitop3:0x40
; %bb.2087:                             ;   in Loop: Header=BB2_1198 Depth=2
	s_or_b32 exec_lo, exec_lo, s41
	v_lshlrev_b32_e32 v96, 24, v114
                                        ; implicit-def: $vgpr114
	s_delay_alu instid0(VALU_DEP_1) | instskip(NEXT) | instid1(VALU_DEP_1)
	v_and_b32_e32 v96, 0x80000000, v96
	v_lshl_add_u32 v11, v11, 23, v96
	s_delay_alu instid0(VALU_DEP_1) | instskip(NEXT) | instid1(VALU_DEP_1)
	v_lshl_or_b32 v10, v10, 21, v11
	v_add_nc_u32_e32 v96, 0x38000000, v10
                                        ; implicit-def: $vgpr10
.LBB2_2088:                             ;   in Loop: Header=BB2_1198 Depth=2
	s_and_not1_saveexec_b32 s40, s40
; %bb.2089:                             ;   in Loop: Header=BB2_1198 Depth=2
	v_and_b32_e32 v11, 0x80, v114
	s_delay_alu instid0(VALU_DEP_1) | instskip(SKIP_2) | instid1(VALU_DEP_2)
	v_cmp_eq_u32_e32 vcc_lo, 0, v11
	v_cndmask_b32_e32 v11, 0xff800000, v62, vcc_lo
	v_cmp_eq_u32_e32 vcc_lo, 0, v10
	v_cndmask_b32_e32 v96, 0x7f800001, v11, vcc_lo
; %bb.2090:                             ;   in Loop: Header=BB2_1198 Depth=2
	s_or_b32 exec_lo, exec_lo, s40
.LBB2_2091:                             ;   in Loop: Header=BB2_1198 Depth=2
	s_delay_alu instid0(SALU_CYCLE_1)
	s_or_b32 exec_lo, exec_lo, s29
.LBB2_2092:                             ;   in Loop: Header=BB2_1198 Depth=2
	s_delay_alu instid0(SALU_CYCLE_1) | instskip(SKIP_4) | instid1(VALU_DEP_2)
	s_or_b32 exec_lo, exec_lo, s10
	v_and_b32_e32 v11, 0xff, v13
	v_mov_b32_e32 v10, v13
	s_mov_b32 s29, 0
	s_mov_b32 s10, exec_lo
	v_cmpx_lt_i16_e32 0x7f, v11
	s_xor_b32 s10, exec_lo, s10
	s_cbranch_execnz .LBB2_2249
; %bb.2093:                             ;   in Loop: Header=BB2_1198 Depth=2
	s_or_saveexec_b32 s10, s10
	v_bfrev_b32_e32 v97, 1
	s_xor_b32 exec_lo, exec_lo, s10
	s_cbranch_execnz .LBB2_2252
.LBB2_2094:                             ;   in Loop: Header=BB2_1198 Depth=2
	s_or_b32 exec_lo, exec_lo, s10
	v_mov_b32_e32 v11, v35
	s_and_saveexec_b32 s10, s29
	s_cbranch_execz .LBB2_2096
.LBB2_2095:                             ;   in Loop: Header=BB2_1198 Depth=2
	v_and_b32_e32 v97, 3, v13
	s_delay_alu instid0(VALU_DEP_1) | instskip(NEXT) | instid1(VALU_DEP_1)
	v_clz_i32_u32_e32 v98, v97
	v_min_u32_e32 v114, 32, v98
	s_delay_alu instid0(VALU_DEP_1) | instskip(SKIP_1) | instid1(VALU_DEP_2)
	v_subrev_nc_u32_e32 v98, 29, v114
	v_sub_nc_u32_e32 v114, 30, v114
	v_lshlrev_b64_e32 v[98:99], v98, v[10:11]
	v_bfe_u32 v99, v13, 2, 5
	v_lshlrev_b32_e32 v11, 24, v13
	s_delay_alu instid0(VALU_DEP_2) | instskip(NEXT) | instid1(VALU_DEP_2)
	v_cmp_eq_u32_e32 vcc_lo, 0, v99
	v_and_b32_e32 v11, 0x80000000, v11
	v_and_b32_e32 v98, 3, v98
	v_cndmask_b32_e32 v99, v99, v114, vcc_lo
	v_bfe_i32 v114, v13, 0, 8
	s_delay_alu instid0(VALU_DEP_3) | instskip(NEXT) | instid1(VALU_DEP_3)
	v_cndmask_b32_e32 v98, v97, v98, vcc_lo
	v_lshl_add_u32 v11, v99, 23, v11
	s_delay_alu instid0(VALU_DEP_3) | instskip(NEXT) | instid1(VALU_DEP_2)
	v_cmp_lt_i16_e32 vcc_lo, -1, v114
	v_lshl_or_b32 v11, v98, 21, v11
	v_cndmask_b32_e32 v99, 0xff800000, v62, vcc_lo
	v_and_b32_e32 v98, 0x7c, v13
	v_cmp_eq_u32_e32 vcc_lo, 0, v97
	s_delay_alu instid0(VALU_DEP_4) | instskip(NEXT) | instid1(VALU_DEP_4)
	v_add_nc_u32_e32 v11, 0x38000000, v11
	v_cndmask_b32_e32 v97, 0x7f800001, v99, vcc_lo
	s_delay_alu instid0(VALU_DEP_4) | instskip(NEXT) | instid1(VALU_DEP_2)
	v_cmp_eq_u32_e32 vcc_lo, 0x7c, v98
	v_cndmask_b32_e32 v97, v11, v97, vcc_lo
.LBB2_2096:                             ;   in Loop: Header=BB2_1198 Depth=2
	s_or_b32 exec_lo, exec_lo, s10
	s_delay_alu instid0(VALU_DEP_1) | instskip(SKIP_2) | instid1(VALU_DEP_2)
	v_dual_add_f32 v99, v96, v97 :: v_dual_mov_b32 v47, v35
	v_mov_b32_e32 v97, v35
                                        ; implicit-def: $vgpr98
	s_mov_b32 s10, exec_lo
	v_and_b32_e32 v46, 0x7f800000, v99
	v_and_b32_e32 v96, 0x7fffff, v99
	v_lshrrev_b32_e32 v11, 24, v99
	s_delay_alu instid0(VALU_DEP_3)
	v_cmpx_ne_u64_e32 0x7f800000, v[46:47]
	s_xor_b32 s29, exec_lo, s10
	s_cbranch_execz .LBB2_2110
; %bb.2097:                             ;   in Loop: Header=BB2_1198 Depth=2
	v_and_b32_e32 v46, 0x7fffffff, v99
	v_mov_b32_e32 v47, v35
	v_and_b32_e32 v11, 0x80, v11
                                        ; implicit-def: $vgpr98
	s_mov_b32 s10, exec_lo
	s_delay_alu instid0(VALU_DEP_2)
	v_cmpx_gt_u64_e32 0x47600001, v[46:47]
	s_xor_b32 s40, exec_lo, s10
	s_cbranch_execz .LBB2_2107
; %bb.2098:                             ;   in Loop: Header=BB2_1198 Depth=2
	v_mov_b32_e32 v98, 0
	s_mov_b32 s41, exec_lo
	v_cmpx_ne_u32_e32 0, v99
	s_cbranch_execz .LBB2_2106
; %bb.2099:                             ;   in Loop: Header=BB2_1198 Depth=2
	v_bfe_u32 v114, v99, 23, 8
	v_or_b32_e32 v42, 0x800000, v96
	s_delay_alu instid0(VALU_DEP_2) | instskip(SKIP_1) | instid1(VALU_DEP_2)
	v_sub_nc_u32_e32 v98, 0x71, v114
	v_cmp_gt_u32_e32 vcc_lo, 0x72, v114
	v_cndmask_b32_e32 v98, 0, v98, vcc_lo
	v_cmp_eq_u32_e32 vcc_lo, 0, v114
	s_delay_alu instid0(VALU_DEP_2) | instskip(NEXT) | instid1(VALU_DEP_1)
	v_cndmask_b32_e64 v119, v98, 0x70, vcc_lo
	v_dual_cndmask_b32 v96, v42, v96, vcc_lo :: v_dual_add_nc_u32 v98, 21, v119
	v_add_nc_u32_e32 v46, 20, v119
	s_delay_alu instid0(VALU_DEP_2) | instskip(NEXT) | instid1(VALU_DEP_2)
	v_lshlrev_b64_e64 v[98:99], v98, -1
	v_lshlrev_b64_e64 v[46:47], v46, 1
	s_delay_alu instid0(VALU_DEP_2) | instskip(SKIP_1) | instid1(VALU_DEP_4)
	v_bfi_b32 v98, v98, 0, v96
	v_lshrrev_b64 v[96:97], v119, v[96:97]
	v_bfi_b32 v99, v99, 0, 0
	s_delay_alu instid0(VALU_DEP_1) | instskip(NEXT) | instid1(VALU_DEP_3)
	v_cmp_eq_u64_e64 s10, v[98:99], v[46:47]
	v_mov_b64_e32 v[98:99], v[96:97]
	s_and_saveexec_b32 s42, s10
; %bb.2100:                             ;   in Loop: Header=BB2_1198 Depth=2
	v_bfe_u32 v98, v96, 21, 1
	v_mov_b32_e32 v99, v35
	s_delay_alu instid0(VALU_DEP_1) | instskip(NEXT) | instid1(VALU_DEP_1)
	v_add_nc_u64_e32 v[98:99], v[96:97], v[98:99]
	v_add_nc_u64_e32 v[98:99], -1, v[98:99]
; %bb.2101:                             ;   in Loop: Header=BB2_1198 Depth=2
	s_or_b32 exec_lo, exec_lo, s42
	v_add_nc_u32_e32 v97, 0xffffff81, v114
	v_lshrrev_b32_e32 v99, 23, v96
	s_mov_b32 s10, exec_lo
	s_delay_alu instid0(VALU_DEP_2) | instskip(NEXT) | instid1(VALU_DEP_1)
	v_cndmask_b32_e64 v97, v97, 0xffffff82, vcc_lo
	v_add3_u32 v99, v119, v97, v99
	v_and_b32_e32 v97, 0x1fffff, v98
                                        ; implicit-def: $vgpr98
	s_delay_alu instid0(VALU_DEP_1) | instskip(SKIP_1) | instid1(VALU_DEP_2)
	v_dual_add_nc_u32 v114, 14, v99 :: v_dual_add_nc_u32 v96, v97, v96
	v_mov_b32_e32 v97, v35
	v_cmpx_ne_u32_e32 0, v114
	s_xor_b32 s10, exec_lo, s10
; %bb.2102:                             ;   in Loop: Header=BB2_1198 Depth=2
	s_delay_alu instid0(VALU_DEP_2) | instskip(SKIP_2) | instid1(VALU_DEP_2)
	v_cmp_lt_u64_e32 vcc_lo, 0xffffff, v[96:97]
	v_add_nc_u32_e32 v98, 15, v99
	v_cndmask_b32_e64 v99, 0, 1, vcc_lo
	v_cndmask_b32_e32 v98, v114, v98, vcc_lo
	s_delay_alu instid0(VALU_DEP_2)
	v_lshrrev_b64 v[96:97], v99, v[96:97]
; %bb.2103:                             ;   in Loop: Header=BB2_1198 Depth=2
	s_and_not1_saveexec_b32 s10, s10
; %bb.2104:                             ;   in Loop: Header=BB2_1198 Depth=2
	s_delay_alu instid0(VALU_DEP_1)
	v_bfe_u32 v98, v96, 23, 1
; %bb.2105:                             ;   in Loop: Header=BB2_1198 Depth=2
	s_or_b32 exec_lo, exec_lo, s10
	s_delay_alu instid0(VALU_DEP_2) | instskip(NEXT) | instid1(VALU_DEP_2)
	v_lshrrev_b64 v[96:97], 21, v[96:97]
	v_cmp_gt_i32_e32 vcc_lo, 32, v98
	v_min_i32_e32 v99, 31, v98
	v_cmp_eq_u32_e64 s10, 0, v98
	s_delay_alu instid0(VALU_DEP_2) | instskip(SKIP_1) | instid1(VALU_DEP_2)
	v_dual_cndmask_b32 v97, 0, v97, vcc_lo :: v_dual_lshlrev_b32 v99, 2, v99
	v_cndmask_b32_e32 v96, 3, v96, vcc_lo
	v_and_b32_e32 v99, 0xfc, v99
	s_delay_alu instid0(VALU_DEP_2) | instskip(NEXT) | instid1(VALU_DEP_2)
	v_cmp_eq_u64_e32 vcc_lo, 0, v[96:97]
	v_and_or_b32 v96, v96, 3, v99
	s_and_b32 s10, s10, vcc_lo
	s_delay_alu instid0(VALU_DEP_1) | instid1(SALU_CYCLE_1)
	v_cndmask_b32_e64 v96, v96, 0, s10
	s_delay_alu instid0(VALU_DEP_1)
	v_or_b32_e32 v98, v96, v11
.LBB2_2106:                             ;   in Loop: Header=BB2_1198 Depth=2
	s_or_b32 exec_lo, exec_lo, s41
                                        ; implicit-def: $vgpr11
.LBB2_2107:                             ;   in Loop: Header=BB2_1198 Depth=2
	s_and_not1_saveexec_b32 s10, s40
; %bb.2108:                             ;   in Loop: Header=BB2_1198 Depth=2
	v_or_b32_e32 v98, 0x7b, v11
; %bb.2109:                             ;   in Loop: Header=BB2_1198 Depth=2
	s_or_b32 exec_lo, exec_lo, s10
                                        ; implicit-def: $vgpr99
                                        ; implicit-def: $vgpr96_vgpr97
                                        ; implicit-def: $vgpr11
.LBB2_2110:                             ;   in Loop: Header=BB2_1198 Depth=2
	s_and_not1_saveexec_b32 s10, s29
	s_cbranch_execz .LBB2_2116
; %bb.2111:                             ;   in Loop: Header=BB2_1198 Depth=2
	s_mov_b32 s29, exec_lo
                                        ; implicit-def: $vgpr98
	v_cmpx_ne_u64_e32 0, v[96:97]
	s_xor_b32 s29, exec_lo, s29
; %bb.2112:                             ;   in Loop: Header=BB2_1198 Depth=2
	v_or_b32_e32 v98, 0x7f, v11
                                        ; implicit-def: $vgpr99
; %bb.2113:                             ;   in Loop: Header=BB2_1198 Depth=2
	s_and_not1_saveexec_b32 s29, s29
; %bb.2114:                             ;   in Loop: Header=BB2_1198 Depth=2
	v_cmp_lt_i32_e32 vcc_lo, -1, v99
	v_cndmask_b32_e32 v98, 0xfc, v63, vcc_lo
; %bb.2115:                             ;   in Loop: Header=BB2_1198 Depth=2
	s_or_b32 exec_lo, exec_lo, s29
.LBB2_2116:                             ;   in Loop: Header=BB2_1198 Depth=2
	s_delay_alu instid0(SALU_CYCLE_1) | instskip(SKIP_3) | instid1(VALU_DEP_2)
	s_or_b32 exec_lo, exec_lo, s10
	v_lshrrev_b16 v96, 8, v117
	v_mov_b32_e32 v11, 0
	s_mov_b32 s10, exec_lo
	v_cmpx_ne_u16_e32 0, v96
	s_cbranch_execz .LBB2_2126
; %bb.2117:                             ;   in Loop: Header=BB2_1198 Depth=2
	v_bfrev_b32_e32 v11, 1
	s_mov_b32 s29, exec_lo
	v_cmpx_ne_u16_e32 0x80, v96
	s_cbranch_execz .LBB2_2125
; %bb.2118:                             ;   in Loop: Header=BB2_1198 Depth=2
	v_and_b32_e32 v99, 0xffff, v96
	s_delay_alu instid0(VALU_DEP_1) | instskip(SKIP_1) | instid1(VALU_DEP_2)
	v_and_b32_e32 v11, 0x7c, v99
	v_and_b32_e32 v97, 3, v99
	v_cmp_ne_u32_e32 vcc_lo, 0x7c, v11
                                        ; implicit-def: $vgpr11
	s_and_saveexec_b32 s40, vcc_lo
	s_delay_alu instid0(SALU_CYCLE_1)
	s_xor_b32 s40, exec_lo, s40
	s_cbranch_execz .LBB2_2122
; %bb.2119:                             ;   in Loop: Header=BB2_1198 Depth=2
	v_bfe_u32 v11, v99, 2, 5
	s_mov_b32 s41, exec_lo
	s_delay_alu instid0(VALU_DEP_1)
	v_cmpx_eq_u32_e32 0, v11
	s_cbranch_execz .LBB2_2121
; %bb.2120:                             ;   in Loop: Header=BB2_1198 Depth=2
	v_clz_i32_u32_e32 v11, v97
	s_delay_alu instid0(VALU_DEP_1) | instskip(SKIP_1) | instid1(VALU_DEP_2)
	v_min_u32_e32 v11, 32, v11
	v_mov_b32_e32 v97, v35
	v_subrev_nc_u32_e32 v99, 29, v11
	v_sub_nc_u32_e32 v11, 30, v11
	s_delay_alu instid0(VALU_DEP_2) | instskip(NEXT) | instid1(VALU_DEP_1)
	v_lshlrev_b64_e32 v[96:97], v99, v[96:97]
	v_and_b32_e32 v97, 3, v96
.LBB2_2121:                             ;   in Loop: Header=BB2_1198 Depth=2
	s_or_b32 exec_lo, exec_lo, s41
	v_lshlrev_b32_e32 v96, 16, v117
                                        ; implicit-def: $vgpr117
	s_delay_alu instid0(VALU_DEP_1) | instskip(NEXT) | instid1(VALU_DEP_1)
	v_and_b32_e32 v96, 0x80000000, v96
	v_lshl_add_u32 v11, v11, 23, v96
	s_delay_alu instid0(VALU_DEP_1) | instskip(NEXT) | instid1(VALU_DEP_1)
	v_lshl_or_b32 v11, v97, 21, v11
                                        ; implicit-def: $vgpr97
	v_add_nc_u32_e32 v11, 0x38000000, v11
.LBB2_2122:                             ;   in Loop: Header=BB2_1198 Depth=2
	s_and_not1_saveexec_b32 s40, s40
; %bb.2123:                             ;   in Loop: Header=BB2_1198 Depth=2
	v_cmp_lt_i16_e32 vcc_lo, -1, v117
	v_cndmask_b32_e32 v11, 0xff800000, v62, vcc_lo
	v_cmp_eq_u32_e32 vcc_lo, 0, v97
	s_delay_alu instid0(VALU_DEP_2)
	v_cndmask_b32_e32 v11, 0x7f800001, v11, vcc_lo
; %bb.2124:                             ;   in Loop: Header=BB2_1198 Depth=2
	s_or_b32 exec_lo, exec_lo, s40
.LBB2_2125:                             ;   in Loop: Header=BB2_1198 Depth=2
	s_delay_alu instid0(SALU_CYCLE_1)
	s_or_b32 exec_lo, exec_lo, s29
.LBB2_2126:                             ;   in Loop: Header=BB2_1198 Depth=2
	s_delay_alu instid0(SALU_CYCLE_1) | instskip(SKIP_3) | instid1(VALU_DEP_1)
	s_or_b32 exec_lo, exec_lo, s10
	v_lshrrev_b16 v96, 8, v10
	s_mov_b32 s29, 0
	s_mov_b32 s10, exec_lo
	v_cmpx_lt_i16_e32 0x7f, v96
	s_xor_b32 s10, exec_lo, s10
	s_cbranch_execnz .LBB2_2253
; %bb.2127:                             ;   in Loop: Header=BB2_1198 Depth=2
	s_or_saveexec_b32 s10, s10
	v_bfrev_b32_e32 v97, 1
	s_xor_b32 exec_lo, exec_lo, s10
	s_cbranch_execnz .LBB2_2256
.LBB2_2128:                             ;   in Loop: Header=BB2_1198 Depth=2
	s_or_b32 exec_lo, exec_lo, s10
	s_and_saveexec_b32 s10, s29
	s_cbranch_execz .LBB2_2130
.LBB2_2129:                             ;   in Loop: Header=BB2_1198 Depth=2
	v_and_b32_e32 v99, 0xffff, v96
	s_delay_alu instid0(VALU_DEP_1) | instskip(NEXT) | instid1(VALU_DEP_1)
	v_and_b32_e32 v114, 3, v99
	v_clz_i32_u32_e32 v97, v114
	s_delay_alu instid0(VALU_DEP_1) | instskip(SKIP_1) | instid1(VALU_DEP_2)
	v_min_u32_e32 v117, 32, v97
	v_mov_b32_e32 v97, v35
	v_subrev_nc_u32_e32 v119, 29, v117
	v_sub_nc_u32_e32 v117, 30, v117
	s_delay_alu instid0(VALU_DEP_2) | instskip(SKIP_2) | instid1(VALU_DEP_2)
	v_lshlrev_b64_e32 v[46:47], v119, v[96:97]
	v_bfe_u32 v97, v99, 2, 5
	v_lshlrev_b32_e32 v96, 24, v96
	v_cmp_eq_u32_e32 vcc_lo, 0, v97
	s_delay_alu instid0(VALU_DEP_2) | instskip(SKIP_1) | instid1(VALU_DEP_1)
	v_and_b32_e32 v96, 0x80000000, v96
	v_dual_cndmask_b32 v97, v97, v117, vcc_lo :: v_dual_bitop2_b32 v119, 3, v46 bitop3:0x40
	v_cndmask_b32_e32 v117, v114, v119, vcc_lo
	v_cmp_lt_i16_e32 vcc_lo, -1, v10
	s_delay_alu instid0(VALU_DEP_3) | instskip(SKIP_3) | instid1(VALU_DEP_4)
	v_lshl_add_u32 v96, v97, 23, v96
	v_and_b32_e32 v97, 0x7c, v99
	v_cndmask_b32_e32 v10, 0xff800000, v62, vcc_lo
	v_cmp_eq_u32_e32 vcc_lo, 0, v114
	v_lshl_or_b32 v96, v117, 21, v96
	s_delay_alu instid0(VALU_DEP_3) | instskip(NEXT) | instid1(VALU_DEP_2)
	v_cndmask_b32_e32 v10, 0x7f800001, v10, vcc_lo
	v_add_nc_u32_e32 v96, 0x38000000, v96
	v_cmp_eq_u32_e32 vcc_lo, 0x7c, v97
	s_delay_alu instid0(VALU_DEP_2)
	v_cndmask_b32_e32 v97, v96, v10, vcc_lo
.LBB2_2130:                             ;   in Loop: Header=BB2_1198 Depth=2
	s_or_b32 exec_lo, exec_lo, s10
	s_delay_alu instid0(VALU_DEP_1) | instskip(SKIP_2) | instid1(VALU_DEP_2)
	v_add_f32_e32 v96, v11, v97
	v_dual_mov_b32 v47, v35 :: v_dual_mov_b32 v11, v35
                                        ; implicit-def: $vgpr99
	s_mov_b32 s10, exec_lo
	v_and_b32_e32 v46, 0x7f800000, v96
	v_and_b32_e32 v10, 0x7fffff, v96
	v_lshrrev_b32_e32 v97, 24, v96
	s_delay_alu instid0(VALU_DEP_3)
	v_cmpx_ne_u64_e32 0x7f800000, v[46:47]
	s_xor_b32 s29, exec_lo, s10
	s_cbranch_execz .LBB2_2144
; %bb.2131:                             ;   in Loop: Header=BB2_1198 Depth=2
	v_and_b32_e32 v46, 0x7fffffff, v96
	v_mov_b32_e32 v47, v35
	v_and_b32_e32 v114, 0x80, v97
                                        ; implicit-def: $vgpr99
	s_mov_b32 s10, exec_lo
	s_delay_alu instid0(VALU_DEP_2)
	v_cmpx_gt_u64_e32 0x47600001, v[46:47]
	s_xor_b32 s40, exec_lo, s10
	s_cbranch_execz .LBB2_2141
; %bb.2132:                             ;   in Loop: Header=BB2_1198 Depth=2
	v_mov_b32_e32 v99, 0
	s_mov_b32 s41, exec_lo
	v_cmpx_ne_u32_e32 0, v96
	s_cbranch_execz .LBB2_2140
; %bb.2133:                             ;   in Loop: Header=BB2_1198 Depth=2
	v_bfe_u32 v99, v96, 23, 8
	v_or_b32_e32 v119, 0x800000, v10
	s_delay_alu instid0(VALU_DEP_2) | instskip(SKIP_1) | instid1(VALU_DEP_2)
	v_sub_nc_u32_e32 v96, 0x71, v99
	v_cmp_gt_u32_e32 vcc_lo, 0x72, v99
	v_cndmask_b32_e32 v96, 0, v96, vcc_lo
	v_cmp_eq_u32_e32 vcc_lo, 0, v99
	s_delay_alu instid0(VALU_DEP_2) | instskip(NEXT) | instid1(VALU_DEP_1)
	v_cndmask_b32_e64 v117, v96, 0x70, vcc_lo
	v_dual_cndmask_b32 v10, v119, v10, vcc_lo :: v_dual_add_nc_u32 v96, 21, v117
	v_add_nc_u32_e32 v42, 20, v117
	s_delay_alu instid0(VALU_DEP_2) | instskip(NEXT) | instid1(VALU_DEP_2)
	v_lshlrev_b64_e64 v[96:97], v96, -1
	v_lshlrev_b64_e64 v[46:47], v42, 1
	s_delay_alu instid0(VALU_DEP_2) | instskip(SKIP_1) | instid1(VALU_DEP_4)
	v_bfi_b32 v96, v96, 0, v10
	v_lshrrev_b64 v[10:11], v117, v[10:11]
	v_bfi_b32 v97, v97, 0, 0
	s_delay_alu instid0(VALU_DEP_1) | instskip(NEXT) | instid1(VALU_DEP_3)
	v_cmp_eq_u64_e64 s10, v[96:97], v[46:47]
	v_mov_b64_e32 v[96:97], v[10:11]
	s_and_saveexec_b32 s42, s10
; %bb.2134:                             ;   in Loop: Header=BB2_1198 Depth=2
	v_bfe_u32 v96, v10, 21, 1
	v_mov_b32_e32 v97, v35
	s_delay_alu instid0(VALU_DEP_1) | instskip(NEXT) | instid1(VALU_DEP_1)
	v_add_nc_u64_e32 v[96:97], v[10:11], v[96:97]
	v_add_nc_u64_e32 v[96:97], -1, v[96:97]
; %bb.2135:                             ;   in Loop: Header=BB2_1198 Depth=2
	s_or_b32 exec_lo, exec_lo, s42
	v_add_nc_u32_e32 v11, 0xffffff81, v99
	v_lshrrev_b32_e32 v97, 23, v10
	s_mov_b32 s10, exec_lo
	s_delay_alu instid0(VALU_DEP_2) | instskip(NEXT) | instid1(VALU_DEP_1)
	v_cndmask_b32_e64 v11, v11, 0xffffff82, vcc_lo
	v_add3_u32 v97, v117, v11, v97
	v_and_b32_e32 v11, 0x1fffff, v96
                                        ; implicit-def: $vgpr96
	s_delay_alu instid0(VALU_DEP_1) | instskip(SKIP_1) | instid1(VALU_DEP_2)
	v_dual_add_nc_u32 v99, 14, v97 :: v_dual_add_nc_u32 v10, v11, v10
	v_mov_b32_e32 v11, v35
	v_cmpx_ne_u32_e32 0, v99
	s_xor_b32 s10, exec_lo, s10
; %bb.2136:                             ;   in Loop: Header=BB2_1198 Depth=2
	s_delay_alu instid0(VALU_DEP_2) | instskip(SKIP_2) | instid1(VALU_DEP_2)
	v_cmp_lt_u64_e32 vcc_lo, 0xffffff, v[10:11]
	v_add_nc_u32_e32 v96, 15, v97
	v_cndmask_b32_e64 v97, 0, 1, vcc_lo
	v_cndmask_b32_e32 v96, v99, v96, vcc_lo
	s_delay_alu instid0(VALU_DEP_2)
	v_lshrrev_b64 v[10:11], v97, v[10:11]
; %bb.2137:                             ;   in Loop: Header=BB2_1198 Depth=2
	s_and_not1_saveexec_b32 s10, s10
; %bb.2138:                             ;   in Loop: Header=BB2_1198 Depth=2
	s_delay_alu instid0(VALU_DEP_1)
	v_bfe_u32 v96, v10, 23, 1
; %bb.2139:                             ;   in Loop: Header=BB2_1198 Depth=2
	s_or_b32 exec_lo, exec_lo, s10
	s_delay_alu instid0(VALU_DEP_2) | instskip(NEXT) | instid1(VALU_DEP_2)
	v_lshrrev_b64 v[10:11], 21, v[10:11]
	v_cmp_gt_i32_e32 vcc_lo, 32, v96
	v_min_i32_e32 v97, 31, v96
	v_cmp_eq_u32_e64 s10, 0, v96
	s_delay_alu instid0(VALU_DEP_2) | instskip(SKIP_1) | instid1(VALU_DEP_2)
	v_dual_cndmask_b32 v11, 0, v11, vcc_lo :: v_dual_lshlrev_b32 v97, 2, v97
	v_cndmask_b32_e32 v10, 3, v10, vcc_lo
	v_and_b32_e32 v97, 0xfc, v97
	s_delay_alu instid0(VALU_DEP_2) | instskip(NEXT) | instid1(VALU_DEP_2)
	v_cmp_eq_u64_e32 vcc_lo, 0, v[10:11]
	v_and_or_b32 v10, v10, 3, v97
	s_and_b32 s10, s10, vcc_lo
	s_delay_alu instid0(VALU_DEP_1) | instid1(SALU_CYCLE_1)
	v_cndmask_b32_e64 v10, v10, 0, s10
	s_delay_alu instid0(VALU_DEP_1)
	v_or_b32_e32 v99, v10, v114
.LBB2_2140:                             ;   in Loop: Header=BB2_1198 Depth=2
	s_or_b32 exec_lo, exec_lo, s41
                                        ; implicit-def: $vgpr114
.LBB2_2141:                             ;   in Loop: Header=BB2_1198 Depth=2
	s_and_not1_saveexec_b32 s10, s40
; %bb.2142:                             ;   in Loop: Header=BB2_1198 Depth=2
	v_or_b32_e32 v99, 0x7b, v114
; %bb.2143:                             ;   in Loop: Header=BB2_1198 Depth=2
	s_or_b32 exec_lo, exec_lo, s10
                                        ; implicit-def: $vgpr96
                                        ; implicit-def: $vgpr10_vgpr11
                                        ; implicit-def: $vgpr97
.LBB2_2144:                             ;   in Loop: Header=BB2_1198 Depth=2
	s_and_not1_saveexec_b32 s10, s29
	s_cbranch_execz .LBB2_2150
; %bb.2145:                             ;   in Loop: Header=BB2_1198 Depth=2
	s_mov_b32 s29, exec_lo
                                        ; implicit-def: $vgpr99
	v_cmpx_ne_u64_e32 0, v[10:11]
	s_xor_b32 s29, exec_lo, s29
; %bb.2146:                             ;   in Loop: Header=BB2_1198 Depth=2
	v_or_b32_e32 v99, 0x7f, v97
                                        ; implicit-def: $vgpr96
; %bb.2147:                             ;   in Loop: Header=BB2_1198 Depth=2
	s_and_not1_saveexec_b32 s29, s29
; %bb.2148:                             ;   in Loop: Header=BB2_1198 Depth=2
	v_cmp_lt_i32_e32 vcc_lo, -1, v96
	v_cndmask_b32_e32 v99, 0xfc, v63, vcc_lo
; %bb.2149:                             ;   in Loop: Header=BB2_1198 Depth=2
	s_or_b32 exec_lo, exec_lo, s29
.LBB2_2150:                             ;   in Loop: Header=BB2_1198 Depth=2
	s_delay_alu instid0(SALU_CYCLE_1) | instskip(SKIP_2) | instid1(VALU_DEP_1)
	s_or_b32 exec_lo, exec_lo, s10
	v_dual_mov_b32 v11, 0 :: v_dual_lshrrev_b32 v10, 16, v34
	s_mov_b32 s10, exec_lo
	v_and_b32_e32 v96, 0xff, v10
	s_delay_alu instid0(VALU_DEP_1)
	v_cmpx_ne_u16_e32 0, v96
	s_cbranch_execz .LBB2_2160
; %bb.2151:                             ;   in Loop: Header=BB2_1198 Depth=2
	v_bfrev_b32_e32 v11, 1
	s_mov_b32 s29, exec_lo
	v_cmpx_ne_u16_e32 0x80, v96
	s_cbranch_execz .LBB2_2159
; %bb.2152:                             ;   in Loop: Header=BB2_1198 Depth=2
	v_and_b32_e32 v11, 0x7c0000, v34
	v_bfe_u32 v96, v34, 16, 2
	s_delay_alu instid0(VALU_DEP_2) | instskip(SKIP_1) | instid1(SALU_CYCLE_1)
	v_cmp_ne_u32_e32 vcc_lo, 0x7c0000, v11
                                        ; implicit-def: $vgpr11
	s_and_saveexec_b32 s40, vcc_lo
	s_xor_b32 s40, exec_lo, s40
	s_cbranch_execz .LBB2_2156
; %bb.2153:                             ;   in Loop: Header=BB2_1198 Depth=2
	v_bfe_u32 v11, v34, 18, 5
	s_mov_b32 s41, exec_lo
	s_delay_alu instid0(VALU_DEP_1)
	v_cmpx_eq_u32_e32 0, v11
; %bb.2154:                             ;   in Loop: Header=BB2_1198 Depth=2
	v_clz_i32_u32_e32 v11, v96
	s_delay_alu instid0(VALU_DEP_1) | instskip(NEXT) | instid1(VALU_DEP_1)
	v_min_u32_e32 v11, 32, v11
	v_subrev_nc_u32_e32 v96, 29, v11
	s_delay_alu instid0(VALU_DEP_1) | instskip(NEXT) | instid1(VALU_DEP_1)
	v_lshlrev_b64_e32 v[96:97], v96, v[10:11]
	v_dual_sub_nc_u32 v11, 30, v11 :: v_dual_bitop2_b32 v96, 3, v96 bitop3:0x40
; %bb.2155:                             ;   in Loop: Header=BB2_1198 Depth=2
	s_or_b32 exec_lo, exec_lo, s41
	v_lshlrev_b32_e32 v10, 24, v10
	s_delay_alu instid0(VALU_DEP_1) | instskip(NEXT) | instid1(VALU_DEP_1)
	v_and_b32_e32 v10, 0x80000000, v10
	v_lshl_add_u32 v10, v11, 23, v10
	s_delay_alu instid0(VALU_DEP_1) | instskip(NEXT) | instid1(VALU_DEP_1)
	v_lshl_or_b32 v10, v96, 21, v10
                                        ; implicit-def: $vgpr96
	v_add_nc_u32_e32 v11, 0x38000000, v10
                                        ; implicit-def: $vgpr10
.LBB2_2156:                             ;   in Loop: Header=BB2_1198 Depth=2
	s_and_not1_saveexec_b32 s40, s40
; %bb.2157:                             ;   in Loop: Header=BB2_1198 Depth=2
	v_bfe_i32 v10, v10, 0, 8
	s_delay_alu instid0(VALU_DEP_1) | instskip(SKIP_2) | instid1(VALU_DEP_2)
	v_cmp_lt_i16_e32 vcc_lo, -1, v10
	v_cndmask_b32_e32 v10, 0xff800000, v62, vcc_lo
	v_cmp_eq_u32_e32 vcc_lo, 0, v96
	v_cndmask_b32_e32 v11, 0x7f800001, v10, vcc_lo
; %bb.2158:                             ;   in Loop: Header=BB2_1198 Depth=2
	s_or_b32 exec_lo, exec_lo, s40
.LBB2_2159:                             ;   in Loop: Header=BB2_1198 Depth=2
	s_delay_alu instid0(SALU_CYCLE_1)
	s_or_b32 exec_lo, exec_lo, s29
.LBB2_2160:                             ;   in Loop: Header=BB2_1198 Depth=2
	s_delay_alu instid0(SALU_CYCLE_1) | instskip(SKIP_3) | instid1(VALU_DEP_1)
	s_or_b32 exec_lo, exec_lo, s10
	v_lshrrev_b32_e32 v10, 16, v13
	s_mov_b32 s29, 0
	s_mov_b32 s10, exec_lo
	v_and_b32_e32 v97, 0xff, v10
	s_delay_alu instid0(VALU_DEP_1)
	v_cmpx_lt_i16_e32 0x7f, v97
	s_xor_b32 s10, exec_lo, s10
	s_cbranch_execnz .LBB2_2257
; %bb.2161:                             ;   in Loop: Header=BB2_1198 Depth=2
	s_or_saveexec_b32 s10, s10
	v_bfrev_b32_e32 v96, 1
	s_xor_b32 exec_lo, exec_lo, s10
	s_cbranch_execnz .LBB2_2260
.LBB2_2162:                             ;   in Loop: Header=BB2_1198 Depth=2
	s_or_b32 exec_lo, exec_lo, s10
	s_and_saveexec_b32 s10, s29
	s_cbranch_execz .LBB2_2164
.LBB2_2163:                             ;   in Loop: Header=BB2_1198 Depth=2
	v_and_b32_e32 v114, 3, v10
	v_bfe_u32 v119, v13, 18, 5
	s_delay_alu instid0(VALU_DEP_2) | instskip(NEXT) | instid1(VALU_DEP_2)
	v_clz_i32_u32_e32 v96, v114
	v_cmp_eq_u32_e32 vcc_lo, 0, v119
	s_delay_alu instid0(VALU_DEP_2) | instskip(NEXT) | instid1(VALU_DEP_1)
	v_min_u32_e32 v117, 32, v96
	v_subrev_nc_u32_e32 v96, 29, v117
	s_delay_alu instid0(VALU_DEP_1) | instskip(SKIP_2) | instid1(VALU_DEP_2)
	v_lshlrev_b64_e32 v[96:97], v96, v[10:11]
	v_dual_lshlrev_b32 v97, 24, v10 :: v_dual_sub_nc_u32 v117, 30, v117
	v_bfe_i32 v10, v10, 0, 8
	v_and_b32_e32 v97, 0x80000000, v97
	s_delay_alu instid0(VALU_DEP_3) | instskip(NEXT) | instid1(VALU_DEP_1)
	v_dual_cndmask_b32 v117, v119, v117, vcc_lo :: v_dual_bitop2_b32 v96, 3, v96 bitop3:0x40
	v_cndmask_b32_e32 v96, v114, v96, vcc_lo
	s_delay_alu instid0(VALU_DEP_2) | instskip(SKIP_1) | instid1(VALU_DEP_2)
	v_lshl_add_u32 v97, v117, 23, v97
	v_cmp_lt_i16_e32 vcc_lo, -1, v10
	v_lshl_or_b32 v96, v96, 21, v97
	v_cndmask_b32_e32 v10, 0xff800000, v62, vcc_lo
	v_and_b32_e32 v97, 0x7c0000, v13
	v_cmp_eq_u32_e32 vcc_lo, 0, v114
	s_delay_alu instid0(VALU_DEP_4) | instskip(NEXT) | instid1(VALU_DEP_4)
	v_add_nc_u32_e32 v96, 0x38000000, v96
	v_cndmask_b32_e32 v10, 0x7f800001, v10, vcc_lo
	s_delay_alu instid0(VALU_DEP_4) | instskip(NEXT) | instid1(VALU_DEP_2)
	v_cmp_eq_u32_e32 vcc_lo, 0x7c0000, v97
	v_cndmask_b32_e32 v96, v96, v10, vcc_lo
.LBB2_2164:                             ;   in Loop: Header=BB2_1198 Depth=2
	s_or_b32 exec_lo, exec_lo, s10
	s_delay_alu instid0(VALU_DEP_1) | instskip(SKIP_2) | instid1(VALU_DEP_2)
	v_add_f32_e32 v97, v11, v96
	v_dual_mov_b32 v47, v35 :: v_dual_mov_b32 v11, v35
                                        ; implicit-def: $vgpr96
	s_mov_b32 s10, exec_lo
	v_and_b32_e32 v46, 0x7f800000, v97
	v_and_b32_e32 v10, 0x7fffff, v97
	v_lshrrev_b32_e32 v114, 24, v97
	s_delay_alu instid0(VALU_DEP_3)
	v_cmpx_ne_u64_e32 0x7f800000, v[46:47]
	s_xor_b32 s29, exec_lo, s10
	s_cbranch_execz .LBB2_2178
; %bb.2165:                             ;   in Loop: Header=BB2_1198 Depth=2
	v_and_b32_e32 v46, 0x7fffffff, v97
	v_mov_b32_e32 v47, v35
	v_and_b32_e32 v114, 0x80, v114
                                        ; implicit-def: $vgpr96
	s_mov_b32 s10, exec_lo
	s_delay_alu instid0(VALU_DEP_2)
	v_cmpx_gt_u64_e32 0x47600001, v[46:47]
	s_xor_b32 s40, exec_lo, s10
	s_cbranch_execz .LBB2_2175
; %bb.2166:                             ;   in Loop: Header=BB2_1198 Depth=2
	v_mov_b32_e32 v96, 0
	s_mov_b32 s41, exec_lo
	v_cmpx_ne_u32_e32 0, v97
	s_cbranch_execz .LBB2_2174
; %bb.2167:                             ;   in Loop: Header=BB2_1198 Depth=2
	v_bfe_u32 v117, v97, 23, 8
	v_or_b32_e32 v42, 0x800000, v10
	s_delay_alu instid0(VALU_DEP_2) | instskip(SKIP_1) | instid1(VALU_DEP_2)
	v_sub_nc_u32_e32 v96, 0x71, v117
	v_cmp_gt_u32_e32 vcc_lo, 0x72, v117
	v_cndmask_b32_e32 v96, 0, v96, vcc_lo
	v_cmp_eq_u32_e32 vcc_lo, 0, v117
	s_delay_alu instid0(VALU_DEP_2) | instskip(NEXT) | instid1(VALU_DEP_1)
	v_cndmask_b32_e64 v119, v96, 0x70, vcc_lo
	v_dual_cndmask_b32 v10, v42, v10, vcc_lo :: v_dual_add_nc_u32 v96, 21, v119
	v_add_nc_u32_e32 v46, 20, v119
	s_delay_alu instid0(VALU_DEP_2) | instskip(NEXT) | instid1(VALU_DEP_2)
	v_lshlrev_b64_e64 v[96:97], v96, -1
	v_lshlrev_b64_e64 v[46:47], v46, 1
	s_delay_alu instid0(VALU_DEP_2) | instskip(SKIP_1) | instid1(VALU_DEP_4)
	v_bfi_b32 v96, v96, 0, v10
	v_lshrrev_b64 v[10:11], v119, v[10:11]
	v_bfi_b32 v97, v97, 0, 0
	s_delay_alu instid0(VALU_DEP_1) | instskip(NEXT) | instid1(VALU_DEP_3)
	v_cmp_eq_u64_e64 s10, v[96:97], v[46:47]
	v_mov_b64_e32 v[96:97], v[10:11]
	s_and_saveexec_b32 s42, s10
; %bb.2168:                             ;   in Loop: Header=BB2_1198 Depth=2
	v_bfe_u32 v96, v10, 21, 1
	v_mov_b32_e32 v97, v35
	s_delay_alu instid0(VALU_DEP_1) | instskip(NEXT) | instid1(VALU_DEP_1)
	v_add_nc_u64_e32 v[96:97], v[10:11], v[96:97]
	v_add_nc_u64_e32 v[96:97], -1, v[96:97]
; %bb.2169:                             ;   in Loop: Header=BB2_1198 Depth=2
	s_or_b32 exec_lo, exec_lo, s42
	v_add_nc_u32_e32 v11, 0xffffff81, v117
	v_lshrrev_b32_e32 v97, 23, v10
	s_mov_b32 s10, exec_lo
	s_delay_alu instid0(VALU_DEP_2) | instskip(NEXT) | instid1(VALU_DEP_1)
	v_cndmask_b32_e64 v11, v11, 0xffffff82, vcc_lo
	v_add3_u32 v97, v119, v11, v97
	v_and_b32_e32 v11, 0x1fffff, v96
                                        ; implicit-def: $vgpr96
	s_delay_alu instid0(VALU_DEP_1) | instskip(SKIP_1) | instid1(VALU_DEP_2)
	v_dual_add_nc_u32 v117, 14, v97 :: v_dual_add_nc_u32 v10, v11, v10
	v_mov_b32_e32 v11, v35
	v_cmpx_ne_u32_e32 0, v117
	s_xor_b32 s10, exec_lo, s10
; %bb.2170:                             ;   in Loop: Header=BB2_1198 Depth=2
	s_delay_alu instid0(VALU_DEP_2) | instskip(SKIP_2) | instid1(VALU_DEP_2)
	v_cmp_lt_u64_e32 vcc_lo, 0xffffff, v[10:11]
	v_add_nc_u32_e32 v96, 15, v97
	v_cndmask_b32_e64 v97, 0, 1, vcc_lo
	v_cndmask_b32_e32 v96, v117, v96, vcc_lo
	s_delay_alu instid0(VALU_DEP_2)
	v_lshrrev_b64 v[10:11], v97, v[10:11]
; %bb.2171:                             ;   in Loop: Header=BB2_1198 Depth=2
	s_and_not1_saveexec_b32 s10, s10
; %bb.2172:                             ;   in Loop: Header=BB2_1198 Depth=2
	s_delay_alu instid0(VALU_DEP_1)
	v_bfe_u32 v96, v10, 23, 1
; %bb.2173:                             ;   in Loop: Header=BB2_1198 Depth=2
	s_or_b32 exec_lo, exec_lo, s10
	s_delay_alu instid0(VALU_DEP_2) | instskip(NEXT) | instid1(VALU_DEP_2)
	v_lshrrev_b64 v[10:11], 21, v[10:11]
	v_cmp_gt_i32_e32 vcc_lo, 32, v96
	v_min_i32_e32 v97, 31, v96
	v_cmp_eq_u32_e64 s10, 0, v96
	s_delay_alu instid0(VALU_DEP_2) | instskip(SKIP_1) | instid1(VALU_DEP_2)
	v_dual_cndmask_b32 v11, 0, v11, vcc_lo :: v_dual_lshlrev_b32 v97, 2, v97
	v_cndmask_b32_e32 v10, 3, v10, vcc_lo
	v_and_b32_e32 v97, 0xfc, v97
	s_delay_alu instid0(VALU_DEP_2) | instskip(NEXT) | instid1(VALU_DEP_2)
	v_cmp_eq_u64_e32 vcc_lo, 0, v[10:11]
	v_and_or_b32 v10, v10, 3, v97
	s_and_b32 s10, s10, vcc_lo
	s_delay_alu instid0(VALU_DEP_1) | instid1(SALU_CYCLE_1)
	v_cndmask_b32_e64 v10, v10, 0, s10
	s_delay_alu instid0(VALU_DEP_1)
	v_or_b32_e32 v96, v10, v114
.LBB2_2174:                             ;   in Loop: Header=BB2_1198 Depth=2
	s_or_b32 exec_lo, exec_lo, s41
                                        ; implicit-def: $vgpr114
.LBB2_2175:                             ;   in Loop: Header=BB2_1198 Depth=2
	s_and_not1_saveexec_b32 s10, s40
; %bb.2176:                             ;   in Loop: Header=BB2_1198 Depth=2
	v_or_b32_e32 v96, 0x7b, v114
; %bb.2177:                             ;   in Loop: Header=BB2_1198 Depth=2
	s_or_b32 exec_lo, exec_lo, s10
                                        ; implicit-def: $vgpr97
                                        ; implicit-def: $vgpr10_vgpr11
                                        ; implicit-def: $vgpr114
.LBB2_2178:                             ;   in Loop: Header=BB2_1198 Depth=2
	s_and_not1_saveexec_b32 s10, s29
	s_cbranch_execz .LBB2_2184
; %bb.2179:                             ;   in Loop: Header=BB2_1198 Depth=2
	s_mov_b32 s29, exec_lo
                                        ; implicit-def: $vgpr96
	v_cmpx_ne_u64_e32 0, v[10:11]
	s_xor_b32 s29, exec_lo, s29
; %bb.2180:                             ;   in Loop: Header=BB2_1198 Depth=2
	v_or_b32_e32 v96, 0x7f, v114
                                        ; implicit-def: $vgpr97
; %bb.2181:                             ;   in Loop: Header=BB2_1198 Depth=2
	s_and_not1_saveexec_b32 s29, s29
; %bb.2182:                             ;   in Loop: Header=BB2_1198 Depth=2
	v_cmp_lt_i32_e32 vcc_lo, -1, v97
	v_cndmask_b32_e32 v96, 0xfc, v63, vcc_lo
; %bb.2183:                             ;   in Loop: Header=BB2_1198 Depth=2
	s_or_b32 exec_lo, exec_lo, s29
.LBB2_2184:                             ;   in Loop: Header=BB2_1198 Depth=2
	s_delay_alu instid0(SALU_CYCLE_1)
	s_or_b32 exec_lo, exec_lo, s10
	v_mov_b32_e32 v11, 0
	s_mov_b32 s10, exec_lo
	v_cmpx_lt_u32_e32 0xffffff, v34
	s_cbranch_execz .LBB2_2194
; %bb.2185:                             ;   in Loop: Header=BB2_1198 Depth=2
	v_lshrrev_b32_e32 v10, 24, v34
	v_bfrev_b32_e32 v11, 1
	s_mov_b32 s29, exec_lo
	s_delay_alu instid0(VALU_DEP_2)
	v_cmpx_ne_u32_e32 0x80, v10
	s_cbranch_execz .LBB2_2193
; %bb.2186:                             ;   in Loop: Header=BB2_1198 Depth=2
	v_and_b32_e32 v11, 0x7c000000, v34
	v_bfe_u32 v97, v34, 24, 2
	s_delay_alu instid0(VALU_DEP_2) | instskip(SKIP_1) | instid1(SALU_CYCLE_1)
	v_cmp_ne_u32_e32 vcc_lo, 0x7c000000, v11
                                        ; implicit-def: $vgpr11
	s_and_saveexec_b32 s40, vcc_lo
	s_xor_b32 s40, exec_lo, s40
	s_cbranch_execz .LBB2_2190
; %bb.2187:                             ;   in Loop: Header=BB2_1198 Depth=2
	v_bfe_u32 v11, v34, 26, 5
	s_mov_b32 s41, exec_lo
	s_delay_alu instid0(VALU_DEP_1)
	v_cmpx_eq_u32_e32 0, v11
; %bb.2188:                             ;   in Loop: Header=BB2_1198 Depth=2
	v_clz_i32_u32_e32 v11, v97
	s_delay_alu instid0(VALU_DEP_1) | instskip(NEXT) | instid1(VALU_DEP_1)
	v_min_u32_e32 v97, 32, v11
	v_subrev_nc_u32_e32 v11, 29, v97
	s_delay_alu instid0(VALU_DEP_1) | instskip(NEXT) | instid1(VALU_DEP_1)
	v_lshlrev_b64_e32 v[10:11], v11, v[10:11]
	v_dual_sub_nc_u32 v11, 30, v97 :: v_dual_bitop2_b32 v97, 3, v10 bitop3:0x40
; %bb.2189:                             ;   in Loop: Header=BB2_1198 Depth=2
	s_or_b32 exec_lo, exec_lo, s41
	v_and_b32_e32 v10, 0x80000000, v34
	s_delay_alu instid0(VALU_DEP_1) | instskip(NEXT) | instid1(VALU_DEP_1)
	v_lshl_add_u32 v10, v11, 23, v10
	v_lshl_or_b32 v10, v97, 21, v10
                                        ; implicit-def: $vgpr97
	s_delay_alu instid0(VALU_DEP_1)
	v_add_nc_u32_e32 v11, 0x38000000, v10
.LBB2_2190:                             ;   in Loop: Header=BB2_1198 Depth=2
	s_and_not1_saveexec_b32 s40, s40
; %bb.2191:                             ;   in Loop: Header=BB2_1198 Depth=2
	v_cmp_lt_i32_e32 vcc_lo, -1, v34
	v_cndmask_b32_e32 v10, 0xff800000, v62, vcc_lo
	v_cmp_eq_u32_e32 vcc_lo, 0, v97
	s_delay_alu instid0(VALU_DEP_2)
	v_cndmask_b32_e32 v11, 0x7f800001, v10, vcc_lo
; %bb.2192:                             ;   in Loop: Header=BB2_1198 Depth=2
	s_or_b32 exec_lo, exec_lo, s40
.LBB2_2193:                             ;   in Loop: Header=BB2_1198 Depth=2
	s_delay_alu instid0(SALU_CYCLE_1)
	s_or_b32 exec_lo, exec_lo, s29
.LBB2_2194:                             ;   in Loop: Header=BB2_1198 Depth=2
	s_delay_alu instid0(SALU_CYCLE_1) | instskip(SKIP_2) | instid1(VALU_DEP_2)
	s_or_b32 exec_lo, exec_lo, s10
	v_bfe_u32 v34, v13, 24, 2
	v_bfe_u32 v117, v13, 26, 5
	v_clz_i32_u32_e32 v10, v34
	s_delay_alu instid0(VALU_DEP_2) | instskip(NEXT) | instid1(VALU_DEP_2)
	v_cmp_eq_u32_e32 vcc_lo, 0, v117
	v_min_u32_e32 v97, 32, v10
	v_lshrrev_b32_e32 v10, 24, v13
	s_delay_alu instid0(VALU_DEP_2) | instskip(SKIP_1) | instid1(VALU_DEP_2)
	v_subrev_nc_u32_e32 v114, 29, v97
	v_sub_nc_u32_e32 v97, 30, v97
	v_lshlrev_b64_e32 v[46:47], v114, v[10:11]
	v_and_b32_e32 v114, 0x80000000, v13
	s_delay_alu instid0(VALU_DEP_3) | instskip(NEXT) | instid1(VALU_DEP_1)
	v_cndmask_b32_e32 v97, v117, v97, vcc_lo
	v_lshl_add_u32 v97, v97, 23, v114
	s_delay_alu instid0(VALU_DEP_4) | instskip(NEXT) | instid1(VALU_DEP_1)
	v_and_b32_e32 v117, 3, v46
	v_cndmask_b32_e32 v114, v34, v117, vcc_lo
	v_cmp_lt_i64_e32 vcc_lo, -1, v[12:13]
	s_delay_alu instid0(VALU_DEP_2) | instskip(SKIP_3) | instid1(VALU_DEP_4)
	v_lshl_or_b32 v97, v114, 21, v97
	v_and_b32_e32 v114, 0x7c000000, v13
	v_cndmask_b32_e32 v117, 0xff800000, v62, vcc_lo
	v_cmp_eq_u32_e32 vcc_lo, 0, v34
	v_add_nc_u32_e32 v97, 0x38000000, v97
	s_delay_alu instid0(VALU_DEP_3) | instskip(SKIP_1) | instid1(VALU_DEP_2)
	v_cndmask_b32_e32 v34, 0x7f800001, v117, vcc_lo
	v_cmp_eq_u32_e32 vcc_lo, 0x7c000000, v114
	v_cndmask_b32_e32 v34, v97, v34, vcc_lo
	v_cmp_ne_u32_e32 vcc_lo, 0x80, v10
	s_delay_alu instid0(VALU_DEP_2) | instskip(SKIP_1) | instid1(VALU_DEP_2)
	v_cndmask_b32_e32 v10, 0x80000000, v34, vcc_lo
	v_cmp_lt_u64_e32 vcc_lo, s[12:13], v[12:13]
	v_dual_mov_b32 v13, v35 :: v_dual_cndmask_b32 v10, 0, v10
	s_delay_alu instid0(VALU_DEP_1) | instskip(NEXT) | instid1(VALU_DEP_1)
	v_add_f32_e32 v11, v10, v11
                                        ; implicit-def: $vgpr10
	v_and_b32_e32 v12, 0x7f800000, v11
	v_and_b32_e32 v34, 0x7fffff, v11
	s_delay_alu instid0(VALU_DEP_2) | instskip(SKIP_2) | instid1(SALU_CYCLE_1)
	v_cmp_ne_u64_e32 vcc_lo, 0x7f800000, v[12:13]
	v_lshrrev_b32_e32 v12, 24, v11
	s_and_saveexec_b32 s10, vcc_lo
	s_xor_b32 s29, exec_lo, s10
	s_cbranch_execz .LBB2_2208
; %bb.2195:                             ;   in Loop: Header=BB2_1198 Depth=2
	v_and_b32_e32 v46, 0x7fffffff, v11
	v_mov_b32_e32 v47, v35
	v_and_b32_e32 v97, 0x80, v12
                                        ; implicit-def: $vgpr10
	s_mov_b32 s10, exec_lo
	s_delay_alu instid0(VALU_DEP_2)
	v_cmpx_gt_u64_e32 0x47600001, v[46:47]
	s_xor_b32 s40, exec_lo, s10
	s_cbranch_execz .LBB2_2205
; %bb.2196:                             ;   in Loop: Header=BB2_1198 Depth=2
	v_mov_b32_e32 v10, 0
	s_mov_b32 s41, exec_lo
	v_cmpx_ne_u32_e32 0, v11
	s_cbranch_execz .LBB2_2204
; %bb.2197:                             ;   in Loop: Header=BB2_1198 Depth=2
	v_bfe_u32 v114, v11, 23, 8
	v_or_b32_e32 v12, 0x800000, v34
	s_delay_alu instid0(VALU_DEP_2) | instskip(SKIP_1) | instid1(VALU_DEP_2)
	v_sub_nc_u32_e32 v10, 0x71, v114
	v_cmp_gt_u32_e32 vcc_lo, 0x72, v114
	v_cndmask_b32_e32 v10, 0, v10, vcc_lo
	v_cmp_eq_u32_e32 vcc_lo, 0, v114
	s_delay_alu instid0(VALU_DEP_2) | instskip(NEXT) | instid1(VALU_DEP_1)
	v_cndmask_b32_e64 v117, v10, 0x70, vcc_lo
	v_dual_cndmask_b32 v34, v12, v34, vcc_lo :: v_dual_add_nc_u32 v10, 21, v117
	v_add_nc_u32_e32 v13, 20, v117
	s_delay_alu instid0(VALU_DEP_2) | instskip(NEXT) | instid1(VALU_DEP_2)
	v_lshlrev_b64_e64 v[10:11], v10, -1
	v_lshlrev_b64_e64 v[12:13], v13, 1
	s_delay_alu instid0(VALU_DEP_2) | instskip(NEXT) | instid1(VALU_DEP_3)
	v_bfi_b32 v47, v11, 0, 0
	v_bfi_b32 v46, v10, 0, v34
	v_lshrrev_b64 v[10:11], v117, v[34:35]
	s_delay_alu instid0(VALU_DEP_2) | instskip(NEXT) | instid1(VALU_DEP_2)
	v_cmp_eq_u64_e64 s10, v[46:47], v[12:13]
	v_mov_b64_e32 v[12:13], v[10:11]
	s_and_saveexec_b32 s42, s10
; %bb.2198:                             ;   in Loop: Header=BB2_1198 Depth=2
	v_bfe_u32 v34, v10, 21, 1
	s_delay_alu instid0(VALU_DEP_1) | instskip(NEXT) | instid1(VALU_DEP_1)
	v_add_nc_u64_e32 v[12:13], v[10:11], v[34:35]
	v_add_nc_u64_e32 v[12:13], -1, v[12:13]
; %bb.2199:                             ;   in Loop: Header=BB2_1198 Depth=2
	s_or_b32 exec_lo, exec_lo, s42
	v_add_nc_u32_e32 v11, 0xffffff81, v114
	v_lshrrev_b32_e32 v13, 23, v10
	s_mov_b32 s10, exec_lo
	s_delay_alu instid0(VALU_DEP_2) | instskip(NEXT) | instid1(VALU_DEP_1)
	v_cndmask_b32_e64 v11, v11, 0xffffff82, vcc_lo
	v_add3_u32 v13, v117, v11, v13
	v_and_b32_e32 v11, 0x1fffff, v12
                                        ; implicit-def: $vgpr12
	s_delay_alu instid0(VALU_DEP_1) | instskip(NEXT) | instid1(VALU_DEP_1)
	v_dual_add_nc_u32 v114, 14, v13 :: v_dual_add_nc_u32 v34, v11, v10
                                        ; implicit-def: $vgpr10_vgpr11
	v_cmpx_ne_u32_e32 0, v114
	s_xor_b32 s10, exec_lo, s10
; %bb.2200:                             ;   in Loop: Header=BB2_1198 Depth=2
	s_delay_alu instid0(VALU_DEP_2) | instskip(SKIP_1) | instid1(VALU_DEP_1)
	v_cmp_lt_u64_e32 vcc_lo, 0xffffff, v[34:35]
	v_add_nc_u32_e32 v10, 15, v13
	v_cndmask_b32_e32 v12, v114, v10, vcc_lo
	v_cndmask_b32_e64 v10, 0, 1, vcc_lo
	s_delay_alu instid0(VALU_DEP_1)
	v_lshrrev_b64 v[10:11], v10, v[34:35]
; %bb.2201:                             ;   in Loop: Header=BB2_1198 Depth=2
	s_and_not1_saveexec_b32 s10, s10
; %bb.2202:                             ;   in Loop: Header=BB2_1198 Depth=2
	v_mov_b64_e32 v[10:11], v[34:35]
	v_bfe_u32 v12, v34, 23, 1
; %bb.2203:                             ;   in Loop: Header=BB2_1198 Depth=2
	s_or_b32 exec_lo, exec_lo, s10
	s_delay_alu instid0(VALU_DEP_2) | instskip(NEXT) | instid1(VALU_DEP_2)
	v_lshrrev_b64 v[10:11], 21, v[10:11]
	v_cmp_gt_i32_e32 vcc_lo, 32, v12
	v_min_i32_e32 v13, 31, v12
	v_cmp_eq_u32_e64 s10, 0, v12
	s_delay_alu instid0(VALU_DEP_2) | instskip(SKIP_1) | instid1(VALU_DEP_2)
	v_dual_cndmask_b32 v11, 0, v11, vcc_lo :: v_dual_lshlrev_b32 v13, 2, v13
	v_cndmask_b32_e32 v10, 3, v10, vcc_lo
	v_and_b32_e32 v13, 0xfc, v13
	s_delay_alu instid0(VALU_DEP_2) | instskip(NEXT) | instid1(VALU_DEP_2)
	v_cmp_eq_u64_e32 vcc_lo, 0, v[10:11]
	v_and_or_b32 v10, v10, 3, v13
	s_and_b32 s10, s10, vcc_lo
	s_delay_alu instid0(VALU_DEP_1) | instid1(SALU_CYCLE_1)
	v_cndmask_b32_e64 v10, v10, 0, s10
	s_delay_alu instid0(VALU_DEP_1)
	v_or_b32_e32 v10, v10, v97
.LBB2_2204:                             ;   in Loop: Header=BB2_1198 Depth=2
	s_or_b32 exec_lo, exec_lo, s41
                                        ; implicit-def: $vgpr97
.LBB2_2205:                             ;   in Loop: Header=BB2_1198 Depth=2
	s_and_not1_saveexec_b32 s10, s40
; %bb.2206:                             ;   in Loop: Header=BB2_1198 Depth=2
	v_or_b32_e32 v10, 0x7b, v97
; %bb.2207:                             ;   in Loop: Header=BB2_1198 Depth=2
	s_or_b32 exec_lo, exec_lo, s10
                                        ; implicit-def: $vgpr11
                                        ; implicit-def: $vgpr12
.LBB2_2208:                             ;   in Loop: Header=BB2_1198 Depth=2
	s_and_not1_saveexec_b32 s10, s29
	s_cbranch_execz .LBB2_1197
; %bb.2209:                             ;   in Loop: Header=BB2_1198 Depth=2
	s_mov_b32 s29, exec_lo
                                        ; implicit-def: $vgpr10
	v_cmpx_ne_u64_e32 0, v[34:35]
	s_xor_b32 s29, exec_lo, s29
; %bb.2210:                             ;   in Loop: Header=BB2_1198 Depth=2
	v_or_b32_e32 v10, 0x7f, v12
                                        ; implicit-def: $vgpr11
; %bb.2211:                             ;   in Loop: Header=BB2_1198 Depth=2
	s_and_not1_saveexec_b32 s29, s29
	s_cbranch_execz .LBB2_1196
; %bb.2212:                             ;   in Loop: Header=BB2_1198 Depth=2
	v_cmp_lt_i32_e32 vcc_lo, -1, v11
	v_cndmask_b32_e32 v10, 0xfc, v63, vcc_lo
	s_branch .LBB2_1196
.LBB2_2213:                             ;   in Loop: Header=BB2_1198 Depth=2
	s_mov_b32 s29, -1
	s_mov_b32 s40, exec_lo
	v_cmpx_eq_u16_e32 0x80, v98
; %bb.2214:                             ;   in Loop: Header=BB2_1198 Depth=2
	s_xor_b32 s29, exec_lo, -1
; %bb.2215:                             ;   in Loop: Header=BB2_1198 Depth=2
	s_or_b32 exec_lo, exec_lo, s40
	s_delay_alu instid0(SALU_CYCLE_1)
	s_and_b32 s29, s29, exec_lo
                                        ; implicit-def: $vgpr98
	s_or_saveexec_b32 s10, s10
	v_bfrev_b32_e32 v97, 1
	s_xor_b32 exec_lo, exec_lo, s10
	s_cbranch_execz .LBB2_1698
.LBB2_2216:                             ;   in Loop: Header=BB2_1198 Depth=2
	v_cmp_ne_u16_e32 vcc_lo, 0, v98
	v_mov_b32_e32 v97, 0
	s_and_not1_b32 s29, s29, exec_lo
	s_and_b32 s40, vcc_lo, exec_lo
	s_delay_alu instid0(SALU_CYCLE_1)
	s_or_b32 s29, s29, s40
	s_or_b32 exec_lo, exec_lo, s10
	s_and_saveexec_b32 s10, s29
	s_cbranch_execnz .LBB2_1699
	s_branch .LBB2_1700
.LBB2_2217:                             ;   in Loop: Header=BB2_1198 Depth=2
	s_mov_b32 s29, -1
	s_mov_b32 s40, exec_lo
	v_cmpx_eq_u16_e32 0x80, v96
; %bb.2218:                             ;   in Loop: Header=BB2_1198 Depth=2
	s_xor_b32 s29, exec_lo, -1
; %bb.2219:                             ;   in Loop: Header=BB2_1198 Depth=2
	s_or_b32 exec_lo, exec_lo, s40
	s_delay_alu instid0(SALU_CYCLE_1)
	s_and_b32 s29, s29, exec_lo
	s_or_saveexec_b32 s10, s10
	v_bfrev_b32_e32 v30, 1
	s_xor_b32 exec_lo, exec_lo, s10
	s_cbranch_execz .LBB2_1732
.LBB2_2220:                             ;   in Loop: Header=BB2_1198 Depth=2
	v_cmp_ne_u16_e32 vcc_lo, 0, v96
	v_mov_b32_e32 v30, 0
	s_and_not1_b32 s29, s29, exec_lo
	s_and_b32 s40, vcc_lo, exec_lo
	s_delay_alu instid0(SALU_CYCLE_1)
	s_or_b32 s29, s29, s40
	s_or_b32 exec_lo, exec_lo, s10
	s_and_saveexec_b32 s10, s29
	s_cbranch_execnz .LBB2_1733
	s_branch .LBB2_1734
.LBB2_2221:                             ;   in Loop: Header=BB2_1198 Depth=2
	s_mov_b32 s29, -1
	s_mov_b32 s40, exec_lo
	v_cmpx_eq_u16_e32 0x80, v98
; %bb.2222:                             ;   in Loop: Header=BB2_1198 Depth=2
	s_xor_b32 s29, exec_lo, -1
; %bb.2223:                             ;   in Loop: Header=BB2_1198 Depth=2
	s_or_b32 exec_lo, exec_lo, s40
	s_delay_alu instid0(SALU_CYCLE_1)
	s_and_b32 s29, s29, exec_lo
                                        ; implicit-def: $vgpr98
	s_or_saveexec_b32 s10, s10
	v_bfrev_b32_e32 v97, 1
	s_xor_b32 exec_lo, exec_lo, s10
	s_cbranch_execz .LBB2_1766
.LBB2_2224:                             ;   in Loop: Header=BB2_1198 Depth=2
	v_cmp_ne_u16_e32 vcc_lo, 0, v98
	v_mov_b32_e32 v97, 0
	s_and_not1_b32 s29, s29, exec_lo
	s_and_b32 s40, vcc_lo, exec_lo
	s_delay_alu instid0(SALU_CYCLE_1)
	s_or_b32 s29, s29, s40
	s_or_b32 exec_lo, exec_lo, s10
	s_and_saveexec_b32 s10, s29
	s_cbranch_execnz .LBB2_1767
	s_branch .LBB2_1768
.LBB2_2225:                             ;   in Loop: Header=BB2_1198 Depth=2
	s_mov_b32 s29, -1
	s_mov_b32 s40, exec_lo
	v_cmpx_eq_u16_e32 0x80, v97
; %bb.2226:                             ;   in Loop: Header=BB2_1198 Depth=2
	s_xor_b32 s29, exec_lo, -1
; %bb.2227:                             ;   in Loop: Header=BB2_1198 Depth=2
	s_or_b32 exec_lo, exec_lo, s40
	s_delay_alu instid0(SALU_CYCLE_1)
	s_and_b32 s29, s29, exec_lo
                                        ; implicit-def: $vgpr97
	s_or_saveexec_b32 s10, s10
	v_bfrev_b32_e32 v99, 1
	s_xor_b32 exec_lo, exec_lo, s10
	s_cbranch_execz .LBB2_1830
.LBB2_2228:                             ;   in Loop: Header=BB2_1198 Depth=2
	v_cmp_ne_u16_e32 vcc_lo, 0, v97
	v_mov_b32_e32 v99, 0
	s_and_not1_b32 s29, s29, exec_lo
	s_and_b32 s40, vcc_lo, exec_lo
	s_delay_alu instid0(SALU_CYCLE_1)
	s_or_b32 s29, s29, s40
	s_or_b32 exec_lo, exec_lo, s10
	v_mov_b32_e32 v97, v35
	s_and_saveexec_b32 s10, s29
	s_cbranch_execnz .LBB2_1831
	s_branch .LBB2_1832
.LBB2_2229:                             ;   in Loop: Header=BB2_1198 Depth=2
	s_mov_b32 s29, -1
	s_mov_b32 s40, exec_lo
	v_cmpx_eq_u16_e32 0x80, v98
; %bb.2230:                             ;   in Loop: Header=BB2_1198 Depth=2
	s_xor_b32 s29, exec_lo, -1
; %bb.2231:                             ;   in Loop: Header=BB2_1198 Depth=2
	s_or_b32 exec_lo, exec_lo, s40
	s_delay_alu instid0(SALU_CYCLE_1)
	s_and_b32 s29, s29, exec_lo
	s_or_saveexec_b32 s10, s10
	v_bfrev_b32_e32 v30, 1
	s_xor_b32 exec_lo, exec_lo, s10
	s_cbranch_execz .LBB2_1864
.LBB2_2232:                             ;   in Loop: Header=BB2_1198 Depth=2
	v_cmp_ne_u16_e32 vcc_lo, 0, v98
	v_mov_b32_e32 v30, 0
	s_and_not1_b32 s29, s29, exec_lo
	s_and_b32 s40, vcc_lo, exec_lo
	s_delay_alu instid0(SALU_CYCLE_1)
	s_or_b32 s29, s29, s40
	s_or_b32 exec_lo, exec_lo, s10
	s_and_saveexec_b32 s10, s29
	s_cbranch_execnz .LBB2_1865
	s_branch .LBB2_1866
.LBB2_2233:                             ;   in Loop: Header=BB2_1198 Depth=2
	s_mov_b32 s29, -1
	s_mov_b32 s40, exec_lo
	v_cmpx_eq_u16_e32 0x80, v98
; %bb.2234:                             ;   in Loop: Header=BB2_1198 Depth=2
	s_xor_b32 s29, exec_lo, -1
; %bb.2235:                             ;   in Loop: Header=BB2_1198 Depth=2
	s_or_b32 exec_lo, exec_lo, s40
	s_delay_alu instid0(SALU_CYCLE_1)
	s_and_b32 s29, s29, exec_lo
                                        ; implicit-def: $vgpr98
	s_or_saveexec_b32 s10, s10
	v_bfrev_b32_e32 v97, 1
	s_xor_b32 exec_lo, exec_lo, s10
	s_cbranch_execz .LBB2_1898
.LBB2_2236:                             ;   in Loop: Header=BB2_1198 Depth=2
	v_cmp_ne_u16_e32 vcc_lo, 0, v98
	v_mov_b32_e32 v97, 0
	s_and_not1_b32 s29, s29, exec_lo
	s_and_b32 s40, vcc_lo, exec_lo
	s_delay_alu instid0(SALU_CYCLE_1)
	s_or_b32 s29, s29, s40
	s_or_b32 exec_lo, exec_lo, s10
	s_and_saveexec_b32 s10, s29
	s_cbranch_execnz .LBB2_1899
	s_branch .LBB2_1900
.LBB2_2237:                             ;   in Loop: Header=BB2_1198 Depth=2
	s_mov_b32 s29, -1
	s_mov_b32 s40, exec_lo
	v_cmpx_eq_u16_e32 0x80, v96
; %bb.2238:                             ;   in Loop: Header=BB2_1198 Depth=2
	s_xor_b32 s29, exec_lo, -1
; %bb.2239:                             ;   in Loop: Header=BB2_1198 Depth=2
	s_or_b32 exec_lo, exec_lo, s40
	s_delay_alu instid0(SALU_CYCLE_1)
	s_and_b32 s29, s29, exec_lo
                                        ; implicit-def: $vgpr96
	s_or_saveexec_b32 s10, s10
	v_bfrev_b32_e32 v11, 1
	s_xor_b32 exec_lo, exec_lo, s10
	s_cbranch_execz .LBB2_1962
.LBB2_2240:                             ;   in Loop: Header=BB2_1198 Depth=2
	v_cmp_ne_u16_e32 vcc_lo, 0, v96
	v_mov_b32_e32 v11, 0
	s_and_not1_b32 s29, s29, exec_lo
	s_and_b32 s40, vcc_lo, exec_lo
	s_delay_alu instid0(SALU_CYCLE_1)
	s_or_b32 s29, s29, s40
	s_or_b32 exec_lo, exec_lo, s10
	s_and_saveexec_b32 s10, s29
	s_cbranch_execnz .LBB2_1963
	s_branch .LBB2_1964
.LBB2_2241:                             ;   in Loop: Header=BB2_1198 Depth=2
	s_mov_b32 s29, -1
	s_mov_b32 s40, exec_lo
	v_cmpx_eq_u16_e32 0x80, v10
; %bb.2242:                             ;   in Loop: Header=BB2_1198 Depth=2
	s_xor_b32 s29, exec_lo, -1
; %bb.2243:                             ;   in Loop: Header=BB2_1198 Depth=2
	s_or_b32 exec_lo, exec_lo, s40
	s_delay_alu instid0(SALU_CYCLE_1)
	s_and_b32 s29, s29, exec_lo
	s_or_saveexec_b32 s10, s10
	v_bfrev_b32_e32 v11, 1
	s_xor_b32 exec_lo, exec_lo, s10
	s_cbranch_execz .LBB2_1996
.LBB2_2244:                             ;   in Loop: Header=BB2_1198 Depth=2
	v_cmp_ne_u16_e32 vcc_lo, 0, v10
	v_mov_b32_e32 v11, 0
	s_and_not1_b32 s29, s29, exec_lo
	s_and_b32 s40, vcc_lo, exec_lo
	s_delay_alu instid0(SALU_CYCLE_1)
	s_or_b32 s29, s29, s40
	s_or_b32 exec_lo, exec_lo, s10
	s_and_saveexec_b32 s10, s29
	s_cbranch_execnz .LBB2_1997
	s_branch .LBB2_1998
.LBB2_2245:                             ;   in Loop: Header=BB2_1198 Depth=2
	s_mov_b32 s29, -1
	s_mov_b32 s40, exec_lo
	v_cmpx_eq_u16_e32 0x80, v97
; %bb.2246:                             ;   in Loop: Header=BB2_1198 Depth=2
	s_xor_b32 s29, exec_lo, -1
; %bb.2247:                             ;   in Loop: Header=BB2_1198 Depth=2
	s_or_b32 exec_lo, exec_lo, s40
	s_delay_alu instid0(SALU_CYCLE_1)
	s_and_b32 s29, s29, exec_lo
                                        ; implicit-def: $vgpr97
	s_or_saveexec_b32 s10, s10
	v_bfrev_b32_e32 v96, 1
	s_xor_b32 exec_lo, exec_lo, s10
	s_cbranch_execz .LBB2_2030
.LBB2_2248:                             ;   in Loop: Header=BB2_1198 Depth=2
	v_cmp_ne_u16_e32 vcc_lo, 0, v97
	v_mov_b32_e32 v96, 0
	s_and_not1_b32 s29, s29, exec_lo
	s_and_b32 s40, vcc_lo, exec_lo
	s_delay_alu instid0(SALU_CYCLE_1)
	s_or_b32 s29, s29, s40
	s_or_b32 exec_lo, exec_lo, s10
	s_and_saveexec_b32 s10, s29
	s_cbranch_execnz .LBB2_2031
	s_branch .LBB2_2032
.LBB2_2249:                             ;   in Loop: Header=BB2_1198 Depth=2
	s_mov_b32 s29, -1
	s_mov_b32 s40, exec_lo
	v_cmpx_eq_u16_e32 0x80, v11
; %bb.2250:                             ;   in Loop: Header=BB2_1198 Depth=2
	s_xor_b32 s29, exec_lo, -1
; %bb.2251:                             ;   in Loop: Header=BB2_1198 Depth=2
	s_or_b32 exec_lo, exec_lo, s40
	s_delay_alu instid0(SALU_CYCLE_1)
	s_and_b32 s29, s29, exec_lo
                                        ; implicit-def: $vgpr11
	s_or_saveexec_b32 s10, s10
	v_bfrev_b32_e32 v97, 1
	s_xor_b32 exec_lo, exec_lo, s10
	s_cbranch_execz .LBB2_2094
.LBB2_2252:                             ;   in Loop: Header=BB2_1198 Depth=2
	v_cmp_ne_u16_e32 vcc_lo, 0, v11
	v_mov_b32_e32 v97, 0
	s_and_not1_b32 s29, s29, exec_lo
	s_and_b32 s40, vcc_lo, exec_lo
	s_delay_alu instid0(SALU_CYCLE_1)
	s_or_b32 s29, s29, s40
	s_or_b32 exec_lo, exec_lo, s10
	v_mov_b32_e32 v11, v35
	s_and_saveexec_b32 s10, s29
	s_cbranch_execnz .LBB2_2095
	s_branch .LBB2_2096
.LBB2_2253:                             ;   in Loop: Header=BB2_1198 Depth=2
	s_mov_b32 s29, -1
	s_mov_b32 s40, exec_lo
	v_cmpx_eq_u16_e32 0x80, v96
; %bb.2254:                             ;   in Loop: Header=BB2_1198 Depth=2
	s_xor_b32 s29, exec_lo, -1
; %bb.2255:                             ;   in Loop: Header=BB2_1198 Depth=2
	s_or_b32 exec_lo, exec_lo, s40
	s_delay_alu instid0(SALU_CYCLE_1)
	s_and_b32 s29, s29, exec_lo
	s_or_saveexec_b32 s10, s10
	v_bfrev_b32_e32 v97, 1
	s_xor_b32 exec_lo, exec_lo, s10
	s_cbranch_execz .LBB2_2128
.LBB2_2256:                             ;   in Loop: Header=BB2_1198 Depth=2
	v_cmp_ne_u16_e32 vcc_lo, 0, v96
	v_mov_b32_e32 v97, 0
	s_and_not1_b32 s29, s29, exec_lo
	s_and_b32 s40, vcc_lo, exec_lo
	s_delay_alu instid0(SALU_CYCLE_1)
	s_or_b32 s29, s29, s40
	s_or_b32 exec_lo, exec_lo, s10
	s_and_saveexec_b32 s10, s29
	s_cbranch_execnz .LBB2_2129
	s_branch .LBB2_2130
.LBB2_2257:                             ;   in Loop: Header=BB2_1198 Depth=2
	s_mov_b32 s29, -1
	s_mov_b32 s40, exec_lo
	v_cmpx_eq_u16_e32 0x80, v97
; %bb.2258:                             ;   in Loop: Header=BB2_1198 Depth=2
	s_xor_b32 s29, exec_lo, -1
; %bb.2259:                             ;   in Loop: Header=BB2_1198 Depth=2
	s_or_b32 exec_lo, exec_lo, s40
	s_delay_alu instid0(SALU_CYCLE_1)
	s_and_b32 s29, s29, exec_lo
                                        ; implicit-def: $vgpr97
	s_or_saveexec_b32 s10, s10
	v_bfrev_b32_e32 v96, 1
	s_xor_b32 exec_lo, exec_lo, s10
	s_cbranch_execz .LBB2_2162
.LBB2_2260:                             ;   in Loop: Header=BB2_1198 Depth=2
	v_cmp_ne_u16_e32 vcc_lo, 0, v97
	v_mov_b32_e32 v96, 0
	s_and_not1_b32 s29, s29, exec_lo
	s_and_b32 s40, vcc_lo, exec_lo
	s_delay_alu instid0(SALU_CYCLE_1)
	s_or_b32 s29, s29, s40
	s_or_b32 exec_lo, exec_lo, s10
	s_and_saveexec_b32 s10, s29
	s_cbranch_execnz .LBB2_2163
	s_branch .LBB2_2164
.LBB2_2261:                             ;   in Loop: Header=BB2_49 Depth=1
	s_or_b32 exec_lo, exec_lo, s26
.LBB2_2262:                             ;   in Loop: Header=BB2_49 Depth=1
	s_delay_alu instid0(SALU_CYCLE_1) | instskip(SKIP_3) | instid1(VALU_DEP_1)
	s_or_b32 exec_lo, exec_lo, s25
	v_cmp_lt_i32_e32 vcc_lo, 0, v103
	s_mov_b32 s26, exec_lo
	v_cndmask_b32_e32 v10, 0, v36, vcc_lo
	v_sub_nc_u32_e32 v10, v10, v103
	s_delay_alu instid0(VALU_DEP_1)
	v_lshl_add_u32 v30, v10, 5, v102
.LBB2_2263:                             ;   in Loop: Header=BB2_49 Depth=1
	s_or_b32 exec_lo, exec_lo, s11
	s_and_saveexec_b32 s25, s26
	s_cbranch_execz .LBB2_2990
.LBB2_2264:                             ;   in Loop: Header=BB2_49 Depth=1
	s_delay_alu instid0(VALU_DEP_1) | instskip(SKIP_1) | instid1(VALU_DEP_1)
	v_dual_ashrrev_i32 v10, 31, v30 :: v_dual_lshrrev_b32 v11, 8, v72
	s_mov_b32 s26, exec_lo
	v_lshrrev_b32_e32 v10, 27, v10
	s_delay_alu instid0(VALU_DEP_1) | instskip(NEXT) | instid1(VALU_DEP_1)
	v_add_nc_u32_e32 v10, v30, v10
	v_ashrrev_i32_e32 v73, 5, v10
	s_delay_alu instid0(VALU_DEP_1) | instskip(NEXT) | instid1(VALU_DEP_1)
	v_sub_nc_u32_e32 v74, v11, v73
	v_cmpx_lt_i32_e32 0, v74
	s_cbranch_execz .LBB2_2900
; %bb.2265:                             ;   in Loop: Header=BB2_49 Depth=1
	v_and_b32_e32 v10, 0xffffffe0, v10
	s_trap 2
	ds_load_b64 v[12:13], v0
	v_lshlrev_b32_e32 v11, 8, v73
	v_add_nc_u64_e32 v[80:81], 0xe0, v[80:81]
	v_sub_nc_u32_e32 v10, v30, v10
	s_mov_b32 s27, 0
	s_delay_alu instid0(VALU_DEP_1) | instskip(NEXT) | instid1(VALU_DEP_1)
	v_add3_u32 v82, v69, v10, v11
	v_ashrrev_i32_e32 v83, 31, v82
	s_delay_alu instid0(VALU_DEP_1)
	v_add_nc_u64_e32 v[10:11], v[82:83], v[70:71]
	v_add_nc_u64_e32 v[70:71], v[80:81], v[82:83]
	s_wait_dscnt 0x0
	v_add_nc_u64_e32 v[12:13], v[12:13], v[82:83]
	s_branch .LBB2_2268
.LBB2_2266:                             ;   in Loop: Header=BB2_2268 Depth=2
	s_or_b32 exec_lo, exec_lo, s11
.LBB2_2267:                             ;   in Loop: Header=BB2_2268 Depth=2
	s_delay_alu instid0(SALU_CYCLE_1)
	s_or_b32 exec_lo, exec_lo, s10
	v_sub_nc_u32_e32 v74, v74, v36
	s_clause 0x7
	flat_store_b8 v[70:71], v46 offset:-224 th:TH_STORE_NT
	flat_store_b8 v[70:71], v114 offset:-192 th:TH_STORE_NT
	flat_store_b8 v[70:71], v112 offset:-160 th:TH_STORE_NT
	flat_store_b8 v[70:71], v102 offset:-128 th:TH_STORE_NT
	flat_store_b8 v[70:71], v98 offset:-96 th:TH_STORE_NT
	flat_store_b8 v[70:71], v96 offset:-64 th:TH_STORE_NT
	flat_store_b8 v[70:71], v85 offset:-32 th:TH_STORE_NT
	flat_store_b8 v[70:71], v81 th:TH_STORE_NT
	v_add_nc_u64_e32 v[10:11], v[10:11], v[50:51]
	v_add_nc_u64_e32 v[12:13], v[12:13], v[50:51]
	s_wait_xcnt 0x0
	v_add_nc_u64_e32 v[70:71], v[70:71], v[50:51]
	v_cmp_gt_i32_e32 vcc_lo, 1, v74
	s_or_b32 s27, vcc_lo, s27
	s_delay_alu instid0(SALU_CYCLE_1)
	s_and_not1_b32 exec_lo, exec_lo, s27
	s_cbranch_execz .LBB2_2899
.LBB2_2268:                             ;   Parent Loop BB2_49 Depth=1
                                        ; =>  This Inner Loop Header: Depth=2
	s_trap 2
	ds_load_b64 v[80:81], v0
	s_mov_b32 s28, 0
	s_wait_dscnt 0x0
	v_and_b32_e32 v34, 0xff, v80
	v_readfirstlane_b32 s10, v80
	v_readfirstlane_b32 s11, v81
	s_delay_alu instid0(VALU_DEP_3)
	v_cmp_eq_u32_e32 vcc_lo, 0, v34
	s_cbranch_vccnz .LBB2_2276
; %bb.2269:                             ;   in Loop: Header=BB2_2268 Depth=2
	s_bfe_i32 s40, s10, 0x80000
	s_delay_alu instid0(SALU_CYCLE_1) | instskip(NEXT) | instid1(SALU_CYCLE_1)
	s_and_b32 s28, 0xffff, s40
	s_cmp_eq_u32 s28, 0xff80
	s_brev_b32 s28, 1
	s_cbranch_scc1 .LBB2_2276
; %bb.2270:                             ;   in Loop: Header=BB2_2268 Depth=2
	s_and_b32 s28, s10, 0x7c
	s_and_b32 s29, s10, 3
	s_mov_b32 s41, -1
	s_cmp_lg_u32 s28, 0x7c
	s_sext_i32_i16 s40, s40
                                        ; implicit-def: $sgpr28
	s_cbranch_scc0 .LBB2_2274
; %bb.2271:                             ;   in Loop: Header=BB2_2268 Depth=2
	s_bfe_u32 s28, s10, 0x50002
	s_mov_b32 s41, s29
	s_cmp_lg_u32 s28, 0
	s_cbranch_scc1 .LBB2_2273
; %bb.2272:                             ;   in Loop: Header=BB2_2268 Depth=2
	s_clz_i32_u32 s28, s29
	s_delay_alu instid0(SALU_CYCLE_1) | instskip(NEXT) | instid1(SALU_CYCLE_1)
	s_min_u32 s28, s28, 32
	s_sub_co_i32 s41, s28, 29
	s_sub_co_i32 s28, 30, s28
	s_lshl_b64 s[10:11], s[10:11], s41
	s_delay_alu instid0(SALU_CYCLE_1)
	s_and_b32 s41, s10, 3
.LBB2_2273:                             ;   in Loop: Header=BB2_2268 Depth=2
	s_and_b32 s10, s40, 0x80000000
	s_lshl_b32 s11, s28, 23
	s_lshl_b32 s28, s41, 21
	s_add_co_i32 s11, s11, s10
	s_mov_b32 s41, 0
	s_or_b32 s10, s11, s28
	s_delay_alu instid0(SALU_CYCLE_1)
	s_add_co_i32 s28, s10, 0x38000000
.LBB2_2274:                             ;   in Loop: Header=BB2_2268 Depth=2
	s_and_b32 vcc_lo, exec_lo, s41
	s_cbranch_vccz .LBB2_2276
; %bb.2275:                             ;   in Loop: Header=BB2_2268 Depth=2
	s_cmp_gt_i32 s40, -1
	s_cselect_b32 s10, s22, 0xff800000
	s_cmp_eq_u32 s29, 0
	s_cselect_b32 s28, s10, 0x7f800001
.LBB2_2276:                             ;   in Loop: Header=BB2_2268 Depth=2
	flat_load_i8 v34, v[10:11] th:TH_LOAD_NT
	v_mov_b32_e32 v81, 0
	s_mov_b32 s10, exec_lo
	s_wait_loadcnt_dscnt 0x0
	v_cmpx_ne_u16_e32 0, v34
	s_cbranch_execz .LBB2_2286
; %bb.2277:                             ;   in Loop: Header=BB2_2268 Depth=2
	v_bfrev_b32_e32 v81, 1
	s_mov_b32 s11, exec_lo
	v_cmpx_ne_u16_e32 0xff80, v34
	s_cbranch_execz .LBB2_2285
; %bb.2278:                             ;   in Loop: Header=BB2_2268 Depth=2
	v_and_b32_e32 v81, 0x7c, v34
	v_and_b32_e32 v80, 3, v34
	s_delay_alu instid0(VALU_DEP_2) | instskip(SKIP_1) | instid1(SALU_CYCLE_1)
	v_cmp_ne_u32_e32 vcc_lo, 0x7c, v81
                                        ; implicit-def: $vgpr81
	s_and_saveexec_b32 s29, vcc_lo
	s_xor_b32 s29, exec_lo, s29
	s_cbranch_execz .LBB2_2282
; %bb.2279:                             ;   in Loop: Header=BB2_2268 Depth=2
	v_and_b32_e32 v81, 0xff, v34
	s_mov_b32 s40, exec_lo
	s_delay_alu instid0(VALU_DEP_1) | instskip(NEXT) | instid1(VALU_DEP_1)
	v_bfe_u32 v81, v81, 2, 5
	v_cmpx_eq_u32_e32 0, v81
; %bb.2280:                             ;   in Loop: Header=BB2_2268 Depth=2
	v_clz_i32_u32_e32 v80, v80
	s_delay_alu instid0(VALU_DEP_1) | instskip(NEXT) | instid1(VALU_DEP_1)
	v_min_u32_e32 v82, 32, v80
	v_subrev_nc_u32_e32 v80, 29, v82
	s_delay_alu instid0(VALU_DEP_1) | instskip(NEXT) | instid1(VALU_DEP_1)
	v_lshlrev_b64_e32 v[80:81], v80, v[34:35]
	v_dual_sub_nc_u32 v81, 30, v82 :: v_dual_bitop2_b32 v80, 3, v80 bitop3:0x40
; %bb.2281:                             ;   in Loop: Header=BB2_2268 Depth=2
	s_or_b32 exec_lo, exec_lo, s40
	v_bfe_i32 v34, v34, 0, 16
	s_delay_alu instid0(VALU_DEP_1) | instskip(NEXT) | instid1(VALU_DEP_1)
	v_and_b32_e32 v34, 0x80000000, v34
	v_lshl_add_u32 v34, v81, 23, v34
	s_delay_alu instid0(VALU_DEP_1) | instskip(NEXT) | instid1(VALU_DEP_1)
	v_lshl_or_b32 v34, v80, 21, v34
                                        ; implicit-def: $vgpr80
	v_add_nc_u32_e32 v81, 0x38000000, v34
.LBB2_2282:                             ;   in Loop: Header=BB2_2268 Depth=2
	s_and_not1_saveexec_b32 s29, s29
; %bb.2283:                             ;   in Loop: Header=BB2_2268 Depth=2
	v_cmp_lt_i16_e32 vcc_lo, -1, v34
	v_cndmask_b32_e32 v34, 0xff800000, v62, vcc_lo
	v_cmp_eq_u32_e32 vcc_lo, 0, v80
	s_delay_alu instid0(VALU_DEP_2)
	v_cndmask_b32_e32 v81, 0x7f800001, v34, vcc_lo
; %bb.2284:                             ;   in Loop: Header=BB2_2268 Depth=2
	s_or_b32 exec_lo, exec_lo, s29
.LBB2_2285:                             ;   in Loop: Header=BB2_2268 Depth=2
	s_delay_alu instid0(SALU_CYCLE_1)
	s_or_b32 exec_lo, exec_lo, s11
.LBB2_2286:                             ;   in Loop: Header=BB2_2268 Depth=2
	s_delay_alu instid0(SALU_CYCLE_1) | instskip(NEXT) | instid1(VALU_DEP_1)
	s_or_b32 exec_lo, exec_lo, s10
	v_dual_mul_f32 v80, s28, v81 :: v_dual_mov_b32 v83, v35
                                        ; implicit-def: $vgpr114
	s_mov_b32 s10, exec_lo
	s_delay_alu instid0(VALU_DEP_1) | instskip(SKIP_1) | instid1(VALU_DEP_2)
	v_and_b32_e32 v82, 0x7f800000, v80
	v_and_b32_e32 v34, 0x7fffff, v80
	v_cmpx_ne_u64_e32 0x7f800000, v[82:83]
	s_xor_b32 s11, exec_lo, s10
	s_cbranch_execz .LBB2_2304
; %bb.2287:                             ;   in Loop: Header=BB2_2268 Depth=2
	v_dual_mov_b32 v83, v35 :: v_dual_lshrrev_b32 v81, 24, v80
	v_and_b32_e32 v82, 0x7fffffff, v80
                                        ; implicit-def: $vgpr114
	s_mov_b32 s10, exec_lo
	s_delay_alu instid0(VALU_DEP_2) | instskip(NEXT) | instid1(VALU_DEP_2)
	v_and_b32_e32 v84, 0x80, v81
	v_cmpx_gt_u64_e32 0x47600001, v[82:83]
	s_xor_b32 s29, exec_lo, s10
	s_cbranch_execz .LBB2_2301
; %bb.2288:                             ;   in Loop: Header=BB2_2268 Depth=2
	v_mov_b32_e32 v114, 0
	s_mov_b32 s40, exec_lo
	v_cmpx_ne_u32_e32 0, v80
	s_cbranch_execz .LBB2_2300
; %bb.2289:                             ;   in Loop: Header=BB2_2268 Depth=2
	v_bfe_u32 v85, v80, 23, 8
	v_or_b32_e32 v82, 0x800000, v34
	s_delay_alu instid0(VALU_DEP_2) | instskip(SKIP_1) | instid1(VALU_DEP_2)
	v_sub_nc_u32_e32 v80, 0x71, v85
	v_cmp_gt_u32_e32 vcc_lo, 0x72, v85
	v_cndmask_b32_e32 v80, 0, v80, vcc_lo
	v_cmp_eq_u32_e32 vcc_lo, 0, v85
	s_delay_alu instid0(VALU_DEP_2) | instskip(SKIP_1) | instid1(VALU_DEP_2)
	v_cndmask_b32_e64 v86, v80, 0x70, vcc_lo
	v_cndmask_b32_e32 v34, v82, v34, vcc_lo
	v_dual_add_nc_u32 v80, 21, v86 :: v_dual_add_nc_u32 v83, 20, v86
	s_delay_alu instid0(VALU_DEP_1) | instskip(NEXT) | instid1(VALU_DEP_2)
	v_lshlrev_b64_e64 v[80:81], v80, -1
	v_lshlrev_b64_e64 v[82:83], v83, 1
	s_delay_alu instid0(VALU_DEP_2) | instskip(NEXT) | instid1(VALU_DEP_3)
	v_bfi_b32 v97, v81, 0, 0
	v_bfi_b32 v96, v80, 0, v34
	v_lshrrev_b64 v[80:81], v86, v[34:35]
	s_delay_alu instid0(VALU_DEP_2) | instskip(NEXT) | instid1(VALU_DEP_2)
	v_cmp_eq_u64_e64 s10, v[96:97], v[82:83]
	v_mov_b64_e32 v[82:83], v[80:81]
	s_and_saveexec_b32 s41, s10
; %bb.2290:                             ;   in Loop: Header=BB2_2268 Depth=2
	v_bfe_u32 v34, v80, 21, 1
	s_delay_alu instid0(VALU_DEP_1) | instskip(NEXT) | instid1(VALU_DEP_1)
	v_add_nc_u64_e32 v[82:83], v[80:81], v[34:35]
	v_add_nc_u64_e32 v[82:83], -1, v[82:83]
; %bb.2291:                             ;   in Loop: Header=BB2_2268 Depth=2
	s_or_b32 exec_lo, exec_lo, s41
	v_add_nc_u32_e32 v34, 0xffffff81, v85
	v_lshrrev_b32_e32 v81, 23, v80
	s_mov_b32 s10, exec_lo
	s_delay_alu instid0(VALU_DEP_2) | instskip(NEXT) | instid1(VALU_DEP_1)
	v_cndmask_b32_e64 v34, v34, 0xffffff82, vcc_lo
	v_add3_u32 v83, v86, v34, v81
	v_and_b32_e32 v34, 0x1fffff, v82
                                        ; implicit-def: $vgpr82
	s_delay_alu instid0(VALU_DEP_1) | instskip(NEXT) | instid1(VALU_DEP_1)
	v_dual_add_nc_u32 v85, 14, v83 :: v_dual_add_nc_u32 v34, v34, v80
                                        ; implicit-def: $vgpr80_vgpr81
	v_cmpx_ne_u32_e32 0, v85
	s_xor_b32 s10, exec_lo, s10
; %bb.2292:                             ;   in Loop: Header=BB2_2268 Depth=2
	s_delay_alu instid0(VALU_DEP_2) | instskip(SKIP_1) | instid1(VALU_DEP_1)
	v_cmp_lt_u64_e32 vcc_lo, 0xffffff, v[34:35]
	v_add_nc_u32_e32 v80, 15, v83
	v_cndmask_b32_e32 v82, v85, v80, vcc_lo
	v_cndmask_b32_e64 v80, 0, 1, vcc_lo
	s_delay_alu instid0(VALU_DEP_1)
	v_lshrrev_b64 v[80:81], v80, v[34:35]
; %bb.2293:                             ;   in Loop: Header=BB2_2268 Depth=2
	s_and_not1_saveexec_b32 s10, s10
; %bb.2294:                             ;   in Loop: Header=BB2_2268 Depth=2
	v_mov_b64_e32 v[80:81], v[34:35]
	v_bfe_u32 v82, v34, 23, 1
; %bb.2295:                             ;   in Loop: Header=BB2_2268 Depth=2
	s_or_b32 exec_lo, exec_lo, s10
	s_delay_alu instid0(VALU_DEP_2) | instskip(NEXT) | instid1(VALU_DEP_2)
	v_lshrrev_b64 v[80:81], 21, v[80:81]
	v_cmp_gt_i32_e32 vcc_lo, 32, v82
	v_cmp_ne_u32_e64 s10, 0, v82
                                        ; implicit-def: $vgpr114
	s_delay_alu instid0(VALU_DEP_3) | instskip(NEXT) | instid1(VALU_DEP_1)
	v_dual_cndmask_b32 v81, 0, v81 :: v_dual_cndmask_b32 v80, 3, v80
	v_cmp_ne_u64_e32 vcc_lo, 0, v[80:81]
	s_or_b32 s10, s10, vcc_lo
	s_delay_alu instid0(SALU_CYCLE_1) | instskip(NEXT) | instid1(SALU_CYCLE_1)
	s_and_saveexec_b32 s41, s10
	s_xor_b32 s10, exec_lo, s41
; %bb.2296:                             ;   in Loop: Header=BB2_2268 Depth=2
	v_min_i32_e32 v34, 31, v82
	s_delay_alu instid0(VALU_DEP_1) | instskip(NEXT) | instid1(VALU_DEP_1)
	v_lshl_or_b32 v34, v34, 2, v84
                                        ; implicit-def: $vgpr84
	v_and_or_b32 v114, v80, 3, v34
; %bb.2297:                             ;   in Loop: Header=BB2_2268 Depth=2
	s_and_not1_saveexec_b32 s10, s10
; %bb.2298:                             ;   in Loop: Header=BB2_2268 Depth=2
	v_mov_b32_e32 v114, v84
; %bb.2299:                             ;   in Loop: Header=BB2_2268 Depth=2
	s_or_b32 exec_lo, exec_lo, s10
.LBB2_2300:                             ;   in Loop: Header=BB2_2268 Depth=2
	s_delay_alu instid0(SALU_CYCLE_1)
	s_or_b32 exec_lo, exec_lo, s40
                                        ; implicit-def: $vgpr84
.LBB2_2301:                             ;   in Loop: Header=BB2_2268 Depth=2
	s_and_not1_saveexec_b32 s10, s29
; %bb.2302:                             ;   in Loop: Header=BB2_2268 Depth=2
	v_or_b32_e32 v114, 0x7b, v84
; %bb.2303:                             ;   in Loop: Header=BB2_2268 Depth=2
	s_or_b32 exec_lo, exec_lo, s10
                                        ; implicit-def: $vgpr80
.LBB2_2304:                             ;   in Loop: Header=BB2_2268 Depth=2
	s_and_not1_saveexec_b32 s10, s11
	s_cbranch_execz .LBB2_2310
; %bb.2305:                             ;   in Loop: Header=BB2_2268 Depth=2
	s_mov_b32 s11, exec_lo
                                        ; implicit-def: $vgpr114
	v_cmpx_ne_u64_e32 0, v[34:35]
	s_xor_b32 s11, exec_lo, s11
; %bb.2306:                             ;   in Loop: Header=BB2_2268 Depth=2
	v_lshrrev_b32_e32 v34, 24, v80
                                        ; implicit-def: $vgpr80
	s_delay_alu instid0(VALU_DEP_1)
	v_or_b32_e32 v114, 0x7f, v34
; %bb.2307:                             ;   in Loop: Header=BB2_2268 Depth=2
	s_and_not1_saveexec_b32 s11, s11
; %bb.2308:                             ;   in Loop: Header=BB2_2268 Depth=2
	v_cmp_lt_i32_e32 vcc_lo, -1, v80
	v_cndmask_b32_e64 v114, -4, 0x7c, vcc_lo
; %bb.2309:                             ;   in Loop: Header=BB2_2268 Depth=2
	s_or_b32 exec_lo, exec_lo, s11
.LBB2_2310:                             ;   in Loop: Header=BB2_2268 Depth=2
	s_delay_alu instid0(SALU_CYCLE_1)
	s_or_b32 exec_lo, exec_lo, s10
	flat_load_i8 v34, v[10:11] offset:32 th:TH_LOAD_NT
	v_mov_b32_e32 v81, 0
	s_mov_b32 s10, exec_lo
	s_wait_loadcnt_dscnt 0x0
	v_cmpx_ne_u16_e32 0, v34
	s_cbranch_execz .LBB2_2320
; %bb.2311:                             ;   in Loop: Header=BB2_2268 Depth=2
	v_bfrev_b32_e32 v81, 1
	s_mov_b32 s11, exec_lo
	v_cmpx_ne_u16_e32 0xff80, v34
	s_cbranch_execz .LBB2_2319
; %bb.2312:                             ;   in Loop: Header=BB2_2268 Depth=2
	v_and_b32_e32 v81, 0x7c, v34
	v_and_b32_e32 v80, 3, v34
	s_delay_alu instid0(VALU_DEP_2) | instskip(SKIP_1) | instid1(SALU_CYCLE_1)
	v_cmp_ne_u32_e32 vcc_lo, 0x7c, v81
                                        ; implicit-def: $vgpr81
	s_and_saveexec_b32 s29, vcc_lo
	s_xor_b32 s29, exec_lo, s29
	s_cbranch_execz .LBB2_2316
; %bb.2313:                             ;   in Loop: Header=BB2_2268 Depth=2
	v_and_b32_e32 v81, 0xff, v34
	s_mov_b32 s40, exec_lo
	s_delay_alu instid0(VALU_DEP_1) | instskip(NEXT) | instid1(VALU_DEP_1)
	v_bfe_u32 v81, v81, 2, 5
	v_cmpx_eq_u32_e32 0, v81
; %bb.2314:                             ;   in Loop: Header=BB2_2268 Depth=2
	v_clz_i32_u32_e32 v80, v80
	s_delay_alu instid0(VALU_DEP_1) | instskip(NEXT) | instid1(VALU_DEP_1)
	v_min_u32_e32 v82, 32, v80
	v_subrev_nc_u32_e32 v80, 29, v82
	s_delay_alu instid0(VALU_DEP_1) | instskip(NEXT) | instid1(VALU_DEP_1)
	v_lshlrev_b64_e32 v[80:81], v80, v[34:35]
	v_dual_sub_nc_u32 v81, 30, v82 :: v_dual_bitop2_b32 v80, 3, v80 bitop3:0x40
; %bb.2315:                             ;   in Loop: Header=BB2_2268 Depth=2
	s_or_b32 exec_lo, exec_lo, s40
	v_bfe_i32 v34, v34, 0, 16
	s_delay_alu instid0(VALU_DEP_1) | instskip(NEXT) | instid1(VALU_DEP_1)
	v_and_b32_e32 v34, 0x80000000, v34
	v_lshl_add_u32 v34, v81, 23, v34
	s_delay_alu instid0(VALU_DEP_1) | instskip(NEXT) | instid1(VALU_DEP_1)
	v_lshl_or_b32 v34, v80, 21, v34
                                        ; implicit-def: $vgpr80
	v_add_nc_u32_e32 v81, 0x38000000, v34
.LBB2_2316:                             ;   in Loop: Header=BB2_2268 Depth=2
	s_and_not1_saveexec_b32 s29, s29
; %bb.2317:                             ;   in Loop: Header=BB2_2268 Depth=2
	v_cmp_lt_i16_e32 vcc_lo, -1, v34
	v_cndmask_b32_e32 v34, 0xff800000, v62, vcc_lo
	v_cmp_eq_u32_e32 vcc_lo, 0, v80
	s_delay_alu instid0(VALU_DEP_2)
	v_cndmask_b32_e32 v81, 0x7f800001, v34, vcc_lo
; %bb.2318:                             ;   in Loop: Header=BB2_2268 Depth=2
	s_or_b32 exec_lo, exec_lo, s29
.LBB2_2319:                             ;   in Loop: Header=BB2_2268 Depth=2
	s_delay_alu instid0(SALU_CYCLE_1)
	s_or_b32 exec_lo, exec_lo, s11
.LBB2_2320:                             ;   in Loop: Header=BB2_2268 Depth=2
	s_delay_alu instid0(SALU_CYCLE_1) | instskip(NEXT) | instid1(VALU_DEP_1)
	s_or_b32 exec_lo, exec_lo, s10
	v_dual_mul_f32 v80, s28, v81 :: v_dual_mov_b32 v83, v35
                                        ; implicit-def: $vgpr112
	s_mov_b32 s10, exec_lo
	s_delay_alu instid0(VALU_DEP_1) | instskip(SKIP_1) | instid1(VALU_DEP_2)
	v_and_b32_e32 v82, 0x7f800000, v80
	v_and_b32_e32 v34, 0x7fffff, v80
	v_cmpx_ne_u64_e32 0x7f800000, v[82:83]
	s_xor_b32 s11, exec_lo, s10
	s_cbranch_execz .LBB2_2338
; %bb.2321:                             ;   in Loop: Header=BB2_2268 Depth=2
	v_dual_mov_b32 v83, v35 :: v_dual_lshrrev_b32 v81, 24, v80
	v_and_b32_e32 v82, 0x7fffffff, v80
                                        ; implicit-def: $vgpr112
	s_mov_b32 s10, exec_lo
	s_delay_alu instid0(VALU_DEP_2) | instskip(NEXT) | instid1(VALU_DEP_2)
	v_and_b32_e32 v84, 0x80, v81
	v_cmpx_gt_u64_e32 0x47600001, v[82:83]
	s_xor_b32 s29, exec_lo, s10
	s_cbranch_execz .LBB2_2335
; %bb.2322:                             ;   in Loop: Header=BB2_2268 Depth=2
	v_mov_b32_e32 v112, 0
	s_mov_b32 s40, exec_lo
	v_cmpx_ne_u32_e32 0, v80
	s_cbranch_execz .LBB2_2334
; %bb.2323:                             ;   in Loop: Header=BB2_2268 Depth=2
	v_bfe_u32 v85, v80, 23, 8
	v_or_b32_e32 v82, 0x800000, v34
	s_delay_alu instid0(VALU_DEP_2) | instskip(SKIP_1) | instid1(VALU_DEP_2)
	v_sub_nc_u32_e32 v80, 0x71, v85
	v_cmp_gt_u32_e32 vcc_lo, 0x72, v85
	v_cndmask_b32_e32 v80, 0, v80, vcc_lo
	v_cmp_eq_u32_e32 vcc_lo, 0, v85
	s_delay_alu instid0(VALU_DEP_2) | instskip(SKIP_1) | instid1(VALU_DEP_2)
	v_cndmask_b32_e64 v86, v80, 0x70, vcc_lo
	v_cndmask_b32_e32 v34, v82, v34, vcc_lo
	v_dual_add_nc_u32 v80, 21, v86 :: v_dual_add_nc_u32 v83, 20, v86
	s_delay_alu instid0(VALU_DEP_1) | instskip(NEXT) | instid1(VALU_DEP_2)
	v_lshlrev_b64_e64 v[80:81], v80, -1
	v_lshlrev_b64_e64 v[82:83], v83, 1
	s_delay_alu instid0(VALU_DEP_2) | instskip(NEXT) | instid1(VALU_DEP_3)
	v_bfi_b32 v97, v81, 0, 0
	v_bfi_b32 v96, v80, 0, v34
	v_lshrrev_b64 v[80:81], v86, v[34:35]
	s_delay_alu instid0(VALU_DEP_2) | instskip(NEXT) | instid1(VALU_DEP_2)
	v_cmp_eq_u64_e64 s10, v[96:97], v[82:83]
	v_mov_b64_e32 v[82:83], v[80:81]
	s_and_saveexec_b32 s41, s10
; %bb.2324:                             ;   in Loop: Header=BB2_2268 Depth=2
	v_bfe_u32 v34, v80, 21, 1
	s_delay_alu instid0(VALU_DEP_1) | instskip(NEXT) | instid1(VALU_DEP_1)
	v_add_nc_u64_e32 v[82:83], v[80:81], v[34:35]
	v_add_nc_u64_e32 v[82:83], -1, v[82:83]
; %bb.2325:                             ;   in Loop: Header=BB2_2268 Depth=2
	s_or_b32 exec_lo, exec_lo, s41
	v_add_nc_u32_e32 v34, 0xffffff81, v85
	v_lshrrev_b32_e32 v81, 23, v80
	s_mov_b32 s10, exec_lo
	s_delay_alu instid0(VALU_DEP_2) | instskip(NEXT) | instid1(VALU_DEP_1)
	v_cndmask_b32_e64 v34, v34, 0xffffff82, vcc_lo
	v_add3_u32 v83, v86, v34, v81
	v_and_b32_e32 v34, 0x1fffff, v82
                                        ; implicit-def: $vgpr82
	s_delay_alu instid0(VALU_DEP_1) | instskip(NEXT) | instid1(VALU_DEP_1)
	v_dual_add_nc_u32 v85, 14, v83 :: v_dual_add_nc_u32 v34, v34, v80
                                        ; implicit-def: $vgpr80_vgpr81
	v_cmpx_ne_u32_e32 0, v85
	s_xor_b32 s10, exec_lo, s10
; %bb.2326:                             ;   in Loop: Header=BB2_2268 Depth=2
	s_delay_alu instid0(VALU_DEP_2) | instskip(SKIP_1) | instid1(VALU_DEP_1)
	v_cmp_lt_u64_e32 vcc_lo, 0xffffff, v[34:35]
	v_add_nc_u32_e32 v80, 15, v83
	v_cndmask_b32_e32 v82, v85, v80, vcc_lo
	v_cndmask_b32_e64 v80, 0, 1, vcc_lo
	s_delay_alu instid0(VALU_DEP_1)
	v_lshrrev_b64 v[80:81], v80, v[34:35]
; %bb.2327:                             ;   in Loop: Header=BB2_2268 Depth=2
	s_and_not1_saveexec_b32 s10, s10
; %bb.2328:                             ;   in Loop: Header=BB2_2268 Depth=2
	v_mov_b64_e32 v[80:81], v[34:35]
	v_bfe_u32 v82, v34, 23, 1
; %bb.2329:                             ;   in Loop: Header=BB2_2268 Depth=2
	s_or_b32 exec_lo, exec_lo, s10
	s_delay_alu instid0(VALU_DEP_2) | instskip(NEXT) | instid1(VALU_DEP_2)
	v_lshrrev_b64 v[80:81], 21, v[80:81]
	v_cmp_gt_i32_e32 vcc_lo, 32, v82
	v_cmp_ne_u32_e64 s10, 0, v82
                                        ; implicit-def: $vgpr112
	s_delay_alu instid0(VALU_DEP_3) | instskip(NEXT) | instid1(VALU_DEP_1)
	v_dual_cndmask_b32 v81, 0, v81 :: v_dual_cndmask_b32 v80, 3, v80
	v_cmp_ne_u64_e32 vcc_lo, 0, v[80:81]
	s_or_b32 s10, s10, vcc_lo
	s_delay_alu instid0(SALU_CYCLE_1) | instskip(NEXT) | instid1(SALU_CYCLE_1)
	s_and_saveexec_b32 s41, s10
	s_xor_b32 s10, exec_lo, s41
; %bb.2330:                             ;   in Loop: Header=BB2_2268 Depth=2
	v_min_i32_e32 v34, 31, v82
	s_delay_alu instid0(VALU_DEP_1) | instskip(NEXT) | instid1(VALU_DEP_1)
	v_lshl_or_b32 v34, v34, 2, v84
                                        ; implicit-def: $vgpr84
	v_and_or_b32 v112, v80, 3, v34
; %bb.2331:                             ;   in Loop: Header=BB2_2268 Depth=2
	s_and_not1_saveexec_b32 s10, s10
; %bb.2332:                             ;   in Loop: Header=BB2_2268 Depth=2
	v_mov_b32_e32 v112, v84
; %bb.2333:                             ;   in Loop: Header=BB2_2268 Depth=2
	s_or_b32 exec_lo, exec_lo, s10
.LBB2_2334:                             ;   in Loop: Header=BB2_2268 Depth=2
	s_delay_alu instid0(SALU_CYCLE_1)
	s_or_b32 exec_lo, exec_lo, s40
                                        ; implicit-def: $vgpr84
.LBB2_2335:                             ;   in Loop: Header=BB2_2268 Depth=2
	s_and_not1_saveexec_b32 s10, s29
; %bb.2336:                             ;   in Loop: Header=BB2_2268 Depth=2
	v_or_b32_e32 v112, 0x7b, v84
; %bb.2337:                             ;   in Loop: Header=BB2_2268 Depth=2
	s_or_b32 exec_lo, exec_lo, s10
                                        ; implicit-def: $vgpr80
.LBB2_2338:                             ;   in Loop: Header=BB2_2268 Depth=2
	s_and_not1_saveexec_b32 s10, s11
	s_cbranch_execz .LBB2_2344
; %bb.2339:                             ;   in Loop: Header=BB2_2268 Depth=2
	s_mov_b32 s11, exec_lo
                                        ; implicit-def: $vgpr112
	v_cmpx_ne_u64_e32 0, v[34:35]
	s_xor_b32 s11, exec_lo, s11
; %bb.2340:                             ;   in Loop: Header=BB2_2268 Depth=2
	v_lshrrev_b32_e32 v34, 24, v80
                                        ; implicit-def: $vgpr80
	s_delay_alu instid0(VALU_DEP_1)
	v_or_b32_e32 v112, 0x7f, v34
; %bb.2341:                             ;   in Loop: Header=BB2_2268 Depth=2
	s_and_not1_saveexec_b32 s11, s11
; %bb.2342:                             ;   in Loop: Header=BB2_2268 Depth=2
	v_cmp_lt_i32_e32 vcc_lo, -1, v80
	v_cndmask_b32_e64 v112, -4, 0x7c, vcc_lo
; %bb.2343:                             ;   in Loop: Header=BB2_2268 Depth=2
	s_or_b32 exec_lo, exec_lo, s11
.LBB2_2344:                             ;   in Loop: Header=BB2_2268 Depth=2
	s_delay_alu instid0(SALU_CYCLE_1)
	s_or_b32 exec_lo, exec_lo, s10
	flat_load_i8 v34, v[10:11] offset:64 th:TH_LOAD_NT
	v_mov_b32_e32 v81, 0
	s_mov_b32 s10, exec_lo
	s_wait_loadcnt_dscnt 0x0
	v_cmpx_ne_u16_e32 0, v34
	s_cbranch_execz .LBB2_2354
; %bb.2345:                             ;   in Loop: Header=BB2_2268 Depth=2
	v_bfrev_b32_e32 v81, 1
	s_mov_b32 s11, exec_lo
	v_cmpx_ne_u16_e32 0xff80, v34
	s_cbranch_execz .LBB2_2353
; %bb.2346:                             ;   in Loop: Header=BB2_2268 Depth=2
	v_and_b32_e32 v81, 0x7c, v34
	v_and_b32_e32 v80, 3, v34
	s_delay_alu instid0(VALU_DEP_2) | instskip(SKIP_1) | instid1(SALU_CYCLE_1)
	v_cmp_ne_u32_e32 vcc_lo, 0x7c, v81
                                        ; implicit-def: $vgpr81
	s_and_saveexec_b32 s29, vcc_lo
	s_xor_b32 s29, exec_lo, s29
	s_cbranch_execz .LBB2_2350
; %bb.2347:                             ;   in Loop: Header=BB2_2268 Depth=2
	v_and_b32_e32 v81, 0xff, v34
	s_mov_b32 s40, exec_lo
	s_delay_alu instid0(VALU_DEP_1) | instskip(NEXT) | instid1(VALU_DEP_1)
	v_bfe_u32 v81, v81, 2, 5
	v_cmpx_eq_u32_e32 0, v81
; %bb.2348:                             ;   in Loop: Header=BB2_2268 Depth=2
	v_clz_i32_u32_e32 v80, v80
	s_delay_alu instid0(VALU_DEP_1) | instskip(NEXT) | instid1(VALU_DEP_1)
	v_min_u32_e32 v82, 32, v80
	v_subrev_nc_u32_e32 v80, 29, v82
	s_delay_alu instid0(VALU_DEP_1) | instskip(NEXT) | instid1(VALU_DEP_1)
	v_lshlrev_b64_e32 v[80:81], v80, v[34:35]
	v_dual_sub_nc_u32 v81, 30, v82 :: v_dual_bitop2_b32 v80, 3, v80 bitop3:0x40
; %bb.2349:                             ;   in Loop: Header=BB2_2268 Depth=2
	s_or_b32 exec_lo, exec_lo, s40
	v_bfe_i32 v34, v34, 0, 16
	s_delay_alu instid0(VALU_DEP_1) | instskip(NEXT) | instid1(VALU_DEP_1)
	v_and_b32_e32 v34, 0x80000000, v34
	v_lshl_add_u32 v34, v81, 23, v34
	s_delay_alu instid0(VALU_DEP_1) | instskip(NEXT) | instid1(VALU_DEP_1)
	v_lshl_or_b32 v34, v80, 21, v34
                                        ; implicit-def: $vgpr80
	v_add_nc_u32_e32 v81, 0x38000000, v34
.LBB2_2350:                             ;   in Loop: Header=BB2_2268 Depth=2
	s_and_not1_saveexec_b32 s29, s29
; %bb.2351:                             ;   in Loop: Header=BB2_2268 Depth=2
	v_cmp_lt_i16_e32 vcc_lo, -1, v34
	v_cndmask_b32_e32 v34, 0xff800000, v62, vcc_lo
	v_cmp_eq_u32_e32 vcc_lo, 0, v80
	s_delay_alu instid0(VALU_DEP_2)
	v_cndmask_b32_e32 v81, 0x7f800001, v34, vcc_lo
; %bb.2352:                             ;   in Loop: Header=BB2_2268 Depth=2
	s_or_b32 exec_lo, exec_lo, s29
.LBB2_2353:                             ;   in Loop: Header=BB2_2268 Depth=2
	s_delay_alu instid0(SALU_CYCLE_1)
	s_or_b32 exec_lo, exec_lo, s11
.LBB2_2354:                             ;   in Loop: Header=BB2_2268 Depth=2
	s_delay_alu instid0(SALU_CYCLE_1) | instskip(NEXT) | instid1(VALU_DEP_1)
	s_or_b32 exec_lo, exec_lo, s10
	v_dual_mul_f32 v80, s28, v81 :: v_dual_mov_b32 v83, v35
                                        ; implicit-def: $vgpr102
	s_mov_b32 s10, exec_lo
	s_delay_alu instid0(VALU_DEP_1) | instskip(SKIP_1) | instid1(VALU_DEP_2)
	v_and_b32_e32 v82, 0x7f800000, v80
	v_and_b32_e32 v34, 0x7fffff, v80
	v_cmpx_ne_u64_e32 0x7f800000, v[82:83]
	s_xor_b32 s11, exec_lo, s10
	s_cbranch_execz .LBB2_2372
; %bb.2355:                             ;   in Loop: Header=BB2_2268 Depth=2
	v_dual_mov_b32 v83, v35 :: v_dual_lshrrev_b32 v81, 24, v80
	v_and_b32_e32 v82, 0x7fffffff, v80
                                        ; implicit-def: $vgpr102
	s_mov_b32 s10, exec_lo
	s_delay_alu instid0(VALU_DEP_2) | instskip(NEXT) | instid1(VALU_DEP_2)
	v_and_b32_e32 v84, 0x80, v81
	v_cmpx_gt_u64_e32 0x47600001, v[82:83]
	s_xor_b32 s29, exec_lo, s10
	s_cbranch_execz .LBB2_2369
; %bb.2356:                             ;   in Loop: Header=BB2_2268 Depth=2
	v_mov_b32_e32 v102, 0
	s_mov_b32 s40, exec_lo
	v_cmpx_ne_u32_e32 0, v80
	s_cbranch_execz .LBB2_2368
; %bb.2357:                             ;   in Loop: Header=BB2_2268 Depth=2
	v_bfe_u32 v85, v80, 23, 8
	v_or_b32_e32 v82, 0x800000, v34
	s_delay_alu instid0(VALU_DEP_2) | instskip(SKIP_1) | instid1(VALU_DEP_2)
	v_sub_nc_u32_e32 v80, 0x71, v85
	v_cmp_gt_u32_e32 vcc_lo, 0x72, v85
	v_cndmask_b32_e32 v80, 0, v80, vcc_lo
	v_cmp_eq_u32_e32 vcc_lo, 0, v85
	s_delay_alu instid0(VALU_DEP_2) | instskip(SKIP_1) | instid1(VALU_DEP_2)
	v_cndmask_b32_e64 v86, v80, 0x70, vcc_lo
	v_cndmask_b32_e32 v34, v82, v34, vcc_lo
	v_dual_add_nc_u32 v80, 21, v86 :: v_dual_add_nc_u32 v83, 20, v86
	s_delay_alu instid0(VALU_DEP_1) | instskip(NEXT) | instid1(VALU_DEP_2)
	v_lshlrev_b64_e64 v[80:81], v80, -1
	v_lshlrev_b64_e64 v[82:83], v83, 1
	s_delay_alu instid0(VALU_DEP_2) | instskip(NEXT) | instid1(VALU_DEP_3)
	v_bfi_b32 v97, v81, 0, 0
	v_bfi_b32 v96, v80, 0, v34
	v_lshrrev_b64 v[80:81], v86, v[34:35]
	s_delay_alu instid0(VALU_DEP_2) | instskip(NEXT) | instid1(VALU_DEP_2)
	v_cmp_eq_u64_e64 s10, v[96:97], v[82:83]
	v_mov_b64_e32 v[82:83], v[80:81]
	s_and_saveexec_b32 s41, s10
; %bb.2358:                             ;   in Loop: Header=BB2_2268 Depth=2
	v_bfe_u32 v34, v80, 21, 1
	s_delay_alu instid0(VALU_DEP_1) | instskip(NEXT) | instid1(VALU_DEP_1)
	v_add_nc_u64_e32 v[82:83], v[80:81], v[34:35]
	v_add_nc_u64_e32 v[82:83], -1, v[82:83]
; %bb.2359:                             ;   in Loop: Header=BB2_2268 Depth=2
	s_or_b32 exec_lo, exec_lo, s41
	v_add_nc_u32_e32 v34, 0xffffff81, v85
	v_lshrrev_b32_e32 v81, 23, v80
	s_mov_b32 s10, exec_lo
	s_delay_alu instid0(VALU_DEP_2) | instskip(NEXT) | instid1(VALU_DEP_1)
	v_cndmask_b32_e64 v34, v34, 0xffffff82, vcc_lo
	v_add3_u32 v83, v86, v34, v81
	v_and_b32_e32 v34, 0x1fffff, v82
                                        ; implicit-def: $vgpr82
	s_delay_alu instid0(VALU_DEP_1) | instskip(NEXT) | instid1(VALU_DEP_1)
	v_dual_add_nc_u32 v85, 14, v83 :: v_dual_add_nc_u32 v34, v34, v80
                                        ; implicit-def: $vgpr80_vgpr81
	v_cmpx_ne_u32_e32 0, v85
	s_xor_b32 s10, exec_lo, s10
; %bb.2360:                             ;   in Loop: Header=BB2_2268 Depth=2
	s_delay_alu instid0(VALU_DEP_2) | instskip(SKIP_1) | instid1(VALU_DEP_1)
	v_cmp_lt_u64_e32 vcc_lo, 0xffffff, v[34:35]
	v_add_nc_u32_e32 v80, 15, v83
	v_cndmask_b32_e32 v82, v85, v80, vcc_lo
	v_cndmask_b32_e64 v80, 0, 1, vcc_lo
	s_delay_alu instid0(VALU_DEP_1)
	v_lshrrev_b64 v[80:81], v80, v[34:35]
; %bb.2361:                             ;   in Loop: Header=BB2_2268 Depth=2
	s_and_not1_saveexec_b32 s10, s10
; %bb.2362:                             ;   in Loop: Header=BB2_2268 Depth=2
	v_mov_b64_e32 v[80:81], v[34:35]
	v_bfe_u32 v82, v34, 23, 1
; %bb.2363:                             ;   in Loop: Header=BB2_2268 Depth=2
	s_or_b32 exec_lo, exec_lo, s10
	s_delay_alu instid0(VALU_DEP_2) | instskip(NEXT) | instid1(VALU_DEP_2)
	v_lshrrev_b64 v[80:81], 21, v[80:81]
	v_cmp_gt_i32_e32 vcc_lo, 32, v82
	v_cmp_ne_u32_e64 s10, 0, v82
                                        ; implicit-def: $vgpr102
	s_delay_alu instid0(VALU_DEP_3) | instskip(NEXT) | instid1(VALU_DEP_1)
	v_dual_cndmask_b32 v81, 0, v81 :: v_dual_cndmask_b32 v80, 3, v80
	v_cmp_ne_u64_e32 vcc_lo, 0, v[80:81]
	s_or_b32 s10, s10, vcc_lo
	s_delay_alu instid0(SALU_CYCLE_1) | instskip(NEXT) | instid1(SALU_CYCLE_1)
	s_and_saveexec_b32 s41, s10
	s_xor_b32 s10, exec_lo, s41
; %bb.2364:                             ;   in Loop: Header=BB2_2268 Depth=2
	v_min_i32_e32 v34, 31, v82
	s_delay_alu instid0(VALU_DEP_1) | instskip(NEXT) | instid1(VALU_DEP_1)
	v_lshl_or_b32 v34, v34, 2, v84
                                        ; implicit-def: $vgpr84
	v_and_or_b32 v102, v80, 3, v34
; %bb.2365:                             ;   in Loop: Header=BB2_2268 Depth=2
	s_and_not1_saveexec_b32 s10, s10
; %bb.2366:                             ;   in Loop: Header=BB2_2268 Depth=2
	v_mov_b32_e32 v102, v84
; %bb.2367:                             ;   in Loop: Header=BB2_2268 Depth=2
	s_or_b32 exec_lo, exec_lo, s10
.LBB2_2368:                             ;   in Loop: Header=BB2_2268 Depth=2
	s_delay_alu instid0(SALU_CYCLE_1)
	s_or_b32 exec_lo, exec_lo, s40
                                        ; implicit-def: $vgpr84
.LBB2_2369:                             ;   in Loop: Header=BB2_2268 Depth=2
	s_and_not1_saveexec_b32 s10, s29
; %bb.2370:                             ;   in Loop: Header=BB2_2268 Depth=2
	v_or_b32_e32 v102, 0x7b, v84
; %bb.2371:                             ;   in Loop: Header=BB2_2268 Depth=2
	s_or_b32 exec_lo, exec_lo, s10
                                        ; implicit-def: $vgpr80
.LBB2_2372:                             ;   in Loop: Header=BB2_2268 Depth=2
	s_and_not1_saveexec_b32 s10, s11
	s_cbranch_execz .LBB2_2378
; %bb.2373:                             ;   in Loop: Header=BB2_2268 Depth=2
	s_mov_b32 s11, exec_lo
                                        ; implicit-def: $vgpr102
	v_cmpx_ne_u64_e32 0, v[34:35]
	s_xor_b32 s11, exec_lo, s11
; %bb.2374:                             ;   in Loop: Header=BB2_2268 Depth=2
	v_lshrrev_b32_e32 v34, 24, v80
                                        ; implicit-def: $vgpr80
	s_delay_alu instid0(VALU_DEP_1)
	v_or_b32_e32 v102, 0x7f, v34
; %bb.2375:                             ;   in Loop: Header=BB2_2268 Depth=2
	s_and_not1_saveexec_b32 s11, s11
; %bb.2376:                             ;   in Loop: Header=BB2_2268 Depth=2
	v_cmp_lt_i32_e32 vcc_lo, -1, v80
	v_cndmask_b32_e64 v102, -4, 0x7c, vcc_lo
; %bb.2377:                             ;   in Loop: Header=BB2_2268 Depth=2
	s_or_b32 exec_lo, exec_lo, s11
.LBB2_2378:                             ;   in Loop: Header=BB2_2268 Depth=2
	s_delay_alu instid0(SALU_CYCLE_1)
	s_or_b32 exec_lo, exec_lo, s10
	flat_load_i8 v34, v[10:11] offset:96 th:TH_LOAD_NT
	v_mov_b32_e32 v81, 0
	s_mov_b32 s10, exec_lo
	s_wait_loadcnt_dscnt 0x0
	v_cmpx_ne_u16_e32 0, v34
	s_cbranch_execz .LBB2_2388
; %bb.2379:                             ;   in Loop: Header=BB2_2268 Depth=2
	v_bfrev_b32_e32 v81, 1
	s_mov_b32 s11, exec_lo
	v_cmpx_ne_u16_e32 0xff80, v34
	s_cbranch_execz .LBB2_2387
; %bb.2380:                             ;   in Loop: Header=BB2_2268 Depth=2
	v_and_b32_e32 v81, 0x7c, v34
	v_and_b32_e32 v80, 3, v34
	s_delay_alu instid0(VALU_DEP_2) | instskip(SKIP_1) | instid1(SALU_CYCLE_1)
	v_cmp_ne_u32_e32 vcc_lo, 0x7c, v81
                                        ; implicit-def: $vgpr81
	s_and_saveexec_b32 s29, vcc_lo
	s_xor_b32 s29, exec_lo, s29
	s_cbranch_execz .LBB2_2384
; %bb.2381:                             ;   in Loop: Header=BB2_2268 Depth=2
	v_and_b32_e32 v81, 0xff, v34
	s_mov_b32 s40, exec_lo
	s_delay_alu instid0(VALU_DEP_1) | instskip(NEXT) | instid1(VALU_DEP_1)
	v_bfe_u32 v81, v81, 2, 5
	v_cmpx_eq_u32_e32 0, v81
; %bb.2382:                             ;   in Loop: Header=BB2_2268 Depth=2
	v_clz_i32_u32_e32 v80, v80
	s_delay_alu instid0(VALU_DEP_1) | instskip(NEXT) | instid1(VALU_DEP_1)
	v_min_u32_e32 v82, 32, v80
	v_subrev_nc_u32_e32 v80, 29, v82
	s_delay_alu instid0(VALU_DEP_1) | instskip(NEXT) | instid1(VALU_DEP_1)
	v_lshlrev_b64_e32 v[80:81], v80, v[34:35]
	v_dual_sub_nc_u32 v81, 30, v82 :: v_dual_bitop2_b32 v80, 3, v80 bitop3:0x40
; %bb.2383:                             ;   in Loop: Header=BB2_2268 Depth=2
	s_or_b32 exec_lo, exec_lo, s40
	v_bfe_i32 v34, v34, 0, 16
	s_delay_alu instid0(VALU_DEP_1) | instskip(NEXT) | instid1(VALU_DEP_1)
	v_and_b32_e32 v34, 0x80000000, v34
	v_lshl_add_u32 v34, v81, 23, v34
	s_delay_alu instid0(VALU_DEP_1) | instskip(NEXT) | instid1(VALU_DEP_1)
	v_lshl_or_b32 v34, v80, 21, v34
                                        ; implicit-def: $vgpr80
	v_add_nc_u32_e32 v81, 0x38000000, v34
.LBB2_2384:                             ;   in Loop: Header=BB2_2268 Depth=2
	s_and_not1_saveexec_b32 s29, s29
; %bb.2385:                             ;   in Loop: Header=BB2_2268 Depth=2
	v_cmp_lt_i16_e32 vcc_lo, -1, v34
	v_cndmask_b32_e32 v34, 0xff800000, v62, vcc_lo
	v_cmp_eq_u32_e32 vcc_lo, 0, v80
	s_delay_alu instid0(VALU_DEP_2)
	v_cndmask_b32_e32 v81, 0x7f800001, v34, vcc_lo
; %bb.2386:                             ;   in Loop: Header=BB2_2268 Depth=2
	s_or_b32 exec_lo, exec_lo, s29
.LBB2_2387:                             ;   in Loop: Header=BB2_2268 Depth=2
	s_delay_alu instid0(SALU_CYCLE_1)
	s_or_b32 exec_lo, exec_lo, s11
.LBB2_2388:                             ;   in Loop: Header=BB2_2268 Depth=2
	s_delay_alu instid0(SALU_CYCLE_1) | instskip(NEXT) | instid1(VALU_DEP_1)
	s_or_b32 exec_lo, exec_lo, s10
	v_dual_mul_f32 v80, s28, v81 :: v_dual_mov_b32 v83, v35
                                        ; implicit-def: $vgpr98
	s_mov_b32 s10, exec_lo
	s_delay_alu instid0(VALU_DEP_1) | instskip(SKIP_1) | instid1(VALU_DEP_2)
	v_and_b32_e32 v82, 0x7f800000, v80
	v_and_b32_e32 v34, 0x7fffff, v80
	v_cmpx_ne_u64_e32 0x7f800000, v[82:83]
	s_xor_b32 s11, exec_lo, s10
	s_cbranch_execz .LBB2_2406
; %bb.2389:                             ;   in Loop: Header=BB2_2268 Depth=2
	v_dual_mov_b32 v83, v35 :: v_dual_lshrrev_b32 v81, 24, v80
	v_and_b32_e32 v82, 0x7fffffff, v80
                                        ; implicit-def: $vgpr98
	s_mov_b32 s10, exec_lo
	s_delay_alu instid0(VALU_DEP_2) | instskip(NEXT) | instid1(VALU_DEP_2)
	v_and_b32_e32 v84, 0x80, v81
	v_cmpx_gt_u64_e32 0x47600001, v[82:83]
	s_xor_b32 s29, exec_lo, s10
	s_cbranch_execz .LBB2_2403
; %bb.2390:                             ;   in Loop: Header=BB2_2268 Depth=2
	v_mov_b32_e32 v98, 0
	s_mov_b32 s40, exec_lo
	v_cmpx_ne_u32_e32 0, v80
	s_cbranch_execz .LBB2_2402
; %bb.2391:                             ;   in Loop: Header=BB2_2268 Depth=2
	v_bfe_u32 v85, v80, 23, 8
	v_or_b32_e32 v82, 0x800000, v34
	s_delay_alu instid0(VALU_DEP_2) | instskip(SKIP_1) | instid1(VALU_DEP_2)
	v_sub_nc_u32_e32 v80, 0x71, v85
	v_cmp_gt_u32_e32 vcc_lo, 0x72, v85
	v_cndmask_b32_e32 v80, 0, v80, vcc_lo
	v_cmp_eq_u32_e32 vcc_lo, 0, v85
	s_delay_alu instid0(VALU_DEP_2) | instskip(SKIP_1) | instid1(VALU_DEP_2)
	v_cndmask_b32_e64 v86, v80, 0x70, vcc_lo
	v_cndmask_b32_e32 v34, v82, v34, vcc_lo
	v_dual_add_nc_u32 v80, 21, v86 :: v_dual_add_nc_u32 v83, 20, v86
	s_delay_alu instid0(VALU_DEP_1) | instskip(NEXT) | instid1(VALU_DEP_2)
	v_lshlrev_b64_e64 v[80:81], v80, -1
	v_lshlrev_b64_e64 v[82:83], v83, 1
	s_delay_alu instid0(VALU_DEP_2) | instskip(NEXT) | instid1(VALU_DEP_3)
	v_bfi_b32 v97, v81, 0, 0
	v_bfi_b32 v96, v80, 0, v34
	v_lshrrev_b64 v[80:81], v86, v[34:35]
	s_delay_alu instid0(VALU_DEP_2) | instskip(NEXT) | instid1(VALU_DEP_2)
	v_cmp_eq_u64_e64 s10, v[96:97], v[82:83]
	v_mov_b64_e32 v[82:83], v[80:81]
	s_and_saveexec_b32 s41, s10
; %bb.2392:                             ;   in Loop: Header=BB2_2268 Depth=2
	v_bfe_u32 v34, v80, 21, 1
	s_delay_alu instid0(VALU_DEP_1) | instskip(NEXT) | instid1(VALU_DEP_1)
	v_add_nc_u64_e32 v[82:83], v[80:81], v[34:35]
	v_add_nc_u64_e32 v[82:83], -1, v[82:83]
; %bb.2393:                             ;   in Loop: Header=BB2_2268 Depth=2
	s_or_b32 exec_lo, exec_lo, s41
	v_add_nc_u32_e32 v34, 0xffffff81, v85
	v_lshrrev_b32_e32 v81, 23, v80
	s_mov_b32 s10, exec_lo
	s_delay_alu instid0(VALU_DEP_2) | instskip(NEXT) | instid1(VALU_DEP_1)
	v_cndmask_b32_e64 v34, v34, 0xffffff82, vcc_lo
	v_add3_u32 v83, v86, v34, v81
	v_and_b32_e32 v34, 0x1fffff, v82
                                        ; implicit-def: $vgpr82
	s_delay_alu instid0(VALU_DEP_1) | instskip(NEXT) | instid1(VALU_DEP_1)
	v_dual_add_nc_u32 v85, 14, v83 :: v_dual_add_nc_u32 v34, v34, v80
                                        ; implicit-def: $vgpr80_vgpr81
	v_cmpx_ne_u32_e32 0, v85
	s_xor_b32 s10, exec_lo, s10
; %bb.2394:                             ;   in Loop: Header=BB2_2268 Depth=2
	s_delay_alu instid0(VALU_DEP_2) | instskip(SKIP_1) | instid1(VALU_DEP_1)
	v_cmp_lt_u64_e32 vcc_lo, 0xffffff, v[34:35]
	v_add_nc_u32_e32 v80, 15, v83
	v_cndmask_b32_e32 v82, v85, v80, vcc_lo
	v_cndmask_b32_e64 v80, 0, 1, vcc_lo
	s_delay_alu instid0(VALU_DEP_1)
	v_lshrrev_b64 v[80:81], v80, v[34:35]
; %bb.2395:                             ;   in Loop: Header=BB2_2268 Depth=2
	s_and_not1_saveexec_b32 s10, s10
; %bb.2396:                             ;   in Loop: Header=BB2_2268 Depth=2
	v_mov_b64_e32 v[80:81], v[34:35]
	v_bfe_u32 v82, v34, 23, 1
; %bb.2397:                             ;   in Loop: Header=BB2_2268 Depth=2
	s_or_b32 exec_lo, exec_lo, s10
	s_delay_alu instid0(VALU_DEP_2) | instskip(NEXT) | instid1(VALU_DEP_2)
	v_lshrrev_b64 v[80:81], 21, v[80:81]
	v_cmp_gt_i32_e32 vcc_lo, 32, v82
	v_cmp_ne_u32_e64 s10, 0, v82
                                        ; implicit-def: $vgpr98
	s_delay_alu instid0(VALU_DEP_3) | instskip(NEXT) | instid1(VALU_DEP_1)
	v_dual_cndmask_b32 v81, 0, v81 :: v_dual_cndmask_b32 v80, 3, v80
	v_cmp_ne_u64_e32 vcc_lo, 0, v[80:81]
	s_or_b32 s10, s10, vcc_lo
	s_delay_alu instid0(SALU_CYCLE_1) | instskip(NEXT) | instid1(SALU_CYCLE_1)
	s_and_saveexec_b32 s41, s10
	s_xor_b32 s10, exec_lo, s41
; %bb.2398:                             ;   in Loop: Header=BB2_2268 Depth=2
	v_min_i32_e32 v34, 31, v82
	s_delay_alu instid0(VALU_DEP_1) | instskip(NEXT) | instid1(VALU_DEP_1)
	v_lshl_or_b32 v34, v34, 2, v84
                                        ; implicit-def: $vgpr84
	v_and_or_b32 v98, v80, 3, v34
; %bb.2399:                             ;   in Loop: Header=BB2_2268 Depth=2
	s_and_not1_saveexec_b32 s10, s10
; %bb.2400:                             ;   in Loop: Header=BB2_2268 Depth=2
	v_mov_b32_e32 v98, v84
; %bb.2401:                             ;   in Loop: Header=BB2_2268 Depth=2
	s_or_b32 exec_lo, exec_lo, s10
.LBB2_2402:                             ;   in Loop: Header=BB2_2268 Depth=2
	s_delay_alu instid0(SALU_CYCLE_1)
	s_or_b32 exec_lo, exec_lo, s40
                                        ; implicit-def: $vgpr84
.LBB2_2403:                             ;   in Loop: Header=BB2_2268 Depth=2
	s_and_not1_saveexec_b32 s10, s29
; %bb.2404:                             ;   in Loop: Header=BB2_2268 Depth=2
	v_or_b32_e32 v98, 0x7b, v84
; %bb.2405:                             ;   in Loop: Header=BB2_2268 Depth=2
	s_or_b32 exec_lo, exec_lo, s10
                                        ; implicit-def: $vgpr80
.LBB2_2406:                             ;   in Loop: Header=BB2_2268 Depth=2
	s_and_not1_saveexec_b32 s10, s11
	s_cbranch_execz .LBB2_2412
; %bb.2407:                             ;   in Loop: Header=BB2_2268 Depth=2
	s_mov_b32 s11, exec_lo
                                        ; implicit-def: $vgpr98
	v_cmpx_ne_u64_e32 0, v[34:35]
	s_xor_b32 s11, exec_lo, s11
; %bb.2408:                             ;   in Loop: Header=BB2_2268 Depth=2
	v_lshrrev_b32_e32 v34, 24, v80
                                        ; implicit-def: $vgpr80
	s_delay_alu instid0(VALU_DEP_1)
	v_or_b32_e32 v98, 0x7f, v34
; %bb.2409:                             ;   in Loop: Header=BB2_2268 Depth=2
	s_and_not1_saveexec_b32 s11, s11
; %bb.2410:                             ;   in Loop: Header=BB2_2268 Depth=2
	v_cmp_lt_i32_e32 vcc_lo, -1, v80
	v_cndmask_b32_e64 v98, -4, 0x7c, vcc_lo
; %bb.2411:                             ;   in Loop: Header=BB2_2268 Depth=2
	s_or_b32 exec_lo, exec_lo, s11
.LBB2_2412:                             ;   in Loop: Header=BB2_2268 Depth=2
	s_delay_alu instid0(SALU_CYCLE_1)
	s_or_b32 exec_lo, exec_lo, s10
	flat_load_i8 v34, v[10:11] offset:128 th:TH_LOAD_NT
	v_mov_b32_e32 v81, 0
	s_mov_b32 s10, exec_lo
	s_wait_loadcnt_dscnt 0x0
	v_cmpx_ne_u16_e32 0, v34
	s_cbranch_execz .LBB2_2422
; %bb.2413:                             ;   in Loop: Header=BB2_2268 Depth=2
	v_bfrev_b32_e32 v81, 1
	s_mov_b32 s11, exec_lo
	v_cmpx_ne_u16_e32 0xff80, v34
	s_cbranch_execz .LBB2_2421
; %bb.2414:                             ;   in Loop: Header=BB2_2268 Depth=2
	v_and_b32_e32 v81, 0x7c, v34
	v_and_b32_e32 v80, 3, v34
	s_delay_alu instid0(VALU_DEP_2) | instskip(SKIP_1) | instid1(SALU_CYCLE_1)
	v_cmp_ne_u32_e32 vcc_lo, 0x7c, v81
                                        ; implicit-def: $vgpr81
	s_and_saveexec_b32 s29, vcc_lo
	s_xor_b32 s29, exec_lo, s29
	s_cbranch_execz .LBB2_2418
; %bb.2415:                             ;   in Loop: Header=BB2_2268 Depth=2
	v_and_b32_e32 v81, 0xff, v34
	s_mov_b32 s40, exec_lo
	s_delay_alu instid0(VALU_DEP_1) | instskip(NEXT) | instid1(VALU_DEP_1)
	v_bfe_u32 v81, v81, 2, 5
	v_cmpx_eq_u32_e32 0, v81
; %bb.2416:                             ;   in Loop: Header=BB2_2268 Depth=2
	v_clz_i32_u32_e32 v80, v80
	s_delay_alu instid0(VALU_DEP_1) | instskip(NEXT) | instid1(VALU_DEP_1)
	v_min_u32_e32 v82, 32, v80
	v_subrev_nc_u32_e32 v80, 29, v82
	s_delay_alu instid0(VALU_DEP_1) | instskip(NEXT) | instid1(VALU_DEP_1)
	v_lshlrev_b64_e32 v[80:81], v80, v[34:35]
	v_dual_sub_nc_u32 v81, 30, v82 :: v_dual_bitop2_b32 v80, 3, v80 bitop3:0x40
; %bb.2417:                             ;   in Loop: Header=BB2_2268 Depth=2
	s_or_b32 exec_lo, exec_lo, s40
	v_bfe_i32 v34, v34, 0, 16
	s_delay_alu instid0(VALU_DEP_1) | instskip(NEXT) | instid1(VALU_DEP_1)
	v_and_b32_e32 v34, 0x80000000, v34
	v_lshl_add_u32 v34, v81, 23, v34
	s_delay_alu instid0(VALU_DEP_1) | instskip(NEXT) | instid1(VALU_DEP_1)
	v_lshl_or_b32 v34, v80, 21, v34
                                        ; implicit-def: $vgpr80
	v_add_nc_u32_e32 v81, 0x38000000, v34
.LBB2_2418:                             ;   in Loop: Header=BB2_2268 Depth=2
	s_and_not1_saveexec_b32 s29, s29
; %bb.2419:                             ;   in Loop: Header=BB2_2268 Depth=2
	v_cmp_lt_i16_e32 vcc_lo, -1, v34
	v_cndmask_b32_e32 v34, 0xff800000, v62, vcc_lo
	v_cmp_eq_u32_e32 vcc_lo, 0, v80
	s_delay_alu instid0(VALU_DEP_2)
	v_cndmask_b32_e32 v81, 0x7f800001, v34, vcc_lo
; %bb.2420:                             ;   in Loop: Header=BB2_2268 Depth=2
	s_or_b32 exec_lo, exec_lo, s29
.LBB2_2421:                             ;   in Loop: Header=BB2_2268 Depth=2
	s_delay_alu instid0(SALU_CYCLE_1)
	s_or_b32 exec_lo, exec_lo, s11
.LBB2_2422:                             ;   in Loop: Header=BB2_2268 Depth=2
	s_delay_alu instid0(SALU_CYCLE_1) | instskip(NEXT) | instid1(VALU_DEP_1)
	s_or_b32 exec_lo, exec_lo, s10
	v_dual_mul_f32 v80, s28, v81 :: v_dual_mov_b32 v83, v35
                                        ; implicit-def: $vgpr96
	s_mov_b32 s10, exec_lo
	s_delay_alu instid0(VALU_DEP_1) | instskip(SKIP_1) | instid1(VALU_DEP_2)
	v_and_b32_e32 v82, 0x7f800000, v80
	v_and_b32_e32 v34, 0x7fffff, v80
	v_cmpx_ne_u64_e32 0x7f800000, v[82:83]
	s_xor_b32 s11, exec_lo, s10
	s_cbranch_execz .LBB2_2440
; %bb.2423:                             ;   in Loop: Header=BB2_2268 Depth=2
	v_dual_mov_b32 v83, v35 :: v_dual_lshrrev_b32 v81, 24, v80
	v_and_b32_e32 v82, 0x7fffffff, v80
                                        ; implicit-def: $vgpr96
	s_mov_b32 s10, exec_lo
	s_delay_alu instid0(VALU_DEP_2) | instskip(NEXT) | instid1(VALU_DEP_2)
	v_and_b32_e32 v84, 0x80, v81
	v_cmpx_gt_u64_e32 0x47600001, v[82:83]
	s_xor_b32 s29, exec_lo, s10
	s_cbranch_execz .LBB2_2437
; %bb.2424:                             ;   in Loop: Header=BB2_2268 Depth=2
	v_mov_b32_e32 v96, 0
	s_mov_b32 s40, exec_lo
	v_cmpx_ne_u32_e32 0, v80
	s_cbranch_execz .LBB2_2436
; %bb.2425:                             ;   in Loop: Header=BB2_2268 Depth=2
	v_bfe_u32 v85, v80, 23, 8
	v_or_b32_e32 v82, 0x800000, v34
	s_delay_alu instid0(VALU_DEP_2) | instskip(SKIP_1) | instid1(VALU_DEP_2)
	v_sub_nc_u32_e32 v80, 0x71, v85
	v_cmp_gt_u32_e32 vcc_lo, 0x72, v85
	v_cndmask_b32_e32 v80, 0, v80, vcc_lo
	v_cmp_eq_u32_e32 vcc_lo, 0, v85
	s_delay_alu instid0(VALU_DEP_2) | instskip(SKIP_1) | instid1(VALU_DEP_2)
	v_cndmask_b32_e64 v86, v80, 0x70, vcc_lo
	v_cndmask_b32_e32 v34, v82, v34, vcc_lo
	v_dual_add_nc_u32 v80, 21, v86 :: v_dual_add_nc_u32 v83, 20, v86
	s_delay_alu instid0(VALU_DEP_1) | instskip(NEXT) | instid1(VALU_DEP_2)
	v_lshlrev_b64_e64 v[80:81], v80, -1
	v_lshlrev_b64_e64 v[82:83], v83, 1
	s_delay_alu instid0(VALU_DEP_2) | instskip(NEXT) | instid1(VALU_DEP_3)
	v_bfi_b32 v97, v81, 0, 0
	v_bfi_b32 v96, v80, 0, v34
	v_lshrrev_b64 v[80:81], v86, v[34:35]
	s_delay_alu instid0(VALU_DEP_2) | instskip(NEXT) | instid1(VALU_DEP_2)
	v_cmp_eq_u64_e64 s10, v[96:97], v[82:83]
	v_mov_b64_e32 v[82:83], v[80:81]
	s_and_saveexec_b32 s41, s10
; %bb.2426:                             ;   in Loop: Header=BB2_2268 Depth=2
	v_bfe_u32 v34, v80, 21, 1
	s_delay_alu instid0(VALU_DEP_1) | instskip(NEXT) | instid1(VALU_DEP_1)
	v_add_nc_u64_e32 v[82:83], v[80:81], v[34:35]
	v_add_nc_u64_e32 v[82:83], -1, v[82:83]
; %bb.2427:                             ;   in Loop: Header=BB2_2268 Depth=2
	s_or_b32 exec_lo, exec_lo, s41
	v_add_nc_u32_e32 v34, 0xffffff81, v85
	v_lshrrev_b32_e32 v81, 23, v80
	s_mov_b32 s10, exec_lo
	s_delay_alu instid0(VALU_DEP_2) | instskip(NEXT) | instid1(VALU_DEP_1)
	v_cndmask_b32_e64 v34, v34, 0xffffff82, vcc_lo
	v_add3_u32 v83, v86, v34, v81
	v_and_b32_e32 v34, 0x1fffff, v82
                                        ; implicit-def: $vgpr82
	s_delay_alu instid0(VALU_DEP_1) | instskip(NEXT) | instid1(VALU_DEP_1)
	v_dual_add_nc_u32 v85, 14, v83 :: v_dual_add_nc_u32 v34, v34, v80
                                        ; implicit-def: $vgpr80_vgpr81
	v_cmpx_ne_u32_e32 0, v85
	s_xor_b32 s10, exec_lo, s10
; %bb.2428:                             ;   in Loop: Header=BB2_2268 Depth=2
	s_delay_alu instid0(VALU_DEP_2) | instskip(SKIP_1) | instid1(VALU_DEP_1)
	v_cmp_lt_u64_e32 vcc_lo, 0xffffff, v[34:35]
	v_add_nc_u32_e32 v80, 15, v83
	v_cndmask_b32_e32 v82, v85, v80, vcc_lo
	v_cndmask_b32_e64 v80, 0, 1, vcc_lo
	s_delay_alu instid0(VALU_DEP_1)
	v_lshrrev_b64 v[80:81], v80, v[34:35]
; %bb.2429:                             ;   in Loop: Header=BB2_2268 Depth=2
	s_and_not1_saveexec_b32 s10, s10
; %bb.2430:                             ;   in Loop: Header=BB2_2268 Depth=2
	v_mov_b64_e32 v[80:81], v[34:35]
	v_bfe_u32 v82, v34, 23, 1
; %bb.2431:                             ;   in Loop: Header=BB2_2268 Depth=2
	s_or_b32 exec_lo, exec_lo, s10
	s_delay_alu instid0(VALU_DEP_2) | instskip(NEXT) | instid1(VALU_DEP_2)
	v_lshrrev_b64 v[80:81], 21, v[80:81]
	v_cmp_gt_i32_e32 vcc_lo, 32, v82
	v_cmp_ne_u32_e64 s10, 0, v82
                                        ; implicit-def: $vgpr96
	s_delay_alu instid0(VALU_DEP_3) | instskip(NEXT) | instid1(VALU_DEP_1)
	v_dual_cndmask_b32 v81, 0, v81 :: v_dual_cndmask_b32 v80, 3, v80
	v_cmp_ne_u64_e32 vcc_lo, 0, v[80:81]
	s_or_b32 s10, s10, vcc_lo
	s_delay_alu instid0(SALU_CYCLE_1) | instskip(NEXT) | instid1(SALU_CYCLE_1)
	s_and_saveexec_b32 s41, s10
	s_xor_b32 s10, exec_lo, s41
; %bb.2432:                             ;   in Loop: Header=BB2_2268 Depth=2
	v_min_i32_e32 v34, 31, v82
	s_delay_alu instid0(VALU_DEP_1) | instskip(NEXT) | instid1(VALU_DEP_1)
	v_lshl_or_b32 v34, v34, 2, v84
                                        ; implicit-def: $vgpr84
	v_and_or_b32 v96, v80, 3, v34
; %bb.2433:                             ;   in Loop: Header=BB2_2268 Depth=2
	s_and_not1_saveexec_b32 s10, s10
; %bb.2434:                             ;   in Loop: Header=BB2_2268 Depth=2
	v_mov_b32_e32 v96, v84
; %bb.2435:                             ;   in Loop: Header=BB2_2268 Depth=2
	s_or_b32 exec_lo, exec_lo, s10
.LBB2_2436:                             ;   in Loop: Header=BB2_2268 Depth=2
	s_delay_alu instid0(SALU_CYCLE_1)
	s_or_b32 exec_lo, exec_lo, s40
                                        ; implicit-def: $vgpr84
.LBB2_2437:                             ;   in Loop: Header=BB2_2268 Depth=2
	s_and_not1_saveexec_b32 s10, s29
; %bb.2438:                             ;   in Loop: Header=BB2_2268 Depth=2
	v_or_b32_e32 v96, 0x7b, v84
; %bb.2439:                             ;   in Loop: Header=BB2_2268 Depth=2
	s_or_b32 exec_lo, exec_lo, s10
                                        ; implicit-def: $vgpr80
.LBB2_2440:                             ;   in Loop: Header=BB2_2268 Depth=2
	s_and_not1_saveexec_b32 s10, s11
	s_cbranch_execz .LBB2_2446
; %bb.2441:                             ;   in Loop: Header=BB2_2268 Depth=2
	s_mov_b32 s11, exec_lo
                                        ; implicit-def: $vgpr96
	v_cmpx_ne_u64_e32 0, v[34:35]
	s_xor_b32 s11, exec_lo, s11
; %bb.2442:                             ;   in Loop: Header=BB2_2268 Depth=2
	v_lshrrev_b32_e32 v34, 24, v80
                                        ; implicit-def: $vgpr80
	s_delay_alu instid0(VALU_DEP_1)
	v_or_b32_e32 v96, 0x7f, v34
; %bb.2443:                             ;   in Loop: Header=BB2_2268 Depth=2
	s_and_not1_saveexec_b32 s11, s11
; %bb.2444:                             ;   in Loop: Header=BB2_2268 Depth=2
	v_cmp_lt_i32_e32 vcc_lo, -1, v80
	v_cndmask_b32_e64 v96, -4, 0x7c, vcc_lo
; %bb.2445:                             ;   in Loop: Header=BB2_2268 Depth=2
	s_or_b32 exec_lo, exec_lo, s11
.LBB2_2446:                             ;   in Loop: Header=BB2_2268 Depth=2
	s_delay_alu instid0(SALU_CYCLE_1)
	s_or_b32 exec_lo, exec_lo, s10
	flat_load_i8 v34, v[10:11] offset:160 th:TH_LOAD_NT
	v_mov_b32_e32 v81, 0
	s_mov_b32 s10, exec_lo
	s_wait_loadcnt_dscnt 0x0
	v_cmpx_ne_u16_e32 0, v34
	s_cbranch_execz .LBB2_2456
; %bb.2447:                             ;   in Loop: Header=BB2_2268 Depth=2
	v_bfrev_b32_e32 v81, 1
	s_mov_b32 s11, exec_lo
	v_cmpx_ne_u16_e32 0xff80, v34
	s_cbranch_execz .LBB2_2455
; %bb.2448:                             ;   in Loop: Header=BB2_2268 Depth=2
	v_and_b32_e32 v81, 0x7c, v34
	v_and_b32_e32 v80, 3, v34
	s_delay_alu instid0(VALU_DEP_2) | instskip(SKIP_1) | instid1(SALU_CYCLE_1)
	v_cmp_ne_u32_e32 vcc_lo, 0x7c, v81
                                        ; implicit-def: $vgpr81
	s_and_saveexec_b32 s29, vcc_lo
	s_xor_b32 s29, exec_lo, s29
	s_cbranch_execz .LBB2_2452
; %bb.2449:                             ;   in Loop: Header=BB2_2268 Depth=2
	v_and_b32_e32 v81, 0xff, v34
	s_mov_b32 s40, exec_lo
	s_delay_alu instid0(VALU_DEP_1) | instskip(NEXT) | instid1(VALU_DEP_1)
	v_bfe_u32 v81, v81, 2, 5
	v_cmpx_eq_u32_e32 0, v81
; %bb.2450:                             ;   in Loop: Header=BB2_2268 Depth=2
	v_clz_i32_u32_e32 v80, v80
	s_delay_alu instid0(VALU_DEP_1) | instskip(NEXT) | instid1(VALU_DEP_1)
	v_min_u32_e32 v82, 32, v80
	v_subrev_nc_u32_e32 v80, 29, v82
	s_delay_alu instid0(VALU_DEP_1) | instskip(NEXT) | instid1(VALU_DEP_1)
	v_lshlrev_b64_e32 v[80:81], v80, v[34:35]
	v_dual_sub_nc_u32 v81, 30, v82 :: v_dual_bitop2_b32 v80, 3, v80 bitop3:0x40
; %bb.2451:                             ;   in Loop: Header=BB2_2268 Depth=2
	s_or_b32 exec_lo, exec_lo, s40
	v_bfe_i32 v34, v34, 0, 16
	s_delay_alu instid0(VALU_DEP_1) | instskip(NEXT) | instid1(VALU_DEP_1)
	v_and_b32_e32 v34, 0x80000000, v34
	v_lshl_add_u32 v34, v81, 23, v34
	s_delay_alu instid0(VALU_DEP_1) | instskip(NEXT) | instid1(VALU_DEP_1)
	v_lshl_or_b32 v34, v80, 21, v34
                                        ; implicit-def: $vgpr80
	v_add_nc_u32_e32 v81, 0x38000000, v34
.LBB2_2452:                             ;   in Loop: Header=BB2_2268 Depth=2
	s_and_not1_saveexec_b32 s29, s29
; %bb.2453:                             ;   in Loop: Header=BB2_2268 Depth=2
	v_cmp_lt_i16_e32 vcc_lo, -1, v34
	v_cndmask_b32_e32 v34, 0xff800000, v62, vcc_lo
	v_cmp_eq_u32_e32 vcc_lo, 0, v80
	s_delay_alu instid0(VALU_DEP_2)
	v_cndmask_b32_e32 v81, 0x7f800001, v34, vcc_lo
; %bb.2454:                             ;   in Loop: Header=BB2_2268 Depth=2
	s_or_b32 exec_lo, exec_lo, s29
.LBB2_2455:                             ;   in Loop: Header=BB2_2268 Depth=2
	s_delay_alu instid0(SALU_CYCLE_1)
	s_or_b32 exec_lo, exec_lo, s11
.LBB2_2456:                             ;   in Loop: Header=BB2_2268 Depth=2
	s_delay_alu instid0(SALU_CYCLE_1) | instskip(NEXT) | instid1(VALU_DEP_1)
	s_or_b32 exec_lo, exec_lo, s10
	v_dual_mul_f32 v80, s28, v81 :: v_dual_mov_b32 v83, v35
                                        ; implicit-def: $vgpr86
	s_mov_b32 s10, exec_lo
	s_delay_alu instid0(VALU_DEP_1) | instskip(SKIP_1) | instid1(VALU_DEP_2)
	v_and_b32_e32 v82, 0x7f800000, v80
	v_and_b32_e32 v34, 0x7fffff, v80
	v_cmpx_ne_u64_e32 0x7f800000, v[82:83]
	s_xor_b32 s11, exec_lo, s10
	s_cbranch_execz .LBB2_2474
; %bb.2457:                             ;   in Loop: Header=BB2_2268 Depth=2
	v_dual_mov_b32 v83, v35 :: v_dual_lshrrev_b32 v81, 24, v80
	v_and_b32_e32 v82, 0x7fffffff, v80
                                        ; implicit-def: $vgpr86
	s_mov_b32 s10, exec_lo
	s_delay_alu instid0(VALU_DEP_2) | instskip(NEXT) | instid1(VALU_DEP_2)
	v_and_b32_e32 v84, 0x80, v81
	v_cmpx_gt_u64_e32 0x47600001, v[82:83]
	s_xor_b32 s29, exec_lo, s10
	s_cbranch_execz .LBB2_2471
; %bb.2458:                             ;   in Loop: Header=BB2_2268 Depth=2
	v_mov_b32_e32 v86, 0
	s_mov_b32 s40, exec_lo
	v_cmpx_ne_u32_e32 0, v80
	s_cbranch_execz .LBB2_2470
; %bb.2459:                             ;   in Loop: Header=BB2_2268 Depth=2
	v_bfe_u32 v85, v80, 23, 8
	v_or_b32_e32 v82, 0x800000, v34
	s_delay_alu instid0(VALU_DEP_2) | instskip(SKIP_1) | instid1(VALU_DEP_2)
	v_sub_nc_u32_e32 v80, 0x71, v85
	v_cmp_gt_u32_e32 vcc_lo, 0x72, v85
	v_cndmask_b32_e32 v80, 0, v80, vcc_lo
	v_cmp_eq_u32_e32 vcc_lo, 0, v85
	s_delay_alu instid0(VALU_DEP_2) | instskip(SKIP_1) | instid1(VALU_DEP_2)
	v_cndmask_b32_e64 v86, v80, 0x70, vcc_lo
	v_cndmask_b32_e32 v34, v82, v34, vcc_lo
	v_dual_add_nc_u32 v80, 21, v86 :: v_dual_add_nc_u32 v83, 20, v86
	s_delay_alu instid0(VALU_DEP_1) | instskip(NEXT) | instid1(VALU_DEP_2)
	v_lshlrev_b64_e64 v[80:81], v80, -1
	v_lshlrev_b64_e64 v[82:83], v83, 1
	s_delay_alu instid0(VALU_DEP_2) | instskip(NEXT) | instid1(VALU_DEP_3)
	v_bfi_b32 v101, v81, 0, 0
	v_bfi_b32 v100, v80, 0, v34
	v_lshrrev_b64 v[80:81], v86, v[34:35]
	s_delay_alu instid0(VALU_DEP_2) | instskip(NEXT) | instid1(VALU_DEP_2)
	v_cmp_eq_u64_e64 s10, v[100:101], v[82:83]
	v_mov_b64_e32 v[82:83], v[80:81]
	s_and_saveexec_b32 s41, s10
; %bb.2460:                             ;   in Loop: Header=BB2_2268 Depth=2
	v_bfe_u32 v34, v80, 21, 1
	s_delay_alu instid0(VALU_DEP_1) | instskip(NEXT) | instid1(VALU_DEP_1)
	v_add_nc_u64_e32 v[82:83], v[80:81], v[34:35]
	v_add_nc_u64_e32 v[82:83], -1, v[82:83]
; %bb.2461:                             ;   in Loop: Header=BB2_2268 Depth=2
	s_or_b32 exec_lo, exec_lo, s41
	v_add_nc_u32_e32 v34, 0xffffff81, v85
	v_lshrrev_b32_e32 v81, 23, v80
	s_mov_b32 s10, exec_lo
	s_delay_alu instid0(VALU_DEP_2) | instskip(NEXT) | instid1(VALU_DEP_1)
	v_cndmask_b32_e64 v34, v34, 0xffffff82, vcc_lo
	v_add3_u32 v83, v86, v34, v81
	v_and_b32_e32 v34, 0x1fffff, v82
                                        ; implicit-def: $vgpr82
	s_delay_alu instid0(VALU_DEP_1) | instskip(NEXT) | instid1(VALU_DEP_1)
	v_dual_add_nc_u32 v85, 14, v83 :: v_dual_add_nc_u32 v34, v34, v80
                                        ; implicit-def: $vgpr80_vgpr81
	v_cmpx_ne_u32_e32 0, v85
	s_xor_b32 s10, exec_lo, s10
; %bb.2462:                             ;   in Loop: Header=BB2_2268 Depth=2
	s_delay_alu instid0(VALU_DEP_2) | instskip(SKIP_1) | instid1(VALU_DEP_1)
	v_cmp_lt_u64_e32 vcc_lo, 0xffffff, v[34:35]
	v_add_nc_u32_e32 v80, 15, v83
	v_cndmask_b32_e32 v82, v85, v80, vcc_lo
	v_cndmask_b32_e64 v80, 0, 1, vcc_lo
	s_delay_alu instid0(VALU_DEP_1)
	v_lshrrev_b64 v[80:81], v80, v[34:35]
; %bb.2463:                             ;   in Loop: Header=BB2_2268 Depth=2
	s_and_not1_saveexec_b32 s10, s10
; %bb.2464:                             ;   in Loop: Header=BB2_2268 Depth=2
	v_mov_b64_e32 v[80:81], v[34:35]
	v_bfe_u32 v82, v34, 23, 1
; %bb.2465:                             ;   in Loop: Header=BB2_2268 Depth=2
	s_or_b32 exec_lo, exec_lo, s10
	s_delay_alu instid0(VALU_DEP_2) | instskip(NEXT) | instid1(VALU_DEP_2)
	v_lshrrev_b64 v[80:81], 21, v[80:81]
	v_cmp_gt_i32_e32 vcc_lo, 32, v82
	v_cmp_ne_u32_e64 s10, 0, v82
                                        ; implicit-def: $vgpr86
	s_delay_alu instid0(VALU_DEP_3) | instskip(NEXT) | instid1(VALU_DEP_1)
	v_dual_cndmask_b32 v81, 0, v81 :: v_dual_cndmask_b32 v80, 3, v80
	v_cmp_ne_u64_e32 vcc_lo, 0, v[80:81]
	s_or_b32 s10, s10, vcc_lo
	s_delay_alu instid0(SALU_CYCLE_1) | instskip(NEXT) | instid1(SALU_CYCLE_1)
	s_and_saveexec_b32 s41, s10
	s_xor_b32 s10, exec_lo, s41
; %bb.2466:                             ;   in Loop: Header=BB2_2268 Depth=2
	v_min_i32_e32 v34, 31, v82
	s_delay_alu instid0(VALU_DEP_1) | instskip(NEXT) | instid1(VALU_DEP_1)
	v_lshl_or_b32 v34, v34, 2, v84
                                        ; implicit-def: $vgpr84
	v_and_or_b32 v86, v80, 3, v34
; %bb.2467:                             ;   in Loop: Header=BB2_2268 Depth=2
	s_and_not1_saveexec_b32 s10, s10
; %bb.2468:                             ;   in Loop: Header=BB2_2268 Depth=2
	v_mov_b32_e32 v86, v84
; %bb.2469:                             ;   in Loop: Header=BB2_2268 Depth=2
	s_or_b32 exec_lo, exec_lo, s10
.LBB2_2470:                             ;   in Loop: Header=BB2_2268 Depth=2
	s_delay_alu instid0(SALU_CYCLE_1)
	s_or_b32 exec_lo, exec_lo, s40
                                        ; implicit-def: $vgpr84
.LBB2_2471:                             ;   in Loop: Header=BB2_2268 Depth=2
	s_and_not1_saveexec_b32 s10, s29
; %bb.2472:                             ;   in Loop: Header=BB2_2268 Depth=2
	v_or_b32_e32 v86, 0x7b, v84
; %bb.2473:                             ;   in Loop: Header=BB2_2268 Depth=2
	s_or_b32 exec_lo, exec_lo, s10
                                        ; implicit-def: $vgpr80
.LBB2_2474:                             ;   in Loop: Header=BB2_2268 Depth=2
	s_and_not1_saveexec_b32 s10, s11
	s_cbranch_execz .LBB2_2480
; %bb.2475:                             ;   in Loop: Header=BB2_2268 Depth=2
	s_mov_b32 s11, exec_lo
                                        ; implicit-def: $vgpr86
	v_cmpx_ne_u64_e32 0, v[34:35]
	s_xor_b32 s11, exec_lo, s11
; %bb.2476:                             ;   in Loop: Header=BB2_2268 Depth=2
	v_lshrrev_b32_e32 v34, 24, v80
                                        ; implicit-def: $vgpr80
	s_delay_alu instid0(VALU_DEP_1)
	v_or_b32_e32 v86, 0x7f, v34
; %bb.2477:                             ;   in Loop: Header=BB2_2268 Depth=2
	s_and_not1_saveexec_b32 s11, s11
; %bb.2478:                             ;   in Loop: Header=BB2_2268 Depth=2
	v_cmp_lt_i32_e32 vcc_lo, -1, v80
	v_cndmask_b32_e64 v86, -4, 0x7c, vcc_lo
; %bb.2479:                             ;   in Loop: Header=BB2_2268 Depth=2
	s_or_b32 exec_lo, exec_lo, s11
.LBB2_2480:                             ;   in Loop: Header=BB2_2268 Depth=2
	s_delay_alu instid0(SALU_CYCLE_1)
	s_or_b32 exec_lo, exec_lo, s10
	flat_load_i8 v34, v[10:11] offset:192 th:TH_LOAD_NT
	v_mov_b32_e32 v81, 0
	s_mov_b32 s10, exec_lo
	s_wait_loadcnt_dscnt 0x0
	v_cmpx_ne_u16_e32 0, v34
	s_cbranch_execz .LBB2_2490
; %bb.2481:                             ;   in Loop: Header=BB2_2268 Depth=2
	v_bfrev_b32_e32 v81, 1
	s_mov_b32 s11, exec_lo
	v_cmpx_ne_u16_e32 0xff80, v34
	s_cbranch_execz .LBB2_2489
; %bb.2482:                             ;   in Loop: Header=BB2_2268 Depth=2
	v_and_b32_e32 v81, 0x7c, v34
	v_and_b32_e32 v80, 3, v34
	s_delay_alu instid0(VALU_DEP_2) | instskip(SKIP_1) | instid1(SALU_CYCLE_1)
	v_cmp_ne_u32_e32 vcc_lo, 0x7c, v81
                                        ; implicit-def: $vgpr81
	s_and_saveexec_b32 s29, vcc_lo
	s_xor_b32 s29, exec_lo, s29
	s_cbranch_execz .LBB2_2486
; %bb.2483:                             ;   in Loop: Header=BB2_2268 Depth=2
	v_and_b32_e32 v81, 0xff, v34
	s_mov_b32 s40, exec_lo
	s_delay_alu instid0(VALU_DEP_1) | instskip(NEXT) | instid1(VALU_DEP_1)
	v_bfe_u32 v81, v81, 2, 5
	v_cmpx_eq_u32_e32 0, v81
; %bb.2484:                             ;   in Loop: Header=BB2_2268 Depth=2
	v_clz_i32_u32_e32 v80, v80
	s_delay_alu instid0(VALU_DEP_1) | instskip(NEXT) | instid1(VALU_DEP_1)
	v_min_u32_e32 v82, 32, v80
	v_subrev_nc_u32_e32 v80, 29, v82
	s_delay_alu instid0(VALU_DEP_1) | instskip(NEXT) | instid1(VALU_DEP_1)
	v_lshlrev_b64_e32 v[80:81], v80, v[34:35]
	v_dual_sub_nc_u32 v81, 30, v82 :: v_dual_bitop2_b32 v80, 3, v80 bitop3:0x40
; %bb.2485:                             ;   in Loop: Header=BB2_2268 Depth=2
	s_or_b32 exec_lo, exec_lo, s40
	v_bfe_i32 v34, v34, 0, 16
	s_delay_alu instid0(VALU_DEP_1) | instskip(NEXT) | instid1(VALU_DEP_1)
	v_and_b32_e32 v34, 0x80000000, v34
	v_lshl_add_u32 v34, v81, 23, v34
	s_delay_alu instid0(VALU_DEP_1) | instskip(NEXT) | instid1(VALU_DEP_1)
	v_lshl_or_b32 v34, v80, 21, v34
                                        ; implicit-def: $vgpr80
	v_add_nc_u32_e32 v81, 0x38000000, v34
.LBB2_2486:                             ;   in Loop: Header=BB2_2268 Depth=2
	s_and_not1_saveexec_b32 s29, s29
; %bb.2487:                             ;   in Loop: Header=BB2_2268 Depth=2
	v_cmp_lt_i16_e32 vcc_lo, -1, v34
	v_cndmask_b32_e32 v34, 0xff800000, v62, vcc_lo
	v_cmp_eq_u32_e32 vcc_lo, 0, v80
	s_delay_alu instid0(VALU_DEP_2)
	v_cndmask_b32_e32 v81, 0x7f800001, v34, vcc_lo
; %bb.2488:                             ;   in Loop: Header=BB2_2268 Depth=2
	s_or_b32 exec_lo, exec_lo, s29
.LBB2_2489:                             ;   in Loop: Header=BB2_2268 Depth=2
	s_delay_alu instid0(SALU_CYCLE_1)
	s_or_b32 exec_lo, exec_lo, s11
.LBB2_2490:                             ;   in Loop: Header=BB2_2268 Depth=2
	s_delay_alu instid0(SALU_CYCLE_1) | instskip(NEXT) | instid1(VALU_DEP_1)
	s_or_b32 exec_lo, exec_lo, s10
	v_dual_mul_f32 v80, s28, v81 :: v_dual_mov_b32 v83, v35
                                        ; implicit-def: $vgpr84
	s_mov_b32 s10, exec_lo
	s_delay_alu instid0(VALU_DEP_1) | instskip(SKIP_1) | instid1(VALU_DEP_2)
	v_and_b32_e32 v82, 0x7f800000, v80
	v_and_b32_e32 v34, 0x7fffff, v80
	v_cmpx_ne_u64_e32 0x7f800000, v[82:83]
	s_xor_b32 s11, exec_lo, s10
	s_cbranch_execz .LBB2_2508
; %bb.2491:                             ;   in Loop: Header=BB2_2268 Depth=2
	v_dual_mov_b32 v83, v35 :: v_dual_lshrrev_b32 v81, 24, v80
	v_and_b32_e32 v82, 0x7fffffff, v80
                                        ; implicit-def: $vgpr84
	s_mov_b32 s10, exec_lo
	s_delay_alu instid0(VALU_DEP_2) | instskip(NEXT) | instid1(VALU_DEP_2)
	v_and_b32_e32 v85, 0x80, v81
	v_cmpx_gt_u64_e32 0x47600001, v[82:83]
	s_xor_b32 s29, exec_lo, s10
	s_cbranch_execz .LBB2_2505
; %bb.2492:                             ;   in Loop: Header=BB2_2268 Depth=2
	v_mov_b32_e32 v84, 0
	s_mov_b32 s40, exec_lo
	v_cmpx_ne_u32_e32 0, v80
	s_cbranch_execz .LBB2_2504
; %bb.2493:                             ;   in Loop: Header=BB2_2268 Depth=2
	v_bfe_u32 v84, v80, 23, 8
	v_or_b32_e32 v82, 0x800000, v34
	s_delay_alu instid0(VALU_DEP_2) | instskip(SKIP_1) | instid1(VALU_DEP_2)
	v_sub_nc_u32_e32 v80, 0x71, v84
	v_cmp_gt_u32_e32 vcc_lo, 0x72, v84
	v_cndmask_b32_e32 v80, 0, v80, vcc_lo
	v_cmp_eq_u32_e32 vcc_lo, 0, v84
	s_delay_alu instid0(VALU_DEP_2) | instskip(NEXT) | instid1(VALU_DEP_1)
	v_cndmask_b32_e64 v87, v80, 0x70, vcc_lo
	v_dual_cndmask_b32 v34, v82, v34, vcc_lo :: v_dual_add_nc_u32 v80, 21, v87
	v_add_nc_u32_e32 v83, 20, v87
	s_delay_alu instid0(VALU_DEP_2) | instskip(NEXT) | instid1(VALU_DEP_2)
	v_lshlrev_b64_e64 v[80:81], v80, -1
	v_lshlrev_b64_e64 v[82:83], v83, 1
	s_delay_alu instid0(VALU_DEP_2) | instskip(NEXT) | instid1(VALU_DEP_3)
	v_bfi_b32 v101, v81, 0, 0
	v_bfi_b32 v100, v80, 0, v34
	v_lshrrev_b64 v[80:81], v87, v[34:35]
	s_delay_alu instid0(VALU_DEP_2) | instskip(NEXT) | instid1(VALU_DEP_2)
	v_cmp_eq_u64_e64 s10, v[100:101], v[82:83]
	v_mov_b64_e32 v[82:83], v[80:81]
	s_and_saveexec_b32 s41, s10
; %bb.2494:                             ;   in Loop: Header=BB2_2268 Depth=2
	v_bfe_u32 v34, v80, 21, 1
	s_delay_alu instid0(VALU_DEP_1) | instskip(NEXT) | instid1(VALU_DEP_1)
	v_add_nc_u64_e32 v[82:83], v[80:81], v[34:35]
	v_add_nc_u64_e32 v[82:83], -1, v[82:83]
; %bb.2495:                             ;   in Loop: Header=BB2_2268 Depth=2
	s_or_b32 exec_lo, exec_lo, s41
	v_add_nc_u32_e32 v34, 0xffffff81, v84
	v_lshrrev_b32_e32 v81, 23, v80
	s_mov_b32 s10, exec_lo
	s_delay_alu instid0(VALU_DEP_2) | instskip(NEXT) | instid1(VALU_DEP_1)
	v_cndmask_b32_e64 v34, v34, 0xffffff82, vcc_lo
	v_add3_u32 v83, v87, v34, v81
	v_and_b32_e32 v34, 0x1fffff, v82
                                        ; implicit-def: $vgpr82
	s_delay_alu instid0(VALU_DEP_1) | instskip(NEXT) | instid1(VALU_DEP_1)
	v_dual_add_nc_u32 v84, 14, v83 :: v_dual_add_nc_u32 v34, v34, v80
                                        ; implicit-def: $vgpr80_vgpr81
	v_cmpx_ne_u32_e32 0, v84
	s_xor_b32 s10, exec_lo, s10
; %bb.2496:                             ;   in Loop: Header=BB2_2268 Depth=2
	s_delay_alu instid0(VALU_DEP_2) | instskip(SKIP_1) | instid1(VALU_DEP_1)
	v_cmp_lt_u64_e32 vcc_lo, 0xffffff, v[34:35]
	v_add_nc_u32_e32 v80, 15, v83
	v_cndmask_b32_e32 v82, v84, v80, vcc_lo
	v_cndmask_b32_e64 v80, 0, 1, vcc_lo
	s_delay_alu instid0(VALU_DEP_1)
	v_lshrrev_b64 v[80:81], v80, v[34:35]
; %bb.2497:                             ;   in Loop: Header=BB2_2268 Depth=2
	s_and_not1_saveexec_b32 s10, s10
; %bb.2498:                             ;   in Loop: Header=BB2_2268 Depth=2
	v_mov_b64_e32 v[80:81], v[34:35]
	v_bfe_u32 v82, v34, 23, 1
; %bb.2499:                             ;   in Loop: Header=BB2_2268 Depth=2
	s_or_b32 exec_lo, exec_lo, s10
	s_delay_alu instid0(VALU_DEP_2) | instskip(NEXT) | instid1(VALU_DEP_2)
	v_lshrrev_b64 v[80:81], 21, v[80:81]
	v_cmp_gt_i32_e32 vcc_lo, 32, v82
	v_cmp_ne_u32_e64 s10, 0, v82
                                        ; implicit-def: $vgpr84
	s_delay_alu instid0(VALU_DEP_3) | instskip(NEXT) | instid1(VALU_DEP_1)
	v_dual_cndmask_b32 v81, 0, v81 :: v_dual_cndmask_b32 v80, 3, v80
	v_cmp_ne_u64_e32 vcc_lo, 0, v[80:81]
	s_or_b32 s10, s10, vcc_lo
	s_delay_alu instid0(SALU_CYCLE_1) | instskip(NEXT) | instid1(SALU_CYCLE_1)
	s_and_saveexec_b32 s41, s10
	s_xor_b32 s10, exec_lo, s41
; %bb.2500:                             ;   in Loop: Header=BB2_2268 Depth=2
	v_min_i32_e32 v34, 31, v82
	s_delay_alu instid0(VALU_DEP_1) | instskip(NEXT) | instid1(VALU_DEP_1)
	v_lshl_or_b32 v34, v34, 2, v85
                                        ; implicit-def: $vgpr85
	v_and_or_b32 v84, v80, 3, v34
; %bb.2501:                             ;   in Loop: Header=BB2_2268 Depth=2
	s_and_not1_saveexec_b32 s10, s10
; %bb.2502:                             ;   in Loop: Header=BB2_2268 Depth=2
	v_mov_b32_e32 v84, v85
; %bb.2503:                             ;   in Loop: Header=BB2_2268 Depth=2
	s_or_b32 exec_lo, exec_lo, s10
.LBB2_2504:                             ;   in Loop: Header=BB2_2268 Depth=2
	s_delay_alu instid0(SALU_CYCLE_1)
	s_or_b32 exec_lo, exec_lo, s40
                                        ; implicit-def: $vgpr85
.LBB2_2505:                             ;   in Loop: Header=BB2_2268 Depth=2
	s_and_not1_saveexec_b32 s10, s29
; %bb.2506:                             ;   in Loop: Header=BB2_2268 Depth=2
	v_or_b32_e32 v84, 0x7b, v85
; %bb.2507:                             ;   in Loop: Header=BB2_2268 Depth=2
	s_or_b32 exec_lo, exec_lo, s10
                                        ; implicit-def: $vgpr80
.LBB2_2508:                             ;   in Loop: Header=BB2_2268 Depth=2
	s_and_not1_saveexec_b32 s10, s11
	s_cbranch_execz .LBB2_2514
; %bb.2509:                             ;   in Loop: Header=BB2_2268 Depth=2
	s_mov_b32 s11, exec_lo
                                        ; implicit-def: $vgpr84
	v_cmpx_ne_u64_e32 0, v[34:35]
	s_xor_b32 s11, exec_lo, s11
; %bb.2510:                             ;   in Loop: Header=BB2_2268 Depth=2
	v_lshrrev_b32_e32 v34, 24, v80
                                        ; implicit-def: $vgpr80
	s_delay_alu instid0(VALU_DEP_1)
	v_or_b32_e32 v84, 0x7f, v34
; %bb.2511:                             ;   in Loop: Header=BB2_2268 Depth=2
	s_and_not1_saveexec_b32 s11, s11
; %bb.2512:                             ;   in Loop: Header=BB2_2268 Depth=2
	v_cmp_lt_i32_e32 vcc_lo, -1, v80
	v_cndmask_b32_e64 v84, -4, 0x7c, vcc_lo
; %bb.2513:                             ;   in Loop: Header=BB2_2268 Depth=2
	s_or_b32 exec_lo, exec_lo, s11
.LBB2_2514:                             ;   in Loop: Header=BB2_2268 Depth=2
	s_delay_alu instid0(SALU_CYCLE_1)
	s_or_b32 exec_lo, exec_lo, s10
	flat_load_i8 v34, v[10:11] offset:224 th:TH_LOAD_NT
	v_mov_b32_e32 v81, 0
	s_mov_b32 s10, exec_lo
	s_wait_loadcnt_dscnt 0x0
	v_cmpx_ne_u16_e32 0, v34
	s_cbranch_execz .LBB2_2524
; %bb.2515:                             ;   in Loop: Header=BB2_2268 Depth=2
	v_bfrev_b32_e32 v81, 1
	s_mov_b32 s11, exec_lo
	v_cmpx_ne_u16_e32 0xff80, v34
	s_cbranch_execz .LBB2_2523
; %bb.2516:                             ;   in Loop: Header=BB2_2268 Depth=2
	v_and_b32_e32 v81, 0x7c, v34
	v_and_b32_e32 v80, 3, v34
	s_delay_alu instid0(VALU_DEP_2) | instskip(SKIP_1) | instid1(SALU_CYCLE_1)
	v_cmp_ne_u32_e32 vcc_lo, 0x7c, v81
                                        ; implicit-def: $vgpr81
	s_and_saveexec_b32 s29, vcc_lo
	s_xor_b32 s29, exec_lo, s29
	s_cbranch_execz .LBB2_2520
; %bb.2517:                             ;   in Loop: Header=BB2_2268 Depth=2
	v_and_b32_e32 v81, 0xff, v34
	s_mov_b32 s40, exec_lo
	s_delay_alu instid0(VALU_DEP_1) | instskip(NEXT) | instid1(VALU_DEP_1)
	v_bfe_u32 v81, v81, 2, 5
	v_cmpx_eq_u32_e32 0, v81
; %bb.2518:                             ;   in Loop: Header=BB2_2268 Depth=2
	v_clz_i32_u32_e32 v80, v80
	s_delay_alu instid0(VALU_DEP_1) | instskip(NEXT) | instid1(VALU_DEP_1)
	v_min_u32_e32 v82, 32, v80
	v_subrev_nc_u32_e32 v80, 29, v82
	s_delay_alu instid0(VALU_DEP_1) | instskip(NEXT) | instid1(VALU_DEP_1)
	v_lshlrev_b64_e32 v[80:81], v80, v[34:35]
	v_dual_sub_nc_u32 v81, 30, v82 :: v_dual_bitop2_b32 v80, 3, v80 bitop3:0x40
; %bb.2519:                             ;   in Loop: Header=BB2_2268 Depth=2
	s_or_b32 exec_lo, exec_lo, s40
	v_bfe_i32 v34, v34, 0, 16
	s_delay_alu instid0(VALU_DEP_1) | instskip(NEXT) | instid1(VALU_DEP_1)
	v_and_b32_e32 v34, 0x80000000, v34
	v_lshl_add_u32 v34, v81, 23, v34
	s_delay_alu instid0(VALU_DEP_1) | instskip(NEXT) | instid1(VALU_DEP_1)
	v_lshl_or_b32 v34, v80, 21, v34
                                        ; implicit-def: $vgpr80
	v_add_nc_u32_e32 v81, 0x38000000, v34
.LBB2_2520:                             ;   in Loop: Header=BB2_2268 Depth=2
	s_and_not1_saveexec_b32 s29, s29
; %bb.2521:                             ;   in Loop: Header=BB2_2268 Depth=2
	v_cmp_lt_i16_e32 vcc_lo, -1, v34
	v_cndmask_b32_e32 v34, 0xff800000, v62, vcc_lo
	v_cmp_eq_u32_e32 vcc_lo, 0, v80
	s_delay_alu instid0(VALU_DEP_2)
	v_cndmask_b32_e32 v81, 0x7f800001, v34, vcc_lo
; %bb.2522:                             ;   in Loop: Header=BB2_2268 Depth=2
	s_or_b32 exec_lo, exec_lo, s29
.LBB2_2523:                             ;   in Loop: Header=BB2_2268 Depth=2
	s_delay_alu instid0(SALU_CYCLE_1)
	s_or_b32 exec_lo, exec_lo, s11
.LBB2_2524:                             ;   in Loop: Header=BB2_2268 Depth=2
	s_delay_alu instid0(SALU_CYCLE_1) | instskip(NEXT) | instid1(VALU_DEP_1)
	s_or_b32 exec_lo, exec_lo, s10
	v_dual_mul_f32 v81, s28, v81 :: v_dual_mov_b32 v83, v35
                                        ; implicit-def: $vgpr80
	s_mov_b32 s10, exec_lo
	s_delay_alu instid0(VALU_DEP_1) | instskip(SKIP_1) | instid1(VALU_DEP_2)
	v_and_b32_e32 v82, 0x7f800000, v81
	v_and_b32_e32 v34, 0x7fffff, v81
	v_cmpx_ne_u64_e32 0x7f800000, v[82:83]
	s_xor_b32 s11, exec_lo, s10
	s_cbranch_execz .LBB2_2542
; %bb.2525:                             ;   in Loop: Header=BB2_2268 Depth=2
	v_dual_mov_b32 v83, v35 :: v_dual_lshrrev_b32 v80, 24, v81
	v_and_b32_e32 v82, 0x7fffffff, v81
	s_mov_b32 s10, exec_lo
	s_delay_alu instid0(VALU_DEP_2) | instskip(NEXT) | instid1(VALU_DEP_2)
	v_and_b32_e32 v85, 0x80, v80
                                        ; implicit-def: $vgpr80
	v_cmpx_gt_u64_e32 0x47600001, v[82:83]
	s_xor_b32 s28, exec_lo, s10
	s_cbranch_execz .LBB2_2539
; %bb.2526:                             ;   in Loop: Header=BB2_2268 Depth=2
	v_mov_b32_e32 v80, 0
	s_mov_b32 s29, exec_lo
	v_cmpx_ne_u32_e32 0, v81
	s_cbranch_execz .LBB2_2538
; %bb.2527:                             ;   in Loop: Header=BB2_2268 Depth=2
	v_bfe_u32 v87, v81, 23, 8
	v_or_b32_e32 v82, 0x800000, v34
	s_delay_alu instid0(VALU_DEP_2) | instskip(SKIP_1) | instid1(VALU_DEP_2)
	v_sub_nc_u32_e32 v80, 0x71, v87
	v_cmp_gt_u32_e32 vcc_lo, 0x72, v87
	v_cndmask_b32_e32 v80, 0, v80, vcc_lo
	v_cmp_eq_u32_e32 vcc_lo, 0, v87
	s_delay_alu instid0(VALU_DEP_2) | instskip(NEXT) | instid1(VALU_DEP_1)
	v_cndmask_b32_e64 v97, v80, 0x70, vcc_lo
	v_dual_cndmask_b32 v34, v82, v34, vcc_lo :: v_dual_add_nc_u32 v80, 21, v97
	v_add_nc_u32_e32 v83, 20, v97
	s_delay_alu instid0(VALU_DEP_2) | instskip(NEXT) | instid1(VALU_DEP_2)
	v_lshlrev_b64_e64 v[80:81], v80, -1
	v_lshlrev_b64_e64 v[82:83], v83, 1
	s_delay_alu instid0(VALU_DEP_2) | instskip(NEXT) | instid1(VALU_DEP_3)
	v_bfi_b32 v101, v81, 0, 0
	v_bfi_b32 v100, v80, 0, v34
	v_lshrrev_b64 v[80:81], v97, v[34:35]
	s_delay_alu instid0(VALU_DEP_2) | instskip(NEXT) | instid1(VALU_DEP_2)
	v_cmp_eq_u64_e64 s10, v[100:101], v[82:83]
	v_mov_b64_e32 v[82:83], v[80:81]
	s_and_saveexec_b32 s40, s10
; %bb.2528:                             ;   in Loop: Header=BB2_2268 Depth=2
	v_bfe_u32 v34, v80, 21, 1
	s_delay_alu instid0(VALU_DEP_1) | instskip(NEXT) | instid1(VALU_DEP_1)
	v_add_nc_u64_e32 v[82:83], v[80:81], v[34:35]
	v_add_nc_u64_e32 v[82:83], -1, v[82:83]
; %bb.2529:                             ;   in Loop: Header=BB2_2268 Depth=2
	s_or_b32 exec_lo, exec_lo, s40
	v_add_nc_u32_e32 v34, 0xffffff81, v87
	v_lshrrev_b32_e32 v81, 23, v80
	s_mov_b32 s10, exec_lo
                                        ; implicit-def: $vgpr87
	s_delay_alu instid0(VALU_DEP_2) | instskip(NEXT) | instid1(VALU_DEP_1)
	v_cndmask_b32_e64 v34, v34, 0xffffff82, vcc_lo
	v_add3_u32 v83, v97, v34, v81
	v_and_b32_e32 v34, 0x1fffff, v82
	s_delay_alu instid0(VALU_DEP_1) | instskip(NEXT) | instid1(VALU_DEP_1)
	v_dual_add_nc_u32 v82, 14, v83 :: v_dual_add_nc_u32 v34, v34, v80
                                        ; implicit-def: $vgpr80_vgpr81
	v_cmpx_ne_u32_e32 0, v82
	s_xor_b32 s10, exec_lo, s10
; %bb.2530:                             ;   in Loop: Header=BB2_2268 Depth=2
	s_delay_alu instid0(VALU_DEP_2) | instskip(SKIP_1) | instid1(VALU_DEP_1)
	v_cmp_lt_u64_e32 vcc_lo, 0xffffff, v[34:35]
	v_add_nc_u32_e32 v80, 15, v83
	v_cndmask_b32_e32 v87, v82, v80, vcc_lo
	v_cndmask_b32_e64 v80, 0, 1, vcc_lo
	s_delay_alu instid0(VALU_DEP_1)
	v_lshrrev_b64 v[80:81], v80, v[34:35]
; %bb.2531:                             ;   in Loop: Header=BB2_2268 Depth=2
	s_and_not1_saveexec_b32 s10, s10
; %bb.2532:                             ;   in Loop: Header=BB2_2268 Depth=2
	v_mov_b64_e32 v[80:81], v[34:35]
	v_bfe_u32 v87, v34, 23, 1
; %bb.2533:                             ;   in Loop: Header=BB2_2268 Depth=2
	s_or_b32 exec_lo, exec_lo, s10
	s_delay_alu instid0(VALU_DEP_2) | instskip(NEXT) | instid1(VALU_DEP_2)
	v_lshrrev_b64 v[80:81], 21, v[80:81]
	v_cmp_gt_i32_e32 vcc_lo, 32, v87
	v_cmp_ne_u32_e64 s10, 0, v87
	s_delay_alu instid0(VALU_DEP_3) | instskip(NEXT) | instid1(VALU_DEP_1)
	v_dual_cndmask_b32 v83, 0, v81 :: v_dual_cndmask_b32 v82, 3, v80
                                        ; implicit-def: $vgpr80
	v_cmp_ne_u64_e32 vcc_lo, 0, v[82:83]
	s_or_b32 s10, s10, vcc_lo
	s_delay_alu instid0(SALU_CYCLE_1) | instskip(NEXT) | instid1(SALU_CYCLE_1)
	s_and_saveexec_b32 s40, s10
	s_xor_b32 s10, exec_lo, s40
; %bb.2534:                             ;   in Loop: Header=BB2_2268 Depth=2
	v_min_i32_e32 v34, 31, v87
	s_delay_alu instid0(VALU_DEP_1) | instskip(NEXT) | instid1(VALU_DEP_1)
	v_lshl_or_b32 v34, v34, 2, v85
                                        ; implicit-def: $vgpr85
	v_and_or_b32 v80, v82, 3, v34
; %bb.2535:                             ;   in Loop: Header=BB2_2268 Depth=2
	s_and_not1_saveexec_b32 s10, s10
; %bb.2536:                             ;   in Loop: Header=BB2_2268 Depth=2
	v_mov_b32_e32 v80, v85
; %bb.2537:                             ;   in Loop: Header=BB2_2268 Depth=2
	s_or_b32 exec_lo, exec_lo, s10
.LBB2_2538:                             ;   in Loop: Header=BB2_2268 Depth=2
	s_delay_alu instid0(SALU_CYCLE_1)
	s_or_b32 exec_lo, exec_lo, s29
                                        ; implicit-def: $vgpr85
.LBB2_2539:                             ;   in Loop: Header=BB2_2268 Depth=2
	s_and_not1_saveexec_b32 s10, s28
; %bb.2540:                             ;   in Loop: Header=BB2_2268 Depth=2
	v_or_b32_e32 v80, 0x7b, v85
; %bb.2541:                             ;   in Loop: Header=BB2_2268 Depth=2
	s_or_b32 exec_lo, exec_lo, s10
                                        ; implicit-def: $vgpr81
.LBB2_2542:                             ;   in Loop: Header=BB2_2268 Depth=2
	s_and_not1_saveexec_b32 s10, s11
	s_cbranch_execz .LBB2_2548
; %bb.2543:                             ;   in Loop: Header=BB2_2268 Depth=2
	s_mov_b32 s11, exec_lo
                                        ; implicit-def: $vgpr80
	v_cmpx_ne_u64_e32 0, v[34:35]
	s_xor_b32 s11, exec_lo, s11
; %bb.2544:                             ;   in Loop: Header=BB2_2268 Depth=2
	v_lshrrev_b32_e32 v34, 24, v81
                                        ; implicit-def: $vgpr81
	s_delay_alu instid0(VALU_DEP_1)
	v_or_b32_e32 v80, 0x7f, v34
; %bb.2545:                             ;   in Loop: Header=BB2_2268 Depth=2
	s_and_not1_saveexec_b32 s11, s11
; %bb.2546:                             ;   in Loop: Header=BB2_2268 Depth=2
	v_cmp_lt_i32_e32 vcc_lo, -1, v81
	v_cndmask_b32_e64 v80, -4, 0x7c, vcc_lo
; %bb.2547:                             ;   in Loop: Header=BB2_2268 Depth=2
	s_or_b32 exec_lo, exec_lo, s11
.LBB2_2548:                             ;   in Loop: Header=BB2_2268 Depth=2
	s_delay_alu instid0(SALU_CYCLE_1)
	s_or_b32 exec_lo, exec_lo, s10
	s_clause 0x7
	flat_load_i8 v34, v[12:13] th:TH_LOAD_NT
	flat_load_i8 v44, v[12:13] offset:32 th:TH_LOAD_NT
	flat_load_i8 v42, v[12:13] offset:64 th:TH_LOAD_NT
	;; [unrolled: 1-line block ×7, first 2 shown]
	v_and_b32_e32 v87, 0xff, v114
	v_dual_mov_b32 v81, 0 :: v_dual_mov_b32 v83, 0
	s_mov_b32 s10, exec_lo
	s_wait_xcnt 0x0
	s_delay_alu instid0(VALU_DEP_2)
	v_cmpx_ne_u16_e32 0, v87
	s_cbranch_execz .LBB2_2558
; %bb.2549:                             ;   in Loop: Header=BB2_2268 Depth=2
	v_bfrev_b32_e32 v83, 1
	s_mov_b32 s11, exec_lo
	v_cmpx_ne_u16_e32 0x80, v87
	s_cbranch_execz .LBB2_2557
; %bb.2550:                             ;   in Loop: Header=BB2_2268 Depth=2
	v_and_b32_e32 v83, 0x7c, v114
	v_and_b32_e32 v85, 3, v114
	s_delay_alu instid0(VALU_DEP_2) | instskip(SKIP_1) | instid1(SALU_CYCLE_1)
	v_cmp_ne_u32_e32 vcc_lo, 0x7c, v83
                                        ; implicit-def: $vgpr83
	s_and_saveexec_b32 s28, vcc_lo
	s_xor_b32 s28, exec_lo, s28
	s_cbranch_execz .LBB2_2554
; %bb.2551:                             ;   in Loop: Header=BB2_2268 Depth=2
	v_bfe_u32 v83, v87, 2, 5
	s_mov_b32 s29, exec_lo
	s_delay_alu instid0(VALU_DEP_1)
	v_cmpx_eq_u32_e32 0, v83
	s_cbranch_execz .LBB2_2553
; %bb.2552:                             ;   in Loop: Header=BB2_2268 Depth=2
	v_clz_i32_u32_e32 v83, v85
	s_delay_alu instid0(VALU_DEP_1) | instskip(SKIP_1) | instid1(VALU_DEP_2)
	v_min_u32_e32 v83, 32, v83
	v_mov_b32_e32 v115, v35
	v_subrev_nc_u32_e32 v85, 29, v83
	v_sub_nc_u32_e32 v83, 30, v83
	s_delay_alu instid0(VALU_DEP_2) | instskip(NEXT) | instid1(VALU_DEP_1)
	v_lshlrev_b64_e32 v[46:47], v85, v[114:115]
	v_and_b32_e32 v85, 3, v46
.LBB2_2553:                             ;   in Loop: Header=BB2_2268 Depth=2
	s_or_b32 exec_lo, exec_lo, s29
	v_lshlrev_b32_e32 v87, 24, v114
                                        ; implicit-def: $vgpr114
	s_delay_alu instid0(VALU_DEP_1) | instskip(NEXT) | instid1(VALU_DEP_1)
	v_and_b32_e32 v87, 0x80000000, v87
	v_lshl_add_u32 v83, v83, 23, v87
	s_delay_alu instid0(VALU_DEP_1) | instskip(NEXT) | instid1(VALU_DEP_1)
	v_lshl_or_b32 v83, v85, 21, v83
                                        ; implicit-def: $vgpr85
	v_add_nc_u32_e32 v83, 0x38000000, v83
.LBB2_2554:                             ;   in Loop: Header=BB2_2268 Depth=2
	s_and_not1_saveexec_b32 s28, s28
; %bb.2555:                             ;   in Loop: Header=BB2_2268 Depth=2
	v_bfe_i32 v83, v114, 0, 8
	s_delay_alu instid0(VALU_DEP_1) | instskip(SKIP_2) | instid1(VALU_DEP_2)
	v_cmp_lt_i16_e32 vcc_lo, -1, v83
	v_cndmask_b32_e32 v83, 0xff800000, v62, vcc_lo
	v_cmp_eq_u32_e32 vcc_lo, 0, v85
	v_cndmask_b32_e32 v83, 0x7f800001, v83, vcc_lo
; %bb.2556:                             ;   in Loop: Header=BB2_2268 Depth=2
	s_or_b32 exec_lo, exec_lo, s28
.LBB2_2557:                             ;   in Loop: Header=BB2_2268 Depth=2
	s_delay_alu instid0(SALU_CYCLE_1)
	s_or_b32 exec_lo, exec_lo, s11
.LBB2_2558:                             ;   in Loop: Header=BB2_2268 Depth=2
	s_delay_alu instid0(SALU_CYCLE_1) | instskip(NEXT) | instid1(SALU_CYCLE_1)
	s_or_b32 exec_lo, exec_lo, s10
	s_mov_b32 s10, exec_lo
	s_wait_loadcnt_dscnt 0x707
	v_cmpx_ne_u16_e32 0, v34
	s_cbranch_execz .LBB2_2568
; %bb.2559:                             ;   in Loop: Header=BB2_2268 Depth=2
	v_bfrev_b32_e32 v81, 1
	s_mov_b32 s11, exec_lo
	v_cmpx_ne_u16_e32 0xff80, v34
	s_cbranch_execz .LBB2_2567
; %bb.2560:                             ;   in Loop: Header=BB2_2268 Depth=2
	v_and_b32_e32 v81, 0x7c, v34
	v_and_b32_e32 v85, 3, v34
	s_delay_alu instid0(VALU_DEP_2) | instskip(SKIP_1) | instid1(SALU_CYCLE_1)
	v_cmp_ne_u32_e32 vcc_lo, 0x7c, v81
                                        ; implicit-def: $vgpr81
	s_and_saveexec_b32 s28, vcc_lo
	s_xor_b32 s28, exec_lo, s28
	s_cbranch_execz .LBB2_2564
; %bb.2561:                             ;   in Loop: Header=BB2_2268 Depth=2
	v_and_b32_e32 v81, 0xff, v34
	s_mov_b32 s29, exec_lo
	s_delay_alu instid0(VALU_DEP_1) | instskip(NEXT) | instid1(VALU_DEP_1)
	v_bfe_u32 v81, v81, 2, 5
	v_cmpx_eq_u32_e32 0, v81
; %bb.2562:                             ;   in Loop: Header=BB2_2268 Depth=2
	v_clz_i32_u32_e32 v81, v85
	s_delay_alu instid0(VALU_DEP_1) | instskip(NEXT) | instid1(VALU_DEP_1)
	v_min_u32_e32 v81, 32, v81
	v_subrev_nc_u32_e32 v85, 29, v81
	s_delay_alu instid0(VALU_DEP_1) | instskip(NEXT) | instid1(VALU_DEP_1)
	v_lshlrev_b64_e32 v[114:115], v85, v[34:35]
	v_dual_sub_nc_u32 v81, 30, v81 :: v_dual_bitop2_b32 v85, 3, v114 bitop3:0x40
; %bb.2563:                             ;   in Loop: Header=BB2_2268 Depth=2
	s_or_b32 exec_lo, exec_lo, s29
	v_bfe_i32 v34, v34, 0, 16
	s_delay_alu instid0(VALU_DEP_1) | instskip(NEXT) | instid1(VALU_DEP_1)
	v_and_b32_e32 v34, 0x80000000, v34
	v_lshl_add_u32 v34, v81, 23, v34
	s_delay_alu instid0(VALU_DEP_1) | instskip(NEXT) | instid1(VALU_DEP_1)
	v_lshl_or_b32 v34, v85, 21, v34
                                        ; implicit-def: $vgpr85
	v_add_nc_u32_e32 v81, 0x38000000, v34
.LBB2_2564:                             ;   in Loop: Header=BB2_2268 Depth=2
	s_and_not1_saveexec_b32 s28, s28
; %bb.2565:                             ;   in Loop: Header=BB2_2268 Depth=2
	v_cmp_lt_i16_e32 vcc_lo, -1, v34
	v_cndmask_b32_e32 v34, 0xff800000, v62, vcc_lo
	v_cmp_eq_u32_e32 vcc_lo, 0, v85
	s_delay_alu instid0(VALU_DEP_2)
	v_cndmask_b32_e32 v81, 0x7f800001, v34, vcc_lo
; %bb.2566:                             ;   in Loop: Header=BB2_2268 Depth=2
	s_or_b32 exec_lo, exec_lo, s28
.LBB2_2567:                             ;   in Loop: Header=BB2_2268 Depth=2
	s_delay_alu instid0(SALU_CYCLE_1)
	s_or_b32 exec_lo, exec_lo, s11
.LBB2_2568:                             ;   in Loop: Header=BB2_2268 Depth=2
	s_delay_alu instid0(SALU_CYCLE_1) | instskip(NEXT) | instid1(VALU_DEP_1)
	s_or_b32 exec_lo, exec_lo, s10
	v_add_f32_e32 v83, v83, v81
	v_mov_b32_e32 v115, v35
                                        ; implicit-def: $vgpr46
	s_mov_b32 s10, exec_lo
	s_delay_alu instid0(VALU_DEP_2) | instskip(SKIP_1) | instid1(VALU_DEP_2)
	v_and_b32_e32 v114, 0x7f800000, v83
	v_and_b32_e32 v34, 0x7fffff, v83
	v_cmpx_ne_u64_e32 0x7f800000, v[114:115]
	s_xor_b32 s11, exec_lo, s10
	s_cbranch_execz .LBB2_2586
; %bb.2569:                             ;   in Loop: Header=BB2_2268 Depth=2
	v_dual_mov_b32 v115, v35 :: v_dual_lshrrev_b32 v81, 24, v83
	v_and_b32_e32 v114, 0x7fffffff, v83
                                        ; implicit-def: $vgpr46
	s_mov_b32 s10, exec_lo
	s_delay_alu instid0(VALU_DEP_2) | instskip(NEXT) | instid1(VALU_DEP_2)
	v_and_b32_e32 v81, 0x80, v81
	v_cmpx_gt_u64_e32 0x47600001, v[114:115]
	s_xor_b32 s28, exec_lo, s10
	s_cbranch_execz .LBB2_2583
; %bb.2570:                             ;   in Loop: Header=BB2_2268 Depth=2
	v_mov_b32_e32 v46, 0
	s_mov_b32 s29, exec_lo
	v_cmpx_ne_u32_e32 0, v83
	s_cbranch_execz .LBB2_2582
; %bb.2571:                             ;   in Loop: Header=BB2_2268 Depth=2
	v_bfe_u32 v83, v83, 23, 8
	v_or_b32_e32 v97, 0x800000, v34
	s_delay_alu instid0(VALU_DEP_2) | instskip(SKIP_1) | instid1(VALU_DEP_2)
	v_sub_nc_u32_e32 v85, 0x71, v83
	v_cmp_gt_u32_e32 vcc_lo, 0x72, v83
	v_cndmask_b32_e32 v85, 0, v85, vcc_lo
	v_cmp_eq_u32_e32 vcc_lo, 0, v83
	s_delay_alu instid0(VALU_DEP_2) | instskip(NEXT) | instid1(VALU_DEP_1)
	v_cndmask_b32_e64 v85, v85, 0x70, vcc_lo
	v_dual_cndmask_b32 v34, v97, v34 :: v_dual_add_nc_u32 v87, 21, v85
	s_delay_alu instid0(VALU_DEP_1) | instskip(SKIP_1) | instid1(VALU_DEP_1)
	v_lshlrev_b64_e64 v[114:115], v87, -1
	v_add_nc_u32_e32 v87, 20, v85
	v_lshlrev_b64_e64 v[46:47], v87, 1
	s_delay_alu instid0(VALU_DEP_3) | instskip(NEXT) | instid1(VALU_DEP_4)
	v_bfi_b32 v77, v115, 0, 0
	v_bfi_b32 v76, v114, 0, v34
	v_lshrrev_b64 v[114:115], v85, v[34:35]
	s_delay_alu instid0(VALU_DEP_2) | instskip(NEXT) | instid1(VALU_DEP_2)
	v_cmp_eq_u64_e64 s10, v[76:77], v[46:47]
	v_mov_b64_e32 v[46:47], v[114:115]
	s_and_saveexec_b32 s40, s10
; %bb.2572:                             ;   in Loop: Header=BB2_2268 Depth=2
	v_bfe_u32 v34, v114, 21, 1
	s_delay_alu instid0(VALU_DEP_1) | instskip(NEXT) | instid1(VALU_DEP_1)
	v_add_nc_u64_e32 v[46:47], v[114:115], v[34:35]
	v_add_nc_u64_e32 v[46:47], -1, v[46:47]
; %bb.2573:                             ;   in Loop: Header=BB2_2268 Depth=2
	s_or_b32 exec_lo, exec_lo, s40
	v_add_nc_u32_e32 v34, 0xffffff81, v83
	v_lshrrev_b32_e32 v83, 23, v114
	s_mov_b32 s10, exec_lo
	s_delay_alu instid0(VALU_DEP_2) | instskip(NEXT) | instid1(VALU_DEP_1)
	v_cndmask_b32_e64 v34, v34, 0xffffff82, vcc_lo
	v_add3_u32 v85, v85, v34, v83
	v_and_b32_e32 v34, 0x1fffff, v46
                                        ; implicit-def: $vgpr83
	s_delay_alu instid0(VALU_DEP_1) | instskip(NEXT) | instid1(VALU_DEP_1)
	v_dual_add_nc_u32 v87, 14, v85 :: v_dual_add_nc_u32 v34, v34, v114
                                        ; implicit-def: $vgpr114_vgpr115
	v_cmpx_ne_u32_e32 0, v87
	s_xor_b32 s10, exec_lo, s10
; %bb.2574:                             ;   in Loop: Header=BB2_2268 Depth=2
	s_delay_alu instid0(VALU_DEP_2) | instskip(SKIP_2) | instid1(VALU_DEP_2)
	v_cmp_lt_u64_e32 vcc_lo, 0xffffff, v[34:35]
	v_add_nc_u32_e32 v83, 15, v85
	v_cndmask_b32_e64 v85, 0, 1, vcc_lo
	v_cndmask_b32_e32 v83, v87, v83, vcc_lo
	s_delay_alu instid0(VALU_DEP_2)
	v_lshrrev_b64 v[114:115], v85, v[34:35]
; %bb.2575:                             ;   in Loop: Header=BB2_2268 Depth=2
	s_and_not1_saveexec_b32 s10, s10
; %bb.2576:                             ;   in Loop: Header=BB2_2268 Depth=2
	v_mov_b64_e32 v[114:115], v[34:35]
	v_bfe_u32 v83, v34, 23, 1
; %bb.2577:                             ;   in Loop: Header=BB2_2268 Depth=2
	s_or_b32 exec_lo, exec_lo, s10
	s_delay_alu instid0(VALU_DEP_2) | instskip(NEXT) | instid1(VALU_DEP_2)
	v_lshrrev_b64 v[114:115], 21, v[114:115]
	v_cmp_gt_i32_e32 vcc_lo, 32, v83
	v_cmp_ne_u32_e64 s10, 0, v83
                                        ; implicit-def: $vgpr46
	s_delay_alu instid0(VALU_DEP_3) | instskip(NEXT) | instid1(VALU_DEP_1)
	v_dual_cndmask_b32 v115, 0, v115 :: v_dual_cndmask_b32 v114, 3, v114
	v_cmp_ne_u64_e32 vcc_lo, 0, v[114:115]
	s_or_b32 s10, s10, vcc_lo
	s_delay_alu instid0(SALU_CYCLE_1) | instskip(NEXT) | instid1(SALU_CYCLE_1)
	s_and_saveexec_b32 s40, s10
	s_xor_b32 s10, exec_lo, s40
; %bb.2578:                             ;   in Loop: Header=BB2_2268 Depth=2
	v_min_i32_e32 v34, 31, v83
	s_delay_alu instid0(VALU_DEP_1) | instskip(NEXT) | instid1(VALU_DEP_1)
	v_lshl_or_b32 v34, v34, 2, v81
                                        ; implicit-def: $vgpr81
	v_and_or_b32 v46, v114, 3, v34
; %bb.2579:                             ;   in Loop: Header=BB2_2268 Depth=2
	s_and_not1_saveexec_b32 s10, s10
; %bb.2580:                             ;   in Loop: Header=BB2_2268 Depth=2
	v_mov_b32_e32 v46, v81
; %bb.2581:                             ;   in Loop: Header=BB2_2268 Depth=2
	s_or_b32 exec_lo, exec_lo, s10
.LBB2_2582:                             ;   in Loop: Header=BB2_2268 Depth=2
	s_delay_alu instid0(SALU_CYCLE_1)
	s_or_b32 exec_lo, exec_lo, s29
                                        ; implicit-def: $vgpr81
.LBB2_2583:                             ;   in Loop: Header=BB2_2268 Depth=2
	s_and_not1_saveexec_b32 s10, s28
; %bb.2584:                             ;   in Loop: Header=BB2_2268 Depth=2
	v_or_b32_e32 v46, 0x7b, v81
; %bb.2585:                             ;   in Loop: Header=BB2_2268 Depth=2
	s_or_b32 exec_lo, exec_lo, s10
                                        ; implicit-def: $vgpr83
.LBB2_2586:                             ;   in Loop: Header=BB2_2268 Depth=2
	s_and_not1_saveexec_b32 s10, s11
	s_cbranch_execz .LBB2_2592
; %bb.2587:                             ;   in Loop: Header=BB2_2268 Depth=2
	s_mov_b32 s11, exec_lo
                                        ; implicit-def: $vgpr46
	v_cmpx_ne_u64_e32 0, v[34:35]
	s_xor_b32 s11, exec_lo, s11
; %bb.2588:                             ;   in Loop: Header=BB2_2268 Depth=2
	v_lshrrev_b32_e32 v34, 24, v83
                                        ; implicit-def: $vgpr83
	s_delay_alu instid0(VALU_DEP_1)
	v_or_b32_e32 v46, 0x7f, v34
; %bb.2589:                             ;   in Loop: Header=BB2_2268 Depth=2
	s_and_not1_saveexec_b32 s11, s11
; %bb.2590:                             ;   in Loop: Header=BB2_2268 Depth=2
	v_cmp_lt_i32_e32 vcc_lo, -1, v83
	v_cndmask_b32_e64 v46, -4, 0x7c, vcc_lo
; %bb.2591:                             ;   in Loop: Header=BB2_2268 Depth=2
	s_or_b32 exec_lo, exec_lo, s11
.LBB2_2592:                             ;   in Loop: Header=BB2_2268 Depth=2
	s_delay_alu instid0(SALU_CYCLE_1) | instskip(SKIP_3) | instid1(VALU_DEP_2)
	s_or_b32 exec_lo, exec_lo, s10
	v_and_b32_e32 v85, 0xff, v112
	v_dual_mov_b32 v34, 0 :: v_dual_mov_b32 v81, 0
	s_mov_b32 s10, exec_lo
	v_cmpx_ne_u16_e32 0, v85
	s_cbranch_execz .LBB2_2602
; %bb.2593:                             ;   in Loop: Header=BB2_2268 Depth=2
	v_bfrev_b32_e32 v81, 1
	s_mov_b32 s11, exec_lo
	v_cmpx_ne_u16_e32 0x80, v85
	s_cbranch_execz .LBB2_2601
; %bb.2594:                             ;   in Loop: Header=BB2_2268 Depth=2
	v_and_b32_e32 v81, 0x7c, v112
	v_and_b32_e32 v83, 3, v112
	s_delay_alu instid0(VALU_DEP_2) | instskip(SKIP_1) | instid1(SALU_CYCLE_1)
	v_cmp_ne_u32_e32 vcc_lo, 0x7c, v81
                                        ; implicit-def: $vgpr81
	s_and_saveexec_b32 s28, vcc_lo
	s_xor_b32 s28, exec_lo, s28
	s_cbranch_execz .LBB2_2598
; %bb.2595:                             ;   in Loop: Header=BB2_2268 Depth=2
	v_bfe_u32 v81, v85, 2, 5
	s_mov_b32 s29, exec_lo
	s_delay_alu instid0(VALU_DEP_1)
	v_cmpx_eq_u32_e32 0, v81
	s_cbranch_execz .LBB2_2597
; %bb.2596:                             ;   in Loop: Header=BB2_2268 Depth=2
	v_clz_i32_u32_e32 v81, v83
	s_delay_alu instid0(VALU_DEP_1) | instskip(SKIP_1) | instid1(VALU_DEP_2)
	v_min_u32_e32 v81, 32, v81
	v_mov_b32_e32 v113, v35
	v_subrev_nc_u32_e32 v83, 29, v81
	v_sub_nc_u32_e32 v81, 30, v81
	s_delay_alu instid0(VALU_DEP_2) | instskip(NEXT) | instid1(VALU_DEP_1)
	v_lshlrev_b64_e32 v[114:115], v83, v[112:113]
	v_and_b32_e32 v83, 3, v114
.LBB2_2597:                             ;   in Loop: Header=BB2_2268 Depth=2
	s_or_b32 exec_lo, exec_lo, s29
	v_lshlrev_b32_e32 v85, 24, v112
                                        ; implicit-def: $vgpr112
	s_delay_alu instid0(VALU_DEP_1) | instskip(NEXT) | instid1(VALU_DEP_1)
	v_and_b32_e32 v85, 0x80000000, v85
	v_lshl_add_u32 v81, v81, 23, v85
	s_delay_alu instid0(VALU_DEP_1) | instskip(NEXT) | instid1(VALU_DEP_1)
	v_lshl_or_b32 v81, v83, 21, v81
                                        ; implicit-def: $vgpr83
	v_add_nc_u32_e32 v81, 0x38000000, v81
.LBB2_2598:                             ;   in Loop: Header=BB2_2268 Depth=2
	s_and_not1_saveexec_b32 s28, s28
; %bb.2599:                             ;   in Loop: Header=BB2_2268 Depth=2
	v_bfe_i32 v81, v112, 0, 8
	s_delay_alu instid0(VALU_DEP_1) | instskip(SKIP_2) | instid1(VALU_DEP_2)
	v_cmp_lt_i16_e32 vcc_lo, -1, v81
	v_cndmask_b32_e32 v81, 0xff800000, v62, vcc_lo
	v_cmp_eq_u32_e32 vcc_lo, 0, v83
	v_cndmask_b32_e32 v81, 0x7f800001, v81, vcc_lo
; %bb.2600:                             ;   in Loop: Header=BB2_2268 Depth=2
	s_or_b32 exec_lo, exec_lo, s28
.LBB2_2601:                             ;   in Loop: Header=BB2_2268 Depth=2
	s_delay_alu instid0(SALU_CYCLE_1)
	s_or_b32 exec_lo, exec_lo, s11
.LBB2_2602:                             ;   in Loop: Header=BB2_2268 Depth=2
	s_delay_alu instid0(SALU_CYCLE_1) | instskip(NEXT) | instid1(SALU_CYCLE_1)
	s_or_b32 exec_lo, exec_lo, s10
	s_mov_b32 s10, exec_lo
	s_wait_loadcnt_dscnt 0x606
	v_cmpx_ne_u16_e32 0, v44
	s_cbranch_execz .LBB2_2612
; %bb.2603:                             ;   in Loop: Header=BB2_2268 Depth=2
	v_bfrev_b32_e32 v34, 1
	s_mov_b32 s11, exec_lo
	v_cmpx_ne_u16_e32 0xff80, v44
	s_cbranch_execz .LBB2_2611
; %bb.2604:                             ;   in Loop: Header=BB2_2268 Depth=2
	v_and_b32_e32 v34, 0x7c, v44
	v_and_b32_e32 v83, 3, v44
	s_delay_alu instid0(VALU_DEP_2) | instskip(SKIP_1) | instid1(SALU_CYCLE_1)
	v_cmp_ne_u32_e32 vcc_lo, 0x7c, v34
                                        ; implicit-def: $vgpr34
	s_and_saveexec_b32 s28, vcc_lo
	s_xor_b32 s28, exec_lo, s28
	s_cbranch_execz .LBB2_2608
; %bb.2605:                             ;   in Loop: Header=BB2_2268 Depth=2
	v_and_b32_e32 v34, 0xff, v44
	s_mov_b32 s29, exec_lo
	s_delay_alu instid0(VALU_DEP_1) | instskip(NEXT) | instid1(VALU_DEP_1)
	v_bfe_u32 v34, v34, 2, 5
	v_cmpx_eq_u32_e32 0, v34
	s_cbranch_execz .LBB2_2607
; %bb.2606:                             ;   in Loop: Header=BB2_2268 Depth=2
	v_clz_i32_u32_e32 v34, v83
	s_delay_alu instid0(VALU_DEP_1) | instskip(SKIP_1) | instid1(VALU_DEP_2)
	v_min_u32_e32 v34, 32, v34
	v_mov_b32_e32 v45, v35
	v_subrev_nc_u32_e32 v83, 29, v34
	v_sub_nc_u32_e32 v34, 30, v34
	s_delay_alu instid0(VALU_DEP_2) | instskip(NEXT) | instid1(VALU_DEP_1)
	v_lshlrev_b64_e32 v[112:113], v83, v[44:45]
	v_and_b32_e32 v83, 3, v112
.LBB2_2607:                             ;   in Loop: Header=BB2_2268 Depth=2
	s_or_b32 exec_lo, exec_lo, s29
	v_bfe_i32 v85, v44, 0, 16
                                        ; implicit-def: $vgpr44
	s_delay_alu instid0(VALU_DEP_1) | instskip(NEXT) | instid1(VALU_DEP_1)
	v_and_b32_e32 v85, 0x80000000, v85
	v_lshl_add_u32 v34, v34, 23, v85
	s_delay_alu instid0(VALU_DEP_1) | instskip(NEXT) | instid1(VALU_DEP_1)
	v_lshl_or_b32 v34, v83, 21, v34
                                        ; implicit-def: $vgpr83
	v_add_nc_u32_e32 v34, 0x38000000, v34
.LBB2_2608:                             ;   in Loop: Header=BB2_2268 Depth=2
	s_and_not1_saveexec_b32 s28, s28
; %bb.2609:                             ;   in Loop: Header=BB2_2268 Depth=2
	v_cmp_lt_i16_e32 vcc_lo, -1, v44
	v_cndmask_b32_e32 v34, 0xff800000, v62, vcc_lo
	v_cmp_eq_u32_e32 vcc_lo, 0, v83
	s_delay_alu instid0(VALU_DEP_2)
	v_cndmask_b32_e32 v34, 0x7f800001, v34, vcc_lo
; %bb.2610:                             ;   in Loop: Header=BB2_2268 Depth=2
	s_or_b32 exec_lo, exec_lo, s28
.LBB2_2611:                             ;   in Loop: Header=BB2_2268 Depth=2
	s_delay_alu instid0(SALU_CYCLE_1)
	s_or_b32 exec_lo, exec_lo, s11
.LBB2_2612:                             ;   in Loop: Header=BB2_2268 Depth=2
	s_delay_alu instid0(SALU_CYCLE_1) | instskip(NEXT) | instid1(VALU_DEP_1)
	s_or_b32 exec_lo, exec_lo, s10
	v_dual_add_f32 v83, v81, v34 :: v_dual_mov_b32 v113, v35
                                        ; implicit-def: $vgpr114
	s_mov_b32 s10, exec_lo
	s_delay_alu instid0(VALU_DEP_1) | instskip(SKIP_1) | instid1(VALU_DEP_2)
	v_and_b32_e32 v112, 0x7f800000, v83
	v_and_b32_e32 v34, 0x7fffff, v83
	v_cmpx_ne_u64_e32 0x7f800000, v[112:113]
	s_xor_b32 s11, exec_lo, s10
	s_cbranch_execz .LBB2_2630
; %bb.2613:                             ;   in Loop: Header=BB2_2268 Depth=2
	v_dual_mov_b32 v113, v35 :: v_dual_lshrrev_b32 v81, 24, v83
	v_and_b32_e32 v112, 0x7fffffff, v83
                                        ; implicit-def: $vgpr114
	s_mov_b32 s10, exec_lo
	s_delay_alu instid0(VALU_DEP_2) | instskip(NEXT) | instid1(VALU_DEP_2)
	v_and_b32_e32 v81, 0x80, v81
	v_cmpx_gt_u64_e32 0x47600001, v[112:113]
	s_xor_b32 s28, exec_lo, s10
	s_cbranch_execz .LBB2_2627
; %bb.2614:                             ;   in Loop: Header=BB2_2268 Depth=2
	v_mov_b32_e32 v114, 0
	s_mov_b32 s29, exec_lo
	v_cmpx_ne_u32_e32 0, v83
	s_cbranch_execz .LBB2_2626
; %bb.2615:                             ;   in Loop: Header=BB2_2268 Depth=2
	v_bfe_u32 v83, v83, 23, 8
	v_or_b32_e32 v97, 0x800000, v34
	s_delay_alu instid0(VALU_DEP_2) | instskip(SKIP_1) | instid1(VALU_DEP_2)
	v_sub_nc_u32_e32 v85, 0x71, v83
	v_cmp_gt_u32_e32 vcc_lo, 0x72, v83
	v_cndmask_b32_e32 v85, 0, v85, vcc_lo
	v_cmp_eq_u32_e32 vcc_lo, 0, v83
	s_delay_alu instid0(VALU_DEP_2) | instskip(NEXT) | instid1(VALU_DEP_1)
	v_cndmask_b32_e64 v85, v85, 0x70, vcc_lo
	v_dual_cndmask_b32 v34, v97, v34 :: v_dual_add_nc_u32 v87, 21, v85
	s_delay_alu instid0(VALU_DEP_1) | instskip(SKIP_1) | instid1(VALU_DEP_1)
	v_lshlrev_b64_e64 v[112:113], v87, -1
	v_add_nc_u32_e32 v87, 20, v85
	v_lshlrev_b64_e64 v[114:115], v87, 1
	s_delay_alu instid0(VALU_DEP_3) | instskip(NEXT) | instid1(VALU_DEP_4)
	v_bfi_b32 v45, v113, 0, 0
	v_bfi_b32 v44, v112, 0, v34
	v_lshrrev_b64 v[112:113], v85, v[34:35]
	s_delay_alu instid0(VALU_DEP_2) | instskip(NEXT) | instid1(VALU_DEP_2)
	v_cmp_eq_u64_e64 s10, v[44:45], v[114:115]
	v_mov_b64_e32 v[114:115], v[112:113]
	s_and_saveexec_b32 s40, s10
; %bb.2616:                             ;   in Loop: Header=BB2_2268 Depth=2
	v_bfe_u32 v34, v112, 21, 1
	s_delay_alu instid0(VALU_DEP_1) | instskip(NEXT) | instid1(VALU_DEP_1)
	v_add_nc_u64_e32 v[114:115], v[112:113], v[34:35]
	v_add_nc_u64_e32 v[114:115], -1, v[114:115]
; %bb.2617:                             ;   in Loop: Header=BB2_2268 Depth=2
	s_or_b32 exec_lo, exec_lo, s40
	v_add_nc_u32_e32 v34, 0xffffff81, v83
	v_lshrrev_b32_e32 v83, 23, v112
	s_mov_b32 s10, exec_lo
	s_delay_alu instid0(VALU_DEP_2) | instskip(NEXT) | instid1(VALU_DEP_1)
	v_cndmask_b32_e64 v34, v34, 0xffffff82, vcc_lo
	v_add3_u32 v85, v85, v34, v83
	v_and_b32_e32 v34, 0x1fffff, v114
                                        ; implicit-def: $vgpr83
	s_delay_alu instid0(VALU_DEP_1) | instskip(NEXT) | instid1(VALU_DEP_1)
	v_dual_add_nc_u32 v87, 14, v85 :: v_dual_add_nc_u32 v34, v34, v112
                                        ; implicit-def: $vgpr112_vgpr113
	v_cmpx_ne_u32_e32 0, v87
	s_xor_b32 s10, exec_lo, s10
; %bb.2618:                             ;   in Loop: Header=BB2_2268 Depth=2
	s_delay_alu instid0(VALU_DEP_2) | instskip(SKIP_2) | instid1(VALU_DEP_2)
	v_cmp_lt_u64_e32 vcc_lo, 0xffffff, v[34:35]
	v_add_nc_u32_e32 v83, 15, v85
	v_cndmask_b32_e64 v85, 0, 1, vcc_lo
	v_cndmask_b32_e32 v83, v87, v83, vcc_lo
	s_delay_alu instid0(VALU_DEP_2)
	v_lshrrev_b64 v[112:113], v85, v[34:35]
; %bb.2619:                             ;   in Loop: Header=BB2_2268 Depth=2
	s_and_not1_saveexec_b32 s10, s10
; %bb.2620:                             ;   in Loop: Header=BB2_2268 Depth=2
	v_mov_b64_e32 v[112:113], v[34:35]
	v_bfe_u32 v83, v34, 23, 1
; %bb.2621:                             ;   in Loop: Header=BB2_2268 Depth=2
	s_or_b32 exec_lo, exec_lo, s10
	s_delay_alu instid0(VALU_DEP_2) | instskip(NEXT) | instid1(VALU_DEP_2)
	v_lshrrev_b64 v[112:113], 21, v[112:113]
	v_cmp_gt_i32_e32 vcc_lo, 32, v83
	v_cmp_ne_u32_e64 s10, 0, v83
                                        ; implicit-def: $vgpr114
	s_delay_alu instid0(VALU_DEP_3) | instskip(NEXT) | instid1(VALU_DEP_1)
	v_dual_cndmask_b32 v113, 0, v113 :: v_dual_cndmask_b32 v112, 3, v112
	v_cmp_ne_u64_e32 vcc_lo, 0, v[112:113]
	s_or_b32 s10, s10, vcc_lo
	s_delay_alu instid0(SALU_CYCLE_1) | instskip(NEXT) | instid1(SALU_CYCLE_1)
	s_and_saveexec_b32 s40, s10
	s_xor_b32 s10, exec_lo, s40
; %bb.2622:                             ;   in Loop: Header=BB2_2268 Depth=2
	v_min_i32_e32 v34, 31, v83
	s_delay_alu instid0(VALU_DEP_1) | instskip(NEXT) | instid1(VALU_DEP_1)
	v_lshl_or_b32 v34, v34, 2, v81
                                        ; implicit-def: $vgpr81
	v_and_or_b32 v114, v112, 3, v34
; %bb.2623:                             ;   in Loop: Header=BB2_2268 Depth=2
	s_and_not1_saveexec_b32 s10, s10
; %bb.2624:                             ;   in Loop: Header=BB2_2268 Depth=2
	v_mov_b32_e32 v114, v81
; %bb.2625:                             ;   in Loop: Header=BB2_2268 Depth=2
	s_or_b32 exec_lo, exec_lo, s10
.LBB2_2626:                             ;   in Loop: Header=BB2_2268 Depth=2
	s_delay_alu instid0(SALU_CYCLE_1)
	s_or_b32 exec_lo, exec_lo, s29
                                        ; implicit-def: $vgpr81
.LBB2_2627:                             ;   in Loop: Header=BB2_2268 Depth=2
	s_and_not1_saveexec_b32 s10, s28
; %bb.2628:                             ;   in Loop: Header=BB2_2268 Depth=2
	v_or_b32_e32 v114, 0x7b, v81
; %bb.2629:                             ;   in Loop: Header=BB2_2268 Depth=2
	s_or_b32 exec_lo, exec_lo, s10
                                        ; implicit-def: $vgpr83
.LBB2_2630:                             ;   in Loop: Header=BB2_2268 Depth=2
	s_and_not1_saveexec_b32 s10, s11
	s_cbranch_execz .LBB2_2636
; %bb.2631:                             ;   in Loop: Header=BB2_2268 Depth=2
	s_mov_b32 s11, exec_lo
                                        ; implicit-def: $vgpr114
	v_cmpx_ne_u64_e32 0, v[34:35]
	s_xor_b32 s11, exec_lo, s11
; %bb.2632:                             ;   in Loop: Header=BB2_2268 Depth=2
	v_lshrrev_b32_e32 v34, 24, v83
                                        ; implicit-def: $vgpr83
	s_delay_alu instid0(VALU_DEP_1)
	v_or_b32_e32 v114, 0x7f, v34
; %bb.2633:                             ;   in Loop: Header=BB2_2268 Depth=2
	s_and_not1_saveexec_b32 s11, s11
; %bb.2634:                             ;   in Loop: Header=BB2_2268 Depth=2
	v_cmp_lt_i32_e32 vcc_lo, -1, v83
	v_cndmask_b32_e64 v114, -4, 0x7c, vcc_lo
; %bb.2635:                             ;   in Loop: Header=BB2_2268 Depth=2
	s_or_b32 exec_lo, exec_lo, s11
.LBB2_2636:                             ;   in Loop: Header=BB2_2268 Depth=2
	s_delay_alu instid0(SALU_CYCLE_1) | instskip(SKIP_3) | instid1(VALU_DEP_2)
	s_or_b32 exec_lo, exec_lo, s10
	v_and_b32_e32 v85, 0xff, v102
	v_dual_mov_b32 v34, 0 :: v_dual_mov_b32 v81, 0
	s_mov_b32 s10, exec_lo
	v_cmpx_ne_u16_e32 0, v85
	s_cbranch_execz .LBB2_2646
; %bb.2637:                             ;   in Loop: Header=BB2_2268 Depth=2
	v_bfrev_b32_e32 v81, 1
	s_mov_b32 s11, exec_lo
	v_cmpx_ne_u16_e32 0x80, v85
	s_cbranch_execz .LBB2_2645
; %bb.2638:                             ;   in Loop: Header=BB2_2268 Depth=2
	v_and_b32_e32 v81, 0x7c, v102
	v_and_b32_e32 v83, 3, v102
	s_delay_alu instid0(VALU_DEP_2) | instskip(SKIP_1) | instid1(SALU_CYCLE_1)
	v_cmp_ne_u32_e32 vcc_lo, 0x7c, v81
                                        ; implicit-def: $vgpr81
	s_and_saveexec_b32 s28, vcc_lo
	s_xor_b32 s28, exec_lo, s28
	s_cbranch_execz .LBB2_2642
; %bb.2639:                             ;   in Loop: Header=BB2_2268 Depth=2
	v_bfe_u32 v81, v85, 2, 5
	s_mov_b32 s29, exec_lo
	s_delay_alu instid0(VALU_DEP_1)
	v_cmpx_eq_u32_e32 0, v81
	s_cbranch_execz .LBB2_2641
; %bb.2640:                             ;   in Loop: Header=BB2_2268 Depth=2
	v_clz_i32_u32_e32 v81, v83
	s_delay_alu instid0(VALU_DEP_1) | instskip(SKIP_1) | instid1(VALU_DEP_2)
	v_min_u32_e32 v81, 32, v81
	v_mov_b32_e32 v103, v35
	v_subrev_nc_u32_e32 v83, 29, v81
	v_sub_nc_u32_e32 v81, 30, v81
	s_delay_alu instid0(VALU_DEP_2) | instskip(NEXT) | instid1(VALU_DEP_1)
	v_lshlrev_b64_e32 v[112:113], v83, v[102:103]
	v_and_b32_e32 v83, 3, v112
.LBB2_2641:                             ;   in Loop: Header=BB2_2268 Depth=2
	s_or_b32 exec_lo, exec_lo, s29
	v_lshlrev_b32_e32 v85, 24, v102
                                        ; implicit-def: $vgpr102
	s_delay_alu instid0(VALU_DEP_1) | instskip(NEXT) | instid1(VALU_DEP_1)
	v_and_b32_e32 v85, 0x80000000, v85
	v_lshl_add_u32 v81, v81, 23, v85
	s_delay_alu instid0(VALU_DEP_1) | instskip(NEXT) | instid1(VALU_DEP_1)
	v_lshl_or_b32 v81, v83, 21, v81
                                        ; implicit-def: $vgpr83
	v_add_nc_u32_e32 v81, 0x38000000, v81
.LBB2_2642:                             ;   in Loop: Header=BB2_2268 Depth=2
	s_and_not1_saveexec_b32 s28, s28
; %bb.2643:                             ;   in Loop: Header=BB2_2268 Depth=2
	v_bfe_i32 v81, v102, 0, 8
	s_delay_alu instid0(VALU_DEP_1) | instskip(SKIP_2) | instid1(VALU_DEP_2)
	v_cmp_lt_i16_e32 vcc_lo, -1, v81
	v_cndmask_b32_e32 v81, 0xff800000, v62, vcc_lo
	v_cmp_eq_u32_e32 vcc_lo, 0, v83
	v_cndmask_b32_e32 v81, 0x7f800001, v81, vcc_lo
; %bb.2644:                             ;   in Loop: Header=BB2_2268 Depth=2
	s_or_b32 exec_lo, exec_lo, s28
.LBB2_2645:                             ;   in Loop: Header=BB2_2268 Depth=2
	s_delay_alu instid0(SALU_CYCLE_1)
	s_or_b32 exec_lo, exec_lo, s11
.LBB2_2646:                             ;   in Loop: Header=BB2_2268 Depth=2
	s_delay_alu instid0(SALU_CYCLE_1) | instskip(NEXT) | instid1(SALU_CYCLE_1)
	s_or_b32 exec_lo, exec_lo, s10
	s_mov_b32 s10, exec_lo
	s_wait_loadcnt_dscnt 0x505
	v_cmpx_ne_u16_e32 0, v42
	s_cbranch_execz .LBB2_2656
; %bb.2647:                             ;   in Loop: Header=BB2_2268 Depth=2
	v_bfrev_b32_e32 v34, 1
	s_mov_b32 s11, exec_lo
	v_cmpx_ne_u16_e32 0xff80, v42
	s_cbranch_execz .LBB2_2655
; %bb.2648:                             ;   in Loop: Header=BB2_2268 Depth=2
	v_and_b32_e32 v34, 0x7c, v42
	v_and_b32_e32 v83, 3, v42
	s_delay_alu instid0(VALU_DEP_2) | instskip(SKIP_1) | instid1(SALU_CYCLE_1)
	v_cmp_ne_u32_e32 vcc_lo, 0x7c, v34
                                        ; implicit-def: $vgpr34
	s_and_saveexec_b32 s28, vcc_lo
	s_xor_b32 s28, exec_lo, s28
	s_cbranch_execz .LBB2_2652
; %bb.2649:                             ;   in Loop: Header=BB2_2268 Depth=2
	v_and_b32_e32 v34, 0xff, v42
	s_mov_b32 s29, exec_lo
	s_delay_alu instid0(VALU_DEP_1) | instskip(NEXT) | instid1(VALU_DEP_1)
	v_bfe_u32 v34, v34, 2, 5
	v_cmpx_eq_u32_e32 0, v34
	s_cbranch_execz .LBB2_2651
; %bb.2650:                             ;   in Loop: Header=BB2_2268 Depth=2
	v_clz_i32_u32_e32 v34, v83
	s_delay_alu instid0(VALU_DEP_1) | instskip(SKIP_1) | instid1(VALU_DEP_2)
	v_min_u32_e32 v34, 32, v34
	v_mov_b32_e32 v43, v35
	v_subrev_nc_u32_e32 v83, 29, v34
	v_sub_nc_u32_e32 v34, 30, v34
	s_delay_alu instid0(VALU_DEP_2) | instskip(NEXT) | instid1(VALU_DEP_1)
	v_lshlrev_b64_e32 v[102:103], v83, v[42:43]
	v_and_b32_e32 v83, 3, v102
.LBB2_2651:                             ;   in Loop: Header=BB2_2268 Depth=2
	s_or_b32 exec_lo, exec_lo, s29
	v_bfe_i32 v85, v42, 0, 16
                                        ; implicit-def: $vgpr42
	s_delay_alu instid0(VALU_DEP_1) | instskip(NEXT) | instid1(VALU_DEP_1)
	v_and_b32_e32 v85, 0x80000000, v85
	v_lshl_add_u32 v34, v34, 23, v85
	s_delay_alu instid0(VALU_DEP_1) | instskip(NEXT) | instid1(VALU_DEP_1)
	v_lshl_or_b32 v34, v83, 21, v34
                                        ; implicit-def: $vgpr83
	v_add_nc_u32_e32 v34, 0x38000000, v34
.LBB2_2652:                             ;   in Loop: Header=BB2_2268 Depth=2
	s_and_not1_saveexec_b32 s28, s28
; %bb.2653:                             ;   in Loop: Header=BB2_2268 Depth=2
	v_cmp_lt_i16_e32 vcc_lo, -1, v42
	v_cndmask_b32_e32 v34, 0xff800000, v62, vcc_lo
	v_cmp_eq_u32_e32 vcc_lo, 0, v83
	s_delay_alu instid0(VALU_DEP_2)
	v_cndmask_b32_e32 v34, 0x7f800001, v34, vcc_lo
; %bb.2654:                             ;   in Loop: Header=BB2_2268 Depth=2
	s_or_b32 exec_lo, exec_lo, s28
.LBB2_2655:                             ;   in Loop: Header=BB2_2268 Depth=2
	s_delay_alu instid0(SALU_CYCLE_1)
	s_or_b32 exec_lo, exec_lo, s11
.LBB2_2656:                             ;   in Loop: Header=BB2_2268 Depth=2
	s_delay_alu instid0(SALU_CYCLE_1) | instskip(NEXT) | instid1(VALU_DEP_1)
	s_or_b32 exec_lo, exec_lo, s10
	v_dual_add_f32 v83, v81, v34 :: v_dual_mov_b32 v103, v35
                                        ; implicit-def: $vgpr112
	s_mov_b32 s10, exec_lo
	s_delay_alu instid0(VALU_DEP_1) | instskip(SKIP_1) | instid1(VALU_DEP_2)
	v_and_b32_e32 v102, 0x7f800000, v83
	v_and_b32_e32 v34, 0x7fffff, v83
	v_cmpx_ne_u64_e32 0x7f800000, v[102:103]
	s_xor_b32 s11, exec_lo, s10
	s_cbranch_execz .LBB2_2674
; %bb.2657:                             ;   in Loop: Header=BB2_2268 Depth=2
	v_dual_mov_b32 v103, v35 :: v_dual_lshrrev_b32 v81, 24, v83
	v_and_b32_e32 v102, 0x7fffffff, v83
                                        ; implicit-def: $vgpr112
	s_mov_b32 s10, exec_lo
	s_delay_alu instid0(VALU_DEP_2) | instskip(NEXT) | instid1(VALU_DEP_2)
	v_and_b32_e32 v81, 0x80, v81
	v_cmpx_gt_u64_e32 0x47600001, v[102:103]
	s_xor_b32 s28, exec_lo, s10
	s_cbranch_execz .LBB2_2671
; %bb.2658:                             ;   in Loop: Header=BB2_2268 Depth=2
	v_mov_b32_e32 v112, 0
	s_mov_b32 s29, exec_lo
	v_cmpx_ne_u32_e32 0, v83
	s_cbranch_execz .LBB2_2670
; %bb.2659:                             ;   in Loop: Header=BB2_2268 Depth=2
	v_bfe_u32 v83, v83, 23, 8
	v_or_b32_e32 v97, 0x800000, v34
	s_delay_alu instid0(VALU_DEP_2) | instskip(SKIP_1) | instid1(VALU_DEP_2)
	v_sub_nc_u32_e32 v85, 0x71, v83
	v_cmp_gt_u32_e32 vcc_lo, 0x72, v83
	v_cndmask_b32_e32 v85, 0, v85, vcc_lo
	v_cmp_eq_u32_e32 vcc_lo, 0, v83
	s_delay_alu instid0(VALU_DEP_2) | instskip(NEXT) | instid1(VALU_DEP_1)
	v_cndmask_b32_e64 v85, v85, 0x70, vcc_lo
	v_dual_cndmask_b32 v34, v97, v34 :: v_dual_add_nc_u32 v87, 21, v85
	s_delay_alu instid0(VALU_DEP_1) | instskip(SKIP_1) | instid1(VALU_DEP_1)
	v_lshlrev_b64_e64 v[102:103], v87, -1
	v_add_nc_u32_e32 v87, 20, v85
	v_lshlrev_b64_e64 v[112:113], v87, 1
	s_delay_alu instid0(VALU_DEP_3) | instskip(NEXT) | instid1(VALU_DEP_4)
	v_bfi_b32 v43, v103, 0, 0
	v_bfi_b32 v42, v102, 0, v34
	v_lshrrev_b64 v[102:103], v85, v[34:35]
	s_delay_alu instid0(VALU_DEP_2) | instskip(NEXT) | instid1(VALU_DEP_2)
	v_cmp_eq_u64_e64 s10, v[42:43], v[112:113]
	v_mov_b64_e32 v[112:113], v[102:103]
	s_and_saveexec_b32 s40, s10
; %bb.2660:                             ;   in Loop: Header=BB2_2268 Depth=2
	v_bfe_u32 v34, v102, 21, 1
	s_delay_alu instid0(VALU_DEP_1) | instskip(NEXT) | instid1(VALU_DEP_1)
	v_add_nc_u64_e32 v[112:113], v[102:103], v[34:35]
	v_add_nc_u64_e32 v[112:113], -1, v[112:113]
; %bb.2661:                             ;   in Loop: Header=BB2_2268 Depth=2
	s_or_b32 exec_lo, exec_lo, s40
	v_add_nc_u32_e32 v34, 0xffffff81, v83
	v_lshrrev_b32_e32 v83, 23, v102
	s_mov_b32 s10, exec_lo
	s_delay_alu instid0(VALU_DEP_2) | instskip(NEXT) | instid1(VALU_DEP_1)
	v_cndmask_b32_e64 v34, v34, 0xffffff82, vcc_lo
	v_add3_u32 v85, v85, v34, v83
	v_and_b32_e32 v34, 0x1fffff, v112
                                        ; implicit-def: $vgpr83
	s_delay_alu instid0(VALU_DEP_1) | instskip(NEXT) | instid1(VALU_DEP_1)
	v_dual_add_nc_u32 v87, 14, v85 :: v_dual_add_nc_u32 v34, v34, v102
                                        ; implicit-def: $vgpr102_vgpr103
	v_cmpx_ne_u32_e32 0, v87
	s_xor_b32 s10, exec_lo, s10
; %bb.2662:                             ;   in Loop: Header=BB2_2268 Depth=2
	s_delay_alu instid0(VALU_DEP_2) | instskip(SKIP_2) | instid1(VALU_DEP_2)
	v_cmp_lt_u64_e32 vcc_lo, 0xffffff, v[34:35]
	v_add_nc_u32_e32 v83, 15, v85
	v_cndmask_b32_e64 v85, 0, 1, vcc_lo
	v_cndmask_b32_e32 v83, v87, v83, vcc_lo
	s_delay_alu instid0(VALU_DEP_2)
	v_lshrrev_b64 v[102:103], v85, v[34:35]
; %bb.2663:                             ;   in Loop: Header=BB2_2268 Depth=2
	s_and_not1_saveexec_b32 s10, s10
; %bb.2664:                             ;   in Loop: Header=BB2_2268 Depth=2
	v_mov_b64_e32 v[102:103], v[34:35]
	v_bfe_u32 v83, v34, 23, 1
; %bb.2665:                             ;   in Loop: Header=BB2_2268 Depth=2
	s_or_b32 exec_lo, exec_lo, s10
	s_delay_alu instid0(VALU_DEP_2) | instskip(NEXT) | instid1(VALU_DEP_2)
	v_lshrrev_b64 v[102:103], 21, v[102:103]
	v_cmp_gt_i32_e32 vcc_lo, 32, v83
	v_cmp_ne_u32_e64 s10, 0, v83
                                        ; implicit-def: $vgpr112
	s_delay_alu instid0(VALU_DEP_3) | instskip(NEXT) | instid1(VALU_DEP_1)
	v_dual_cndmask_b32 v103, 0, v103 :: v_dual_cndmask_b32 v102, 3, v102
	v_cmp_ne_u64_e32 vcc_lo, 0, v[102:103]
	s_or_b32 s10, s10, vcc_lo
	s_delay_alu instid0(SALU_CYCLE_1) | instskip(NEXT) | instid1(SALU_CYCLE_1)
	s_and_saveexec_b32 s40, s10
	s_xor_b32 s10, exec_lo, s40
; %bb.2666:                             ;   in Loop: Header=BB2_2268 Depth=2
	v_min_i32_e32 v34, 31, v83
	s_delay_alu instid0(VALU_DEP_1) | instskip(NEXT) | instid1(VALU_DEP_1)
	v_lshl_or_b32 v34, v34, 2, v81
                                        ; implicit-def: $vgpr81
	v_and_or_b32 v112, v102, 3, v34
; %bb.2667:                             ;   in Loop: Header=BB2_2268 Depth=2
	s_and_not1_saveexec_b32 s10, s10
; %bb.2668:                             ;   in Loop: Header=BB2_2268 Depth=2
	v_mov_b32_e32 v112, v81
; %bb.2669:                             ;   in Loop: Header=BB2_2268 Depth=2
	s_or_b32 exec_lo, exec_lo, s10
.LBB2_2670:                             ;   in Loop: Header=BB2_2268 Depth=2
	s_delay_alu instid0(SALU_CYCLE_1)
	s_or_b32 exec_lo, exec_lo, s29
                                        ; implicit-def: $vgpr81
.LBB2_2671:                             ;   in Loop: Header=BB2_2268 Depth=2
	s_and_not1_saveexec_b32 s10, s28
; %bb.2672:                             ;   in Loop: Header=BB2_2268 Depth=2
	v_or_b32_e32 v112, 0x7b, v81
; %bb.2673:                             ;   in Loop: Header=BB2_2268 Depth=2
	s_or_b32 exec_lo, exec_lo, s10
                                        ; implicit-def: $vgpr83
.LBB2_2674:                             ;   in Loop: Header=BB2_2268 Depth=2
	s_and_not1_saveexec_b32 s10, s11
	s_cbranch_execz .LBB2_2680
; %bb.2675:                             ;   in Loop: Header=BB2_2268 Depth=2
	s_mov_b32 s11, exec_lo
                                        ; implicit-def: $vgpr112
	v_cmpx_ne_u64_e32 0, v[34:35]
	s_xor_b32 s11, exec_lo, s11
; %bb.2676:                             ;   in Loop: Header=BB2_2268 Depth=2
	v_lshrrev_b32_e32 v34, 24, v83
                                        ; implicit-def: $vgpr83
	s_delay_alu instid0(VALU_DEP_1)
	v_or_b32_e32 v112, 0x7f, v34
; %bb.2677:                             ;   in Loop: Header=BB2_2268 Depth=2
	s_and_not1_saveexec_b32 s11, s11
; %bb.2678:                             ;   in Loop: Header=BB2_2268 Depth=2
	v_cmp_lt_i32_e32 vcc_lo, -1, v83
	v_cndmask_b32_e64 v112, -4, 0x7c, vcc_lo
; %bb.2679:                             ;   in Loop: Header=BB2_2268 Depth=2
	s_or_b32 exec_lo, exec_lo, s11
.LBB2_2680:                             ;   in Loop: Header=BB2_2268 Depth=2
	s_delay_alu instid0(SALU_CYCLE_1) | instskip(SKIP_3) | instid1(VALU_DEP_2)
	s_or_b32 exec_lo, exec_lo, s10
	v_and_b32_e32 v85, 0xff, v98
	v_dual_mov_b32 v34, 0 :: v_dual_mov_b32 v81, 0
	s_mov_b32 s10, exec_lo
	v_cmpx_ne_u16_e32 0, v85
	s_cbranch_execz .LBB2_2690
; %bb.2681:                             ;   in Loop: Header=BB2_2268 Depth=2
	v_bfrev_b32_e32 v81, 1
	s_mov_b32 s11, exec_lo
	v_cmpx_ne_u16_e32 0x80, v85
	s_cbranch_execz .LBB2_2689
; %bb.2682:                             ;   in Loop: Header=BB2_2268 Depth=2
	v_and_b32_e32 v81, 0x7c, v98
	v_and_b32_e32 v83, 3, v98
	s_delay_alu instid0(VALU_DEP_2) | instskip(SKIP_1) | instid1(SALU_CYCLE_1)
	v_cmp_ne_u32_e32 vcc_lo, 0x7c, v81
                                        ; implicit-def: $vgpr81
	s_and_saveexec_b32 s28, vcc_lo
	s_xor_b32 s28, exec_lo, s28
	s_cbranch_execz .LBB2_2686
; %bb.2683:                             ;   in Loop: Header=BB2_2268 Depth=2
	v_bfe_u32 v81, v85, 2, 5
	s_mov_b32 s29, exec_lo
	s_delay_alu instid0(VALU_DEP_1)
	v_cmpx_eq_u32_e32 0, v81
	s_cbranch_execz .LBB2_2685
; %bb.2684:                             ;   in Loop: Header=BB2_2268 Depth=2
	v_clz_i32_u32_e32 v81, v83
	s_delay_alu instid0(VALU_DEP_1) | instskip(SKIP_1) | instid1(VALU_DEP_2)
	v_min_u32_e32 v81, 32, v81
	v_mov_b32_e32 v99, v35
	v_subrev_nc_u32_e32 v83, 29, v81
	v_sub_nc_u32_e32 v81, 30, v81
	s_delay_alu instid0(VALU_DEP_2) | instskip(NEXT) | instid1(VALU_DEP_1)
	v_lshlrev_b64_e32 v[102:103], v83, v[98:99]
	v_and_b32_e32 v83, 3, v102
.LBB2_2685:                             ;   in Loop: Header=BB2_2268 Depth=2
	s_or_b32 exec_lo, exec_lo, s29
	v_lshlrev_b32_e32 v85, 24, v98
                                        ; implicit-def: $vgpr98
	s_delay_alu instid0(VALU_DEP_1) | instskip(NEXT) | instid1(VALU_DEP_1)
	v_and_b32_e32 v85, 0x80000000, v85
	v_lshl_add_u32 v81, v81, 23, v85
	s_delay_alu instid0(VALU_DEP_1) | instskip(NEXT) | instid1(VALU_DEP_1)
	v_lshl_or_b32 v81, v83, 21, v81
                                        ; implicit-def: $vgpr83
	v_add_nc_u32_e32 v81, 0x38000000, v81
.LBB2_2686:                             ;   in Loop: Header=BB2_2268 Depth=2
	s_and_not1_saveexec_b32 s28, s28
; %bb.2687:                             ;   in Loop: Header=BB2_2268 Depth=2
	v_bfe_i32 v81, v98, 0, 8
	s_delay_alu instid0(VALU_DEP_1) | instskip(SKIP_2) | instid1(VALU_DEP_2)
	v_cmp_lt_i16_e32 vcc_lo, -1, v81
	v_cndmask_b32_e32 v81, 0xff800000, v62, vcc_lo
	v_cmp_eq_u32_e32 vcc_lo, 0, v83
	v_cndmask_b32_e32 v81, 0x7f800001, v81, vcc_lo
; %bb.2688:                             ;   in Loop: Header=BB2_2268 Depth=2
	s_or_b32 exec_lo, exec_lo, s28
.LBB2_2689:                             ;   in Loop: Header=BB2_2268 Depth=2
	s_delay_alu instid0(SALU_CYCLE_1)
	s_or_b32 exec_lo, exec_lo, s11
.LBB2_2690:                             ;   in Loop: Header=BB2_2268 Depth=2
	s_delay_alu instid0(SALU_CYCLE_1) | instskip(NEXT) | instid1(SALU_CYCLE_1)
	s_or_b32 exec_lo, exec_lo, s10
	s_mov_b32 s10, exec_lo
	s_wait_loadcnt_dscnt 0x404
	v_cmpx_ne_u16_e32 0, v40
	s_cbranch_execz .LBB2_2700
; %bb.2691:                             ;   in Loop: Header=BB2_2268 Depth=2
	v_bfrev_b32_e32 v34, 1
	s_mov_b32 s11, exec_lo
	v_cmpx_ne_u16_e32 0xff80, v40
	s_cbranch_execz .LBB2_2699
; %bb.2692:                             ;   in Loop: Header=BB2_2268 Depth=2
	v_and_b32_e32 v34, 0x7c, v40
	v_and_b32_e32 v83, 3, v40
	s_delay_alu instid0(VALU_DEP_2) | instskip(SKIP_1) | instid1(SALU_CYCLE_1)
	v_cmp_ne_u32_e32 vcc_lo, 0x7c, v34
                                        ; implicit-def: $vgpr34
	s_and_saveexec_b32 s28, vcc_lo
	s_xor_b32 s28, exec_lo, s28
	s_cbranch_execz .LBB2_2696
; %bb.2693:                             ;   in Loop: Header=BB2_2268 Depth=2
	v_and_b32_e32 v34, 0xff, v40
	s_mov_b32 s29, exec_lo
	s_delay_alu instid0(VALU_DEP_1) | instskip(NEXT) | instid1(VALU_DEP_1)
	v_bfe_u32 v34, v34, 2, 5
	v_cmpx_eq_u32_e32 0, v34
	s_cbranch_execz .LBB2_2695
; %bb.2694:                             ;   in Loop: Header=BB2_2268 Depth=2
	v_clz_i32_u32_e32 v34, v83
	s_delay_alu instid0(VALU_DEP_1) | instskip(SKIP_1) | instid1(VALU_DEP_2)
	v_min_u32_e32 v34, 32, v34
	v_mov_b32_e32 v41, v35
	v_subrev_nc_u32_e32 v83, 29, v34
	v_sub_nc_u32_e32 v34, 30, v34
	s_delay_alu instid0(VALU_DEP_2) | instskip(NEXT) | instid1(VALU_DEP_1)
	v_lshlrev_b64_e32 v[98:99], v83, v[40:41]
	v_and_b32_e32 v83, 3, v98
.LBB2_2695:                             ;   in Loop: Header=BB2_2268 Depth=2
	s_or_b32 exec_lo, exec_lo, s29
	v_bfe_i32 v85, v40, 0, 16
                                        ; implicit-def: $vgpr40
	s_delay_alu instid0(VALU_DEP_1) | instskip(NEXT) | instid1(VALU_DEP_1)
	v_and_b32_e32 v85, 0x80000000, v85
	v_lshl_add_u32 v34, v34, 23, v85
	s_delay_alu instid0(VALU_DEP_1) | instskip(NEXT) | instid1(VALU_DEP_1)
	v_lshl_or_b32 v34, v83, 21, v34
                                        ; implicit-def: $vgpr83
	v_add_nc_u32_e32 v34, 0x38000000, v34
.LBB2_2696:                             ;   in Loop: Header=BB2_2268 Depth=2
	s_and_not1_saveexec_b32 s28, s28
; %bb.2697:                             ;   in Loop: Header=BB2_2268 Depth=2
	v_cmp_lt_i16_e32 vcc_lo, -1, v40
	v_cndmask_b32_e32 v34, 0xff800000, v62, vcc_lo
	v_cmp_eq_u32_e32 vcc_lo, 0, v83
	s_delay_alu instid0(VALU_DEP_2)
	v_cndmask_b32_e32 v34, 0x7f800001, v34, vcc_lo
; %bb.2698:                             ;   in Loop: Header=BB2_2268 Depth=2
	s_or_b32 exec_lo, exec_lo, s28
.LBB2_2699:                             ;   in Loop: Header=BB2_2268 Depth=2
	s_delay_alu instid0(SALU_CYCLE_1)
	s_or_b32 exec_lo, exec_lo, s11
.LBB2_2700:                             ;   in Loop: Header=BB2_2268 Depth=2
	s_delay_alu instid0(SALU_CYCLE_1) | instskip(NEXT) | instid1(VALU_DEP_1)
	s_or_b32 exec_lo, exec_lo, s10
	v_dual_add_f32 v83, v81, v34 :: v_dual_mov_b32 v99, v35
                                        ; implicit-def: $vgpr102
	s_mov_b32 s10, exec_lo
	s_delay_alu instid0(VALU_DEP_1) | instskip(SKIP_1) | instid1(VALU_DEP_2)
	v_and_b32_e32 v98, 0x7f800000, v83
	v_and_b32_e32 v34, 0x7fffff, v83
	v_cmpx_ne_u64_e32 0x7f800000, v[98:99]
	s_xor_b32 s11, exec_lo, s10
	s_cbranch_execz .LBB2_2718
; %bb.2701:                             ;   in Loop: Header=BB2_2268 Depth=2
	v_dual_mov_b32 v99, v35 :: v_dual_lshrrev_b32 v81, 24, v83
	v_and_b32_e32 v98, 0x7fffffff, v83
                                        ; implicit-def: $vgpr102
	s_mov_b32 s10, exec_lo
	s_delay_alu instid0(VALU_DEP_2) | instskip(NEXT) | instid1(VALU_DEP_2)
	v_and_b32_e32 v81, 0x80, v81
	v_cmpx_gt_u64_e32 0x47600001, v[98:99]
	s_xor_b32 s28, exec_lo, s10
	s_cbranch_execz .LBB2_2715
; %bb.2702:                             ;   in Loop: Header=BB2_2268 Depth=2
	v_mov_b32_e32 v102, 0
	s_mov_b32 s29, exec_lo
	v_cmpx_ne_u32_e32 0, v83
	s_cbranch_execz .LBB2_2714
; %bb.2703:                             ;   in Loop: Header=BB2_2268 Depth=2
	v_bfe_u32 v83, v83, 23, 8
	v_or_b32_e32 v97, 0x800000, v34
	s_delay_alu instid0(VALU_DEP_2) | instskip(SKIP_1) | instid1(VALU_DEP_2)
	v_sub_nc_u32_e32 v85, 0x71, v83
	v_cmp_gt_u32_e32 vcc_lo, 0x72, v83
	v_cndmask_b32_e32 v85, 0, v85, vcc_lo
	v_cmp_eq_u32_e32 vcc_lo, 0, v83
	s_delay_alu instid0(VALU_DEP_2) | instskip(NEXT) | instid1(VALU_DEP_1)
	v_cndmask_b32_e64 v85, v85, 0x70, vcc_lo
	v_dual_cndmask_b32 v34, v97, v34 :: v_dual_add_nc_u32 v87, 21, v85
	s_delay_alu instid0(VALU_DEP_1) | instskip(SKIP_1) | instid1(VALU_DEP_1)
	v_lshlrev_b64_e64 v[98:99], v87, -1
	v_add_nc_u32_e32 v87, 20, v85
	v_lshlrev_b64_e64 v[102:103], v87, 1
	s_delay_alu instid0(VALU_DEP_3) | instskip(NEXT) | instid1(VALU_DEP_4)
	v_bfi_b32 v41, v99, 0, 0
	v_bfi_b32 v40, v98, 0, v34
	v_lshrrev_b64 v[98:99], v85, v[34:35]
	s_delay_alu instid0(VALU_DEP_2) | instskip(NEXT) | instid1(VALU_DEP_2)
	v_cmp_eq_u64_e64 s10, v[40:41], v[102:103]
	v_mov_b64_e32 v[102:103], v[98:99]
	s_and_saveexec_b32 s40, s10
; %bb.2704:                             ;   in Loop: Header=BB2_2268 Depth=2
	v_bfe_u32 v34, v98, 21, 1
	s_delay_alu instid0(VALU_DEP_1) | instskip(NEXT) | instid1(VALU_DEP_1)
	v_add_nc_u64_e32 v[102:103], v[98:99], v[34:35]
	v_add_nc_u64_e32 v[102:103], -1, v[102:103]
; %bb.2705:                             ;   in Loop: Header=BB2_2268 Depth=2
	s_or_b32 exec_lo, exec_lo, s40
	v_add_nc_u32_e32 v34, 0xffffff81, v83
	v_lshrrev_b32_e32 v83, 23, v98
	s_mov_b32 s10, exec_lo
	s_delay_alu instid0(VALU_DEP_2) | instskip(NEXT) | instid1(VALU_DEP_1)
	v_cndmask_b32_e64 v34, v34, 0xffffff82, vcc_lo
	v_add3_u32 v85, v85, v34, v83
	v_and_b32_e32 v34, 0x1fffff, v102
                                        ; implicit-def: $vgpr83
	s_delay_alu instid0(VALU_DEP_1) | instskip(NEXT) | instid1(VALU_DEP_1)
	v_dual_add_nc_u32 v87, 14, v85 :: v_dual_add_nc_u32 v34, v34, v98
                                        ; implicit-def: $vgpr98_vgpr99
	v_cmpx_ne_u32_e32 0, v87
	s_xor_b32 s10, exec_lo, s10
; %bb.2706:                             ;   in Loop: Header=BB2_2268 Depth=2
	s_delay_alu instid0(VALU_DEP_2) | instskip(SKIP_2) | instid1(VALU_DEP_2)
	v_cmp_lt_u64_e32 vcc_lo, 0xffffff, v[34:35]
	v_add_nc_u32_e32 v83, 15, v85
	v_cndmask_b32_e64 v85, 0, 1, vcc_lo
	v_cndmask_b32_e32 v83, v87, v83, vcc_lo
	s_delay_alu instid0(VALU_DEP_2)
	v_lshrrev_b64 v[98:99], v85, v[34:35]
; %bb.2707:                             ;   in Loop: Header=BB2_2268 Depth=2
	s_and_not1_saveexec_b32 s10, s10
; %bb.2708:                             ;   in Loop: Header=BB2_2268 Depth=2
	v_mov_b64_e32 v[98:99], v[34:35]
	v_bfe_u32 v83, v34, 23, 1
; %bb.2709:                             ;   in Loop: Header=BB2_2268 Depth=2
	s_or_b32 exec_lo, exec_lo, s10
	s_delay_alu instid0(VALU_DEP_2) | instskip(NEXT) | instid1(VALU_DEP_2)
	v_lshrrev_b64 v[98:99], 21, v[98:99]
	v_cmp_gt_i32_e32 vcc_lo, 32, v83
	v_cmp_ne_u32_e64 s10, 0, v83
                                        ; implicit-def: $vgpr102
	s_delay_alu instid0(VALU_DEP_3) | instskip(NEXT) | instid1(VALU_DEP_1)
	v_dual_cndmask_b32 v99, 0, v99 :: v_dual_cndmask_b32 v98, 3, v98
	v_cmp_ne_u64_e32 vcc_lo, 0, v[98:99]
	s_or_b32 s10, s10, vcc_lo
	s_delay_alu instid0(SALU_CYCLE_1) | instskip(NEXT) | instid1(SALU_CYCLE_1)
	s_and_saveexec_b32 s40, s10
	s_xor_b32 s10, exec_lo, s40
; %bb.2710:                             ;   in Loop: Header=BB2_2268 Depth=2
	v_min_i32_e32 v34, 31, v83
	s_delay_alu instid0(VALU_DEP_1) | instskip(NEXT) | instid1(VALU_DEP_1)
	v_lshl_or_b32 v34, v34, 2, v81
                                        ; implicit-def: $vgpr81
	v_and_or_b32 v102, v98, 3, v34
; %bb.2711:                             ;   in Loop: Header=BB2_2268 Depth=2
	s_and_not1_saveexec_b32 s10, s10
; %bb.2712:                             ;   in Loop: Header=BB2_2268 Depth=2
	v_mov_b32_e32 v102, v81
; %bb.2713:                             ;   in Loop: Header=BB2_2268 Depth=2
	s_or_b32 exec_lo, exec_lo, s10
.LBB2_2714:                             ;   in Loop: Header=BB2_2268 Depth=2
	s_delay_alu instid0(SALU_CYCLE_1)
	s_or_b32 exec_lo, exec_lo, s29
                                        ; implicit-def: $vgpr81
.LBB2_2715:                             ;   in Loop: Header=BB2_2268 Depth=2
	s_and_not1_saveexec_b32 s10, s28
; %bb.2716:                             ;   in Loop: Header=BB2_2268 Depth=2
	v_or_b32_e32 v102, 0x7b, v81
; %bb.2717:                             ;   in Loop: Header=BB2_2268 Depth=2
	s_or_b32 exec_lo, exec_lo, s10
                                        ; implicit-def: $vgpr83
.LBB2_2718:                             ;   in Loop: Header=BB2_2268 Depth=2
	s_and_not1_saveexec_b32 s10, s11
	s_cbranch_execz .LBB2_2724
; %bb.2719:                             ;   in Loop: Header=BB2_2268 Depth=2
	s_mov_b32 s11, exec_lo
                                        ; implicit-def: $vgpr102
	v_cmpx_ne_u64_e32 0, v[34:35]
	s_xor_b32 s11, exec_lo, s11
; %bb.2720:                             ;   in Loop: Header=BB2_2268 Depth=2
	v_lshrrev_b32_e32 v34, 24, v83
                                        ; implicit-def: $vgpr83
	s_delay_alu instid0(VALU_DEP_1)
	v_or_b32_e32 v102, 0x7f, v34
; %bb.2721:                             ;   in Loop: Header=BB2_2268 Depth=2
	s_and_not1_saveexec_b32 s11, s11
; %bb.2722:                             ;   in Loop: Header=BB2_2268 Depth=2
	v_cmp_lt_i32_e32 vcc_lo, -1, v83
	v_cndmask_b32_e64 v102, -4, 0x7c, vcc_lo
; %bb.2723:                             ;   in Loop: Header=BB2_2268 Depth=2
	s_or_b32 exec_lo, exec_lo, s11
.LBB2_2724:                             ;   in Loop: Header=BB2_2268 Depth=2
	s_delay_alu instid0(SALU_CYCLE_1) | instskip(SKIP_3) | instid1(VALU_DEP_2)
	s_or_b32 exec_lo, exec_lo, s10
	v_and_b32_e32 v85, 0xff, v96
	v_dual_mov_b32 v34, 0 :: v_dual_mov_b32 v81, 0
	s_mov_b32 s10, exec_lo
	v_cmpx_ne_u16_e32 0, v85
	s_cbranch_execz .LBB2_2734
; %bb.2725:                             ;   in Loop: Header=BB2_2268 Depth=2
	v_bfrev_b32_e32 v81, 1
	s_mov_b32 s11, exec_lo
	v_cmpx_ne_u16_e32 0x80, v85
	s_cbranch_execz .LBB2_2733
; %bb.2726:                             ;   in Loop: Header=BB2_2268 Depth=2
	v_and_b32_e32 v81, 0x7c, v96
	v_and_b32_e32 v83, 3, v96
	s_delay_alu instid0(VALU_DEP_2) | instskip(SKIP_1) | instid1(SALU_CYCLE_1)
	v_cmp_ne_u32_e32 vcc_lo, 0x7c, v81
                                        ; implicit-def: $vgpr81
	s_and_saveexec_b32 s28, vcc_lo
	s_xor_b32 s28, exec_lo, s28
	s_cbranch_execz .LBB2_2730
; %bb.2727:                             ;   in Loop: Header=BB2_2268 Depth=2
	v_bfe_u32 v81, v85, 2, 5
	s_mov_b32 s29, exec_lo
	s_delay_alu instid0(VALU_DEP_1)
	v_cmpx_eq_u32_e32 0, v81
	s_cbranch_execz .LBB2_2729
; %bb.2728:                             ;   in Loop: Header=BB2_2268 Depth=2
	v_clz_i32_u32_e32 v81, v83
	s_delay_alu instid0(VALU_DEP_1) | instskip(SKIP_1) | instid1(VALU_DEP_2)
	v_min_u32_e32 v81, 32, v81
	v_mov_b32_e32 v97, v35
	v_subrev_nc_u32_e32 v83, 29, v81
	v_sub_nc_u32_e32 v81, 30, v81
	s_delay_alu instid0(VALU_DEP_2) | instskip(NEXT) | instid1(VALU_DEP_1)
	v_lshlrev_b64_e32 v[98:99], v83, v[96:97]
	v_and_b32_e32 v83, 3, v98
.LBB2_2729:                             ;   in Loop: Header=BB2_2268 Depth=2
	s_or_b32 exec_lo, exec_lo, s29
	v_lshlrev_b32_e32 v85, 24, v96
                                        ; implicit-def: $vgpr96
	s_delay_alu instid0(VALU_DEP_1) | instskip(NEXT) | instid1(VALU_DEP_1)
	v_and_b32_e32 v85, 0x80000000, v85
	v_lshl_add_u32 v81, v81, 23, v85
	s_delay_alu instid0(VALU_DEP_1) | instskip(NEXT) | instid1(VALU_DEP_1)
	v_lshl_or_b32 v81, v83, 21, v81
                                        ; implicit-def: $vgpr83
	v_add_nc_u32_e32 v81, 0x38000000, v81
.LBB2_2730:                             ;   in Loop: Header=BB2_2268 Depth=2
	s_and_not1_saveexec_b32 s28, s28
; %bb.2731:                             ;   in Loop: Header=BB2_2268 Depth=2
	v_bfe_i32 v81, v96, 0, 8
	s_delay_alu instid0(VALU_DEP_1) | instskip(SKIP_2) | instid1(VALU_DEP_2)
	v_cmp_lt_i16_e32 vcc_lo, -1, v81
	v_cndmask_b32_e32 v81, 0xff800000, v62, vcc_lo
	v_cmp_eq_u32_e32 vcc_lo, 0, v83
	v_cndmask_b32_e32 v81, 0x7f800001, v81, vcc_lo
; %bb.2732:                             ;   in Loop: Header=BB2_2268 Depth=2
	s_or_b32 exec_lo, exec_lo, s28
.LBB2_2733:                             ;   in Loop: Header=BB2_2268 Depth=2
	s_delay_alu instid0(SALU_CYCLE_1)
	s_or_b32 exec_lo, exec_lo, s11
.LBB2_2734:                             ;   in Loop: Header=BB2_2268 Depth=2
	s_delay_alu instid0(SALU_CYCLE_1) | instskip(NEXT) | instid1(SALU_CYCLE_1)
	s_or_b32 exec_lo, exec_lo, s10
	s_mov_b32 s10, exec_lo
	s_wait_loadcnt_dscnt 0x303
	v_cmpx_ne_u16_e32 0, v118
	s_cbranch_execz .LBB2_2744
; %bb.2735:                             ;   in Loop: Header=BB2_2268 Depth=2
	v_bfrev_b32_e32 v34, 1
	s_mov_b32 s11, exec_lo
	v_cmpx_ne_u16_e32 0xff80, v118
	s_cbranch_execz .LBB2_2743
; %bb.2736:                             ;   in Loop: Header=BB2_2268 Depth=2
	v_and_b32_e32 v34, 0x7c, v118
	v_and_b32_e32 v83, 3, v118
	s_delay_alu instid0(VALU_DEP_2) | instskip(SKIP_1) | instid1(SALU_CYCLE_1)
	v_cmp_ne_u32_e32 vcc_lo, 0x7c, v34
                                        ; implicit-def: $vgpr34
	s_and_saveexec_b32 s28, vcc_lo
	s_xor_b32 s28, exec_lo, s28
	s_cbranch_execz .LBB2_2740
; %bb.2737:                             ;   in Loop: Header=BB2_2268 Depth=2
	v_and_b32_e32 v34, 0xff, v118
	s_mov_b32 s29, exec_lo
	s_delay_alu instid0(VALU_DEP_1) | instskip(NEXT) | instid1(VALU_DEP_1)
	v_bfe_u32 v34, v34, 2, 5
	v_cmpx_eq_u32_e32 0, v34
	s_cbranch_execz .LBB2_2739
; %bb.2738:                             ;   in Loop: Header=BB2_2268 Depth=2
	v_clz_i32_u32_e32 v34, v83
	s_delay_alu instid0(VALU_DEP_1) | instskip(SKIP_1) | instid1(VALU_DEP_2)
	v_min_u32_e32 v34, 32, v34
	v_mov_b32_e32 v119, v35
	v_subrev_nc_u32_e32 v83, 29, v34
	v_sub_nc_u32_e32 v34, 30, v34
	s_delay_alu instid0(VALU_DEP_2) | instskip(NEXT) | instid1(VALU_DEP_1)
	v_lshlrev_b64_e32 v[96:97], v83, v[118:119]
	v_and_b32_e32 v83, 3, v96
.LBB2_2739:                             ;   in Loop: Header=BB2_2268 Depth=2
	s_or_b32 exec_lo, exec_lo, s29
	v_bfe_i32 v85, v118, 0, 16
                                        ; implicit-def: $vgpr118
	s_delay_alu instid0(VALU_DEP_1) | instskip(NEXT) | instid1(VALU_DEP_1)
	v_and_b32_e32 v85, 0x80000000, v85
	v_lshl_add_u32 v34, v34, 23, v85
	s_delay_alu instid0(VALU_DEP_1) | instskip(NEXT) | instid1(VALU_DEP_1)
	v_lshl_or_b32 v34, v83, 21, v34
                                        ; implicit-def: $vgpr83
	v_add_nc_u32_e32 v34, 0x38000000, v34
.LBB2_2740:                             ;   in Loop: Header=BB2_2268 Depth=2
	s_and_not1_saveexec_b32 s28, s28
; %bb.2741:                             ;   in Loop: Header=BB2_2268 Depth=2
	v_cmp_lt_i16_e32 vcc_lo, -1, v118
	v_cndmask_b32_e32 v34, 0xff800000, v62, vcc_lo
	v_cmp_eq_u32_e32 vcc_lo, 0, v83
	s_delay_alu instid0(VALU_DEP_2)
	v_cndmask_b32_e32 v34, 0x7f800001, v34, vcc_lo
; %bb.2742:                             ;   in Loop: Header=BB2_2268 Depth=2
	s_or_b32 exec_lo, exec_lo, s28
.LBB2_2743:                             ;   in Loop: Header=BB2_2268 Depth=2
	s_delay_alu instid0(SALU_CYCLE_1)
	s_or_b32 exec_lo, exec_lo, s11
.LBB2_2744:                             ;   in Loop: Header=BB2_2268 Depth=2
	s_delay_alu instid0(SALU_CYCLE_1) | instskip(NEXT) | instid1(VALU_DEP_1)
	s_or_b32 exec_lo, exec_lo, s10
	v_dual_add_f32 v83, v81, v34 :: v_dual_mov_b32 v97, v35
                                        ; implicit-def: $vgpr98
	s_mov_b32 s10, exec_lo
	s_delay_alu instid0(VALU_DEP_1) | instskip(SKIP_1) | instid1(VALU_DEP_2)
	v_and_b32_e32 v96, 0x7f800000, v83
	v_and_b32_e32 v34, 0x7fffff, v83
	v_cmpx_ne_u64_e32 0x7f800000, v[96:97]
	s_xor_b32 s11, exec_lo, s10
	s_cbranch_execz .LBB2_2762
; %bb.2745:                             ;   in Loop: Header=BB2_2268 Depth=2
	v_dual_mov_b32 v97, v35 :: v_dual_lshrrev_b32 v81, 24, v83
	v_and_b32_e32 v96, 0x7fffffff, v83
                                        ; implicit-def: $vgpr98
	s_mov_b32 s10, exec_lo
	s_delay_alu instid0(VALU_DEP_2) | instskip(NEXT) | instid1(VALU_DEP_2)
	v_and_b32_e32 v81, 0x80, v81
	v_cmpx_gt_u64_e32 0x47600001, v[96:97]
	s_xor_b32 s28, exec_lo, s10
	s_cbranch_execz .LBB2_2759
; %bb.2746:                             ;   in Loop: Header=BB2_2268 Depth=2
	v_mov_b32_e32 v98, 0
	s_mov_b32 s29, exec_lo
	v_cmpx_ne_u32_e32 0, v83
	s_cbranch_execz .LBB2_2758
; %bb.2747:                             ;   in Loop: Header=BB2_2268 Depth=2
	v_bfe_u32 v83, v83, 23, 8
	v_or_b32_e32 v98, 0x800000, v34
	s_delay_alu instid0(VALU_DEP_2) | instskip(SKIP_1) | instid1(VALU_DEP_2)
	v_sub_nc_u32_e32 v85, 0x71, v83
	v_cmp_gt_u32_e32 vcc_lo, 0x72, v83
	v_cndmask_b32_e32 v85, 0, v85, vcc_lo
	v_cmp_eq_u32_e32 vcc_lo, 0, v83
	s_delay_alu instid0(VALU_DEP_2) | instskip(NEXT) | instid1(VALU_DEP_1)
	v_cndmask_b32_e64 v85, v85, 0x70, vcc_lo
	v_dual_cndmask_b32 v34, v98, v34 :: v_dual_add_nc_u32 v87, 21, v85
	s_delay_alu instid0(VALU_DEP_1) | instskip(SKIP_1) | instid1(VALU_DEP_1)
	v_lshlrev_b64_e64 v[96:97], v87, -1
	v_add_nc_u32_e32 v87, 20, v85
	v_lshlrev_b64_e64 v[98:99], v87, 1
	s_delay_alu instid0(VALU_DEP_3) | instskip(NEXT) | instid1(VALU_DEP_4)
	v_bfi_b32 v119, v97, 0, 0
	v_bfi_b32 v118, v96, 0, v34
	v_lshrrev_b64 v[96:97], v85, v[34:35]
	s_delay_alu instid0(VALU_DEP_2) | instskip(NEXT) | instid1(VALU_DEP_2)
	v_cmp_eq_u64_e64 s10, v[118:119], v[98:99]
	v_mov_b64_e32 v[98:99], v[96:97]
	s_and_saveexec_b32 s40, s10
; %bb.2748:                             ;   in Loop: Header=BB2_2268 Depth=2
	v_bfe_u32 v34, v96, 21, 1
	s_delay_alu instid0(VALU_DEP_1) | instskip(NEXT) | instid1(VALU_DEP_1)
	v_add_nc_u64_e32 v[98:99], v[96:97], v[34:35]
	v_add_nc_u64_e32 v[98:99], -1, v[98:99]
; %bb.2749:                             ;   in Loop: Header=BB2_2268 Depth=2
	s_or_b32 exec_lo, exec_lo, s40
	v_add_nc_u32_e32 v34, 0xffffff81, v83
	v_lshrrev_b32_e32 v83, 23, v96
	s_mov_b32 s10, exec_lo
	s_delay_alu instid0(VALU_DEP_2) | instskip(NEXT) | instid1(VALU_DEP_1)
	v_cndmask_b32_e64 v34, v34, 0xffffff82, vcc_lo
	v_add3_u32 v85, v85, v34, v83
	v_and_b32_e32 v34, 0x1fffff, v98
                                        ; implicit-def: $vgpr83
	s_delay_alu instid0(VALU_DEP_1) | instskip(NEXT) | instid1(VALU_DEP_1)
	v_dual_add_nc_u32 v87, 14, v85 :: v_dual_add_nc_u32 v34, v34, v96
                                        ; implicit-def: $vgpr96_vgpr97
	v_cmpx_ne_u32_e32 0, v87
	s_xor_b32 s10, exec_lo, s10
; %bb.2750:                             ;   in Loop: Header=BB2_2268 Depth=2
	s_delay_alu instid0(VALU_DEP_2) | instskip(SKIP_2) | instid1(VALU_DEP_2)
	v_cmp_lt_u64_e32 vcc_lo, 0xffffff, v[34:35]
	v_add_nc_u32_e32 v83, 15, v85
	v_cndmask_b32_e64 v85, 0, 1, vcc_lo
	v_cndmask_b32_e32 v83, v87, v83, vcc_lo
	s_delay_alu instid0(VALU_DEP_2)
	v_lshrrev_b64 v[96:97], v85, v[34:35]
; %bb.2751:                             ;   in Loop: Header=BB2_2268 Depth=2
	s_and_not1_saveexec_b32 s10, s10
; %bb.2752:                             ;   in Loop: Header=BB2_2268 Depth=2
	v_mov_b64_e32 v[96:97], v[34:35]
	v_bfe_u32 v83, v34, 23, 1
; %bb.2753:                             ;   in Loop: Header=BB2_2268 Depth=2
	s_or_b32 exec_lo, exec_lo, s10
	s_delay_alu instid0(VALU_DEP_2) | instskip(NEXT) | instid1(VALU_DEP_2)
	v_lshrrev_b64 v[96:97], 21, v[96:97]
	v_cmp_gt_i32_e32 vcc_lo, 32, v83
	v_cmp_ne_u32_e64 s10, 0, v83
                                        ; implicit-def: $vgpr98
	s_delay_alu instid0(VALU_DEP_3) | instskip(NEXT) | instid1(VALU_DEP_1)
	v_dual_cndmask_b32 v97, 0, v97 :: v_dual_cndmask_b32 v96, 3, v96
	v_cmp_ne_u64_e32 vcc_lo, 0, v[96:97]
	s_or_b32 s10, s10, vcc_lo
	s_delay_alu instid0(SALU_CYCLE_1) | instskip(NEXT) | instid1(SALU_CYCLE_1)
	s_and_saveexec_b32 s40, s10
	s_xor_b32 s10, exec_lo, s40
; %bb.2754:                             ;   in Loop: Header=BB2_2268 Depth=2
	v_min_i32_e32 v34, 31, v83
	s_delay_alu instid0(VALU_DEP_1) | instskip(NEXT) | instid1(VALU_DEP_1)
	v_lshl_or_b32 v34, v34, 2, v81
                                        ; implicit-def: $vgpr81
	v_and_or_b32 v98, v96, 3, v34
; %bb.2755:                             ;   in Loop: Header=BB2_2268 Depth=2
	s_and_not1_saveexec_b32 s10, s10
; %bb.2756:                             ;   in Loop: Header=BB2_2268 Depth=2
	v_mov_b32_e32 v98, v81
; %bb.2757:                             ;   in Loop: Header=BB2_2268 Depth=2
	s_or_b32 exec_lo, exec_lo, s10
.LBB2_2758:                             ;   in Loop: Header=BB2_2268 Depth=2
	s_delay_alu instid0(SALU_CYCLE_1)
	s_or_b32 exec_lo, exec_lo, s29
                                        ; implicit-def: $vgpr81
.LBB2_2759:                             ;   in Loop: Header=BB2_2268 Depth=2
	s_and_not1_saveexec_b32 s10, s28
; %bb.2760:                             ;   in Loop: Header=BB2_2268 Depth=2
	v_or_b32_e32 v98, 0x7b, v81
; %bb.2761:                             ;   in Loop: Header=BB2_2268 Depth=2
	s_or_b32 exec_lo, exec_lo, s10
                                        ; implicit-def: $vgpr83
.LBB2_2762:                             ;   in Loop: Header=BB2_2268 Depth=2
	s_and_not1_saveexec_b32 s10, s11
	s_cbranch_execz .LBB2_2768
; %bb.2763:                             ;   in Loop: Header=BB2_2268 Depth=2
	s_mov_b32 s11, exec_lo
                                        ; implicit-def: $vgpr98
	v_cmpx_ne_u64_e32 0, v[34:35]
	s_xor_b32 s11, exec_lo, s11
; %bb.2764:                             ;   in Loop: Header=BB2_2268 Depth=2
	v_lshrrev_b32_e32 v34, 24, v83
                                        ; implicit-def: $vgpr83
	s_delay_alu instid0(VALU_DEP_1)
	v_or_b32_e32 v98, 0x7f, v34
; %bb.2765:                             ;   in Loop: Header=BB2_2268 Depth=2
	s_and_not1_saveexec_b32 s11, s11
; %bb.2766:                             ;   in Loop: Header=BB2_2268 Depth=2
	v_cmp_lt_i32_e32 vcc_lo, -1, v83
	v_cndmask_b32_e64 v98, -4, 0x7c, vcc_lo
; %bb.2767:                             ;   in Loop: Header=BB2_2268 Depth=2
	s_or_b32 exec_lo, exec_lo, s11
.LBB2_2768:                             ;   in Loop: Header=BB2_2268 Depth=2
	s_delay_alu instid0(SALU_CYCLE_1) | instskip(SKIP_3) | instid1(VALU_DEP_2)
	s_or_b32 exec_lo, exec_lo, s10
	v_and_b32_e32 v85, 0xff, v86
	v_dual_mov_b32 v34, 0 :: v_dual_mov_b32 v81, 0
	s_mov_b32 s10, exec_lo
	v_cmpx_ne_u16_e32 0, v85
	s_cbranch_execz .LBB2_2778
; %bb.2769:                             ;   in Loop: Header=BB2_2268 Depth=2
	v_bfrev_b32_e32 v81, 1
	s_mov_b32 s11, exec_lo
	v_cmpx_ne_u16_e32 0x80, v85
	s_cbranch_execz .LBB2_2777
; %bb.2770:                             ;   in Loop: Header=BB2_2268 Depth=2
	v_and_b32_e32 v81, 0x7c, v86
	v_and_b32_e32 v83, 3, v86
	s_delay_alu instid0(VALU_DEP_2) | instskip(SKIP_1) | instid1(SALU_CYCLE_1)
	v_cmp_ne_u32_e32 vcc_lo, 0x7c, v81
                                        ; implicit-def: $vgpr81
	s_and_saveexec_b32 s28, vcc_lo
	s_xor_b32 s28, exec_lo, s28
	s_cbranch_execz .LBB2_2774
; %bb.2771:                             ;   in Loop: Header=BB2_2268 Depth=2
	v_bfe_u32 v81, v85, 2, 5
	s_mov_b32 s29, exec_lo
	s_delay_alu instid0(VALU_DEP_1)
	v_cmpx_eq_u32_e32 0, v81
	s_cbranch_execz .LBB2_2773
; %bb.2772:                             ;   in Loop: Header=BB2_2268 Depth=2
	v_clz_i32_u32_e32 v81, v83
	s_delay_alu instid0(VALU_DEP_1) | instskip(SKIP_1) | instid1(VALU_DEP_2)
	v_min_u32_e32 v81, 32, v81
	v_mov_b32_e32 v87, v35
	v_subrev_nc_u32_e32 v83, 29, v81
	v_sub_nc_u32_e32 v81, 30, v81
	s_delay_alu instid0(VALU_DEP_2) | instskip(NEXT) | instid1(VALU_DEP_1)
	v_lshlrev_b64_e32 v[96:97], v83, v[86:87]
	v_and_b32_e32 v83, 3, v96
.LBB2_2773:                             ;   in Loop: Header=BB2_2268 Depth=2
	s_or_b32 exec_lo, exec_lo, s29
	v_lshlrev_b32_e32 v85, 24, v86
                                        ; implicit-def: $vgpr86
	s_delay_alu instid0(VALU_DEP_1) | instskip(NEXT) | instid1(VALU_DEP_1)
	v_and_b32_e32 v85, 0x80000000, v85
	v_lshl_add_u32 v81, v81, 23, v85
	s_delay_alu instid0(VALU_DEP_1) | instskip(NEXT) | instid1(VALU_DEP_1)
	v_lshl_or_b32 v81, v83, 21, v81
                                        ; implicit-def: $vgpr83
	v_add_nc_u32_e32 v81, 0x38000000, v81
.LBB2_2774:                             ;   in Loop: Header=BB2_2268 Depth=2
	s_and_not1_saveexec_b32 s28, s28
; %bb.2775:                             ;   in Loop: Header=BB2_2268 Depth=2
	v_bfe_i32 v81, v86, 0, 8
	s_delay_alu instid0(VALU_DEP_1) | instskip(SKIP_2) | instid1(VALU_DEP_2)
	v_cmp_lt_i16_e32 vcc_lo, -1, v81
	v_cndmask_b32_e32 v81, 0xff800000, v62, vcc_lo
	v_cmp_eq_u32_e32 vcc_lo, 0, v83
	v_cndmask_b32_e32 v81, 0x7f800001, v81, vcc_lo
; %bb.2776:                             ;   in Loop: Header=BB2_2268 Depth=2
	s_or_b32 exec_lo, exec_lo, s28
.LBB2_2777:                             ;   in Loop: Header=BB2_2268 Depth=2
	s_delay_alu instid0(SALU_CYCLE_1)
	s_or_b32 exec_lo, exec_lo, s11
.LBB2_2778:                             ;   in Loop: Header=BB2_2268 Depth=2
	s_delay_alu instid0(SALU_CYCLE_1) | instskip(NEXT) | instid1(SALU_CYCLE_1)
	s_or_b32 exec_lo, exec_lo, s10
	s_mov_b32 s10, exec_lo
	s_wait_loadcnt_dscnt 0x202
	v_cmpx_ne_u16_e32 0, v116
	s_cbranch_execz .LBB2_2788
; %bb.2779:                             ;   in Loop: Header=BB2_2268 Depth=2
	v_bfrev_b32_e32 v34, 1
	s_mov_b32 s11, exec_lo
	v_cmpx_ne_u16_e32 0xff80, v116
	s_cbranch_execz .LBB2_2787
; %bb.2780:                             ;   in Loop: Header=BB2_2268 Depth=2
	v_and_b32_e32 v34, 0x7c, v116
	v_and_b32_e32 v83, 3, v116
	s_delay_alu instid0(VALU_DEP_2) | instskip(SKIP_1) | instid1(SALU_CYCLE_1)
	v_cmp_ne_u32_e32 vcc_lo, 0x7c, v34
                                        ; implicit-def: $vgpr34
	s_and_saveexec_b32 s28, vcc_lo
	s_xor_b32 s28, exec_lo, s28
	s_cbranch_execz .LBB2_2784
; %bb.2781:                             ;   in Loop: Header=BB2_2268 Depth=2
	v_and_b32_e32 v34, 0xff, v116
	s_mov_b32 s29, exec_lo
	s_delay_alu instid0(VALU_DEP_1) | instskip(NEXT) | instid1(VALU_DEP_1)
	v_bfe_u32 v34, v34, 2, 5
	v_cmpx_eq_u32_e32 0, v34
	s_cbranch_execz .LBB2_2783
; %bb.2782:                             ;   in Loop: Header=BB2_2268 Depth=2
	v_clz_i32_u32_e32 v34, v83
	s_delay_alu instid0(VALU_DEP_1) | instskip(SKIP_1) | instid1(VALU_DEP_2)
	v_min_u32_e32 v34, 32, v34
	v_mov_b32_e32 v117, v35
	v_subrev_nc_u32_e32 v83, 29, v34
	v_sub_nc_u32_e32 v34, 30, v34
	s_delay_alu instid0(VALU_DEP_2) | instskip(NEXT) | instid1(VALU_DEP_1)
	v_lshlrev_b64_e32 v[86:87], v83, v[116:117]
	v_and_b32_e32 v83, 3, v86
.LBB2_2783:                             ;   in Loop: Header=BB2_2268 Depth=2
	s_or_b32 exec_lo, exec_lo, s29
	v_bfe_i32 v85, v116, 0, 16
                                        ; implicit-def: $vgpr116
	s_delay_alu instid0(VALU_DEP_1) | instskip(NEXT) | instid1(VALU_DEP_1)
	v_and_b32_e32 v85, 0x80000000, v85
	v_lshl_add_u32 v34, v34, 23, v85
	s_delay_alu instid0(VALU_DEP_1) | instskip(NEXT) | instid1(VALU_DEP_1)
	v_lshl_or_b32 v34, v83, 21, v34
                                        ; implicit-def: $vgpr83
	v_add_nc_u32_e32 v34, 0x38000000, v34
.LBB2_2784:                             ;   in Loop: Header=BB2_2268 Depth=2
	s_and_not1_saveexec_b32 s28, s28
; %bb.2785:                             ;   in Loop: Header=BB2_2268 Depth=2
	v_cmp_lt_i16_e32 vcc_lo, -1, v116
	v_cndmask_b32_e32 v34, 0xff800000, v62, vcc_lo
	v_cmp_eq_u32_e32 vcc_lo, 0, v83
	s_delay_alu instid0(VALU_DEP_2)
	v_cndmask_b32_e32 v34, 0x7f800001, v34, vcc_lo
; %bb.2786:                             ;   in Loop: Header=BB2_2268 Depth=2
	s_or_b32 exec_lo, exec_lo, s28
.LBB2_2787:                             ;   in Loop: Header=BB2_2268 Depth=2
	s_delay_alu instid0(SALU_CYCLE_1)
	s_or_b32 exec_lo, exec_lo, s11
.LBB2_2788:                             ;   in Loop: Header=BB2_2268 Depth=2
	s_delay_alu instid0(SALU_CYCLE_1) | instskip(NEXT) | instid1(VALU_DEP_1)
	s_or_b32 exec_lo, exec_lo, s10
	v_dual_add_f32 v83, v81, v34 :: v_dual_mov_b32 v87, v35
                                        ; implicit-def: $vgpr96
	s_mov_b32 s10, exec_lo
	s_delay_alu instid0(VALU_DEP_1) | instskip(SKIP_1) | instid1(VALU_DEP_2)
	v_and_b32_e32 v86, 0x7f800000, v83
	v_and_b32_e32 v34, 0x7fffff, v83
	v_cmpx_ne_u64_e32 0x7f800000, v[86:87]
	s_xor_b32 s11, exec_lo, s10
	s_cbranch_execz .LBB2_2806
; %bb.2789:                             ;   in Loop: Header=BB2_2268 Depth=2
	v_dual_mov_b32 v87, v35 :: v_dual_lshrrev_b32 v81, 24, v83
	v_and_b32_e32 v86, 0x7fffffff, v83
                                        ; implicit-def: $vgpr96
	s_mov_b32 s10, exec_lo
	s_delay_alu instid0(VALU_DEP_2) | instskip(NEXT) | instid1(VALU_DEP_2)
	v_and_b32_e32 v81, 0x80, v81
	v_cmpx_gt_u64_e32 0x47600001, v[86:87]
	s_xor_b32 s28, exec_lo, s10
	s_cbranch_execz .LBB2_2803
; %bb.2790:                             ;   in Loop: Header=BB2_2268 Depth=2
	v_mov_b32_e32 v96, 0
	s_mov_b32 s29, exec_lo
	v_cmpx_ne_u32_e32 0, v83
	s_cbranch_execz .LBB2_2802
; %bb.2791:                             ;   in Loop: Header=BB2_2268 Depth=2
	v_bfe_u32 v83, v83, 23, 8
	v_or_b32_e32 v96, 0x800000, v34
	s_delay_alu instid0(VALU_DEP_2) | instskip(SKIP_1) | instid1(VALU_DEP_2)
	v_sub_nc_u32_e32 v85, 0x71, v83
	v_cmp_gt_u32_e32 vcc_lo, 0x72, v83
	v_cndmask_b32_e32 v85, 0, v85, vcc_lo
	v_cmp_eq_u32_e32 vcc_lo, 0, v83
	s_delay_alu instid0(VALU_DEP_2) | instskip(NEXT) | instid1(VALU_DEP_1)
	v_cndmask_b32_e64 v85, v85, 0x70, vcc_lo
	v_dual_cndmask_b32 v34, v96, v34, vcc_lo :: v_dual_add_nc_u32 v86, 21, v85
	v_add_nc_u32_e32 v97, 20, v85
	s_delay_alu instid0(VALU_DEP_2) | instskip(NEXT) | instid1(VALU_DEP_2)
	v_lshlrev_b64_e64 v[86:87], v86, -1
	v_lshlrev_b64_e64 v[96:97], v97, 1
	s_delay_alu instid0(VALU_DEP_2) | instskip(NEXT) | instid1(VALU_DEP_3)
	v_bfi_b32 v117, v87, 0, 0
	v_bfi_b32 v116, v86, 0, v34
	v_lshrrev_b64 v[86:87], v85, v[34:35]
	s_delay_alu instid0(VALU_DEP_2) | instskip(NEXT) | instid1(VALU_DEP_2)
	v_cmp_eq_u64_e64 s10, v[116:117], v[96:97]
	v_mov_b64_e32 v[96:97], v[86:87]
	s_and_saveexec_b32 s40, s10
; %bb.2792:                             ;   in Loop: Header=BB2_2268 Depth=2
	v_bfe_u32 v34, v86, 21, 1
	s_delay_alu instid0(VALU_DEP_1) | instskip(NEXT) | instid1(VALU_DEP_1)
	v_add_nc_u64_e32 v[96:97], v[86:87], v[34:35]
	v_add_nc_u64_e32 v[96:97], -1, v[96:97]
; %bb.2793:                             ;   in Loop: Header=BB2_2268 Depth=2
	s_or_b32 exec_lo, exec_lo, s40
	v_add_nc_u32_e32 v34, 0xffffff81, v83
	v_lshrrev_b32_e32 v83, 23, v86
	s_mov_b32 s10, exec_lo
	s_delay_alu instid0(VALU_DEP_2) | instskip(NEXT) | instid1(VALU_DEP_1)
	v_cndmask_b32_e64 v34, v34, 0xffffff82, vcc_lo
	v_add3_u32 v85, v85, v34, v83
	v_and_b32_e32 v34, 0x1fffff, v96
                                        ; implicit-def: $vgpr83
	s_delay_alu instid0(VALU_DEP_1) | instskip(NEXT) | instid1(VALU_DEP_1)
	v_dual_add_nc_u32 v96, 14, v85 :: v_dual_add_nc_u32 v34, v34, v86
                                        ; implicit-def: $vgpr86_vgpr87
	v_cmpx_ne_u32_e32 0, v96
	s_xor_b32 s10, exec_lo, s10
; %bb.2794:                             ;   in Loop: Header=BB2_2268 Depth=2
	s_delay_alu instid0(VALU_DEP_2) | instskip(SKIP_2) | instid1(VALU_DEP_2)
	v_cmp_lt_u64_e32 vcc_lo, 0xffffff, v[34:35]
	v_add_nc_u32_e32 v83, 15, v85
	v_cndmask_b32_e64 v85, 0, 1, vcc_lo
	v_cndmask_b32_e32 v83, v96, v83, vcc_lo
	s_delay_alu instid0(VALU_DEP_2)
	v_lshrrev_b64 v[86:87], v85, v[34:35]
; %bb.2795:                             ;   in Loop: Header=BB2_2268 Depth=2
	s_and_not1_saveexec_b32 s10, s10
; %bb.2796:                             ;   in Loop: Header=BB2_2268 Depth=2
	v_mov_b64_e32 v[86:87], v[34:35]
	v_bfe_u32 v83, v34, 23, 1
; %bb.2797:                             ;   in Loop: Header=BB2_2268 Depth=2
	s_or_b32 exec_lo, exec_lo, s10
	s_delay_alu instid0(VALU_DEP_2) | instskip(NEXT) | instid1(VALU_DEP_2)
	v_lshrrev_b64 v[86:87], 21, v[86:87]
	v_cmp_gt_i32_e32 vcc_lo, 32, v83
	v_cmp_ne_u32_e64 s10, 0, v83
                                        ; implicit-def: $vgpr96
	s_delay_alu instid0(VALU_DEP_3) | instskip(NEXT) | instid1(VALU_DEP_1)
	v_dual_cndmask_b32 v87, 0, v87 :: v_dual_cndmask_b32 v86, 3, v86
	v_cmp_ne_u64_e32 vcc_lo, 0, v[86:87]
	s_or_b32 s10, s10, vcc_lo
	s_delay_alu instid0(SALU_CYCLE_1) | instskip(NEXT) | instid1(SALU_CYCLE_1)
	s_and_saveexec_b32 s40, s10
	s_xor_b32 s10, exec_lo, s40
; %bb.2798:                             ;   in Loop: Header=BB2_2268 Depth=2
	v_min_i32_e32 v34, 31, v83
	s_delay_alu instid0(VALU_DEP_1) | instskip(NEXT) | instid1(VALU_DEP_1)
	v_lshl_or_b32 v34, v34, 2, v81
                                        ; implicit-def: $vgpr81
	v_and_or_b32 v96, v86, 3, v34
; %bb.2799:                             ;   in Loop: Header=BB2_2268 Depth=2
	s_and_not1_saveexec_b32 s10, s10
; %bb.2800:                             ;   in Loop: Header=BB2_2268 Depth=2
	v_mov_b32_e32 v96, v81
; %bb.2801:                             ;   in Loop: Header=BB2_2268 Depth=2
	s_or_b32 exec_lo, exec_lo, s10
.LBB2_2802:                             ;   in Loop: Header=BB2_2268 Depth=2
	s_delay_alu instid0(SALU_CYCLE_1)
	s_or_b32 exec_lo, exec_lo, s29
                                        ; implicit-def: $vgpr81
.LBB2_2803:                             ;   in Loop: Header=BB2_2268 Depth=2
	s_and_not1_saveexec_b32 s10, s28
; %bb.2804:                             ;   in Loop: Header=BB2_2268 Depth=2
	v_or_b32_e32 v96, 0x7b, v81
; %bb.2805:                             ;   in Loop: Header=BB2_2268 Depth=2
	s_or_b32 exec_lo, exec_lo, s10
                                        ; implicit-def: $vgpr83
.LBB2_2806:                             ;   in Loop: Header=BB2_2268 Depth=2
	s_and_not1_saveexec_b32 s10, s11
	s_cbranch_execz .LBB2_2812
; %bb.2807:                             ;   in Loop: Header=BB2_2268 Depth=2
	s_mov_b32 s11, exec_lo
                                        ; implicit-def: $vgpr96
	v_cmpx_ne_u64_e32 0, v[34:35]
	s_xor_b32 s11, exec_lo, s11
; %bb.2808:                             ;   in Loop: Header=BB2_2268 Depth=2
	v_lshrrev_b32_e32 v34, 24, v83
                                        ; implicit-def: $vgpr83
	s_delay_alu instid0(VALU_DEP_1)
	v_or_b32_e32 v96, 0x7f, v34
; %bb.2809:                             ;   in Loop: Header=BB2_2268 Depth=2
	s_and_not1_saveexec_b32 s11, s11
; %bb.2810:                             ;   in Loop: Header=BB2_2268 Depth=2
	v_cmp_lt_i32_e32 vcc_lo, -1, v83
	v_cndmask_b32_e64 v96, -4, 0x7c, vcc_lo
; %bb.2811:                             ;   in Loop: Header=BB2_2268 Depth=2
	s_or_b32 exec_lo, exec_lo, s11
.LBB2_2812:                             ;   in Loop: Header=BB2_2268 Depth=2
	s_delay_alu instid0(SALU_CYCLE_1) | instskip(SKIP_3) | instid1(VALU_DEP_2)
	s_or_b32 exec_lo, exec_lo, s10
	v_and_b32_e32 v85, 0xff, v84
	v_dual_mov_b32 v34, 0 :: v_dual_mov_b32 v81, 0
	s_mov_b32 s10, exec_lo
	v_cmpx_ne_u16_e32 0, v85
	s_cbranch_execz .LBB2_2822
; %bb.2813:                             ;   in Loop: Header=BB2_2268 Depth=2
	v_bfrev_b32_e32 v81, 1
	s_mov_b32 s11, exec_lo
	v_cmpx_ne_u16_e32 0x80, v85
	s_cbranch_execz .LBB2_2821
; %bb.2814:                             ;   in Loop: Header=BB2_2268 Depth=2
	v_and_b32_e32 v81, 0x7c, v84
	v_and_b32_e32 v83, 3, v84
	s_delay_alu instid0(VALU_DEP_2) | instskip(SKIP_1) | instid1(SALU_CYCLE_1)
	v_cmp_ne_u32_e32 vcc_lo, 0x7c, v81
                                        ; implicit-def: $vgpr81
	s_and_saveexec_b32 s28, vcc_lo
	s_xor_b32 s28, exec_lo, s28
	s_cbranch_execz .LBB2_2818
; %bb.2815:                             ;   in Loop: Header=BB2_2268 Depth=2
	v_bfe_u32 v81, v85, 2, 5
	s_mov_b32 s29, exec_lo
	s_delay_alu instid0(VALU_DEP_1)
	v_cmpx_eq_u32_e32 0, v81
	s_cbranch_execz .LBB2_2817
; %bb.2816:                             ;   in Loop: Header=BB2_2268 Depth=2
	v_clz_i32_u32_e32 v81, v83
	s_delay_alu instid0(VALU_DEP_1) | instskip(SKIP_1) | instid1(VALU_DEP_2)
	v_min_u32_e32 v81, 32, v81
	v_mov_b32_e32 v85, v35
	v_subrev_nc_u32_e32 v83, 29, v81
	v_sub_nc_u32_e32 v81, 30, v81
	s_delay_alu instid0(VALU_DEP_2) | instskip(NEXT) | instid1(VALU_DEP_1)
	v_lshlrev_b64_e32 v[86:87], v83, v[84:85]
	v_and_b32_e32 v83, 3, v86
.LBB2_2817:                             ;   in Loop: Header=BB2_2268 Depth=2
	s_or_b32 exec_lo, exec_lo, s29
	v_lshlrev_b32_e32 v84, 24, v84
	s_delay_alu instid0(VALU_DEP_1) | instskip(NEXT) | instid1(VALU_DEP_1)
	v_and_b32_e32 v84, 0x80000000, v84
	v_lshl_add_u32 v81, v81, 23, v84
                                        ; implicit-def: $vgpr84
	s_delay_alu instid0(VALU_DEP_1) | instskip(NEXT) | instid1(VALU_DEP_1)
	v_lshl_or_b32 v81, v83, 21, v81
                                        ; implicit-def: $vgpr83
	v_add_nc_u32_e32 v81, 0x38000000, v81
.LBB2_2818:                             ;   in Loop: Header=BB2_2268 Depth=2
	s_and_not1_saveexec_b32 s28, s28
; %bb.2819:                             ;   in Loop: Header=BB2_2268 Depth=2
	v_bfe_i32 v81, v84, 0, 8
	s_delay_alu instid0(VALU_DEP_1) | instskip(SKIP_2) | instid1(VALU_DEP_2)
	v_cmp_lt_i16_e32 vcc_lo, -1, v81
	v_cndmask_b32_e32 v81, 0xff800000, v62, vcc_lo
	v_cmp_eq_u32_e32 vcc_lo, 0, v83
	v_cndmask_b32_e32 v81, 0x7f800001, v81, vcc_lo
; %bb.2820:                             ;   in Loop: Header=BB2_2268 Depth=2
	s_or_b32 exec_lo, exec_lo, s28
.LBB2_2821:                             ;   in Loop: Header=BB2_2268 Depth=2
	s_delay_alu instid0(SALU_CYCLE_1)
	s_or_b32 exec_lo, exec_lo, s11
.LBB2_2822:                             ;   in Loop: Header=BB2_2268 Depth=2
	s_delay_alu instid0(SALU_CYCLE_1) | instskip(NEXT) | instid1(SALU_CYCLE_1)
	s_or_b32 exec_lo, exec_lo, s10
	s_mov_b32 s10, exec_lo
	s_wait_loadcnt_dscnt 0x101
	v_cmpx_ne_u16_e32 0, v100
	s_cbranch_execz .LBB2_2832
; %bb.2823:                             ;   in Loop: Header=BB2_2268 Depth=2
	v_bfrev_b32_e32 v34, 1
	s_mov_b32 s11, exec_lo
	v_cmpx_ne_u16_e32 0xff80, v100
	s_cbranch_execz .LBB2_2831
; %bb.2824:                             ;   in Loop: Header=BB2_2268 Depth=2
	v_and_b32_e32 v34, 0x7c, v100
	v_and_b32_e32 v83, 3, v100
	s_delay_alu instid0(VALU_DEP_2) | instskip(SKIP_1) | instid1(SALU_CYCLE_1)
	v_cmp_ne_u32_e32 vcc_lo, 0x7c, v34
                                        ; implicit-def: $vgpr34
	s_and_saveexec_b32 s28, vcc_lo
	s_xor_b32 s28, exec_lo, s28
	s_cbranch_execz .LBB2_2828
; %bb.2825:                             ;   in Loop: Header=BB2_2268 Depth=2
	v_and_b32_e32 v34, 0xff, v100
	s_mov_b32 s29, exec_lo
	s_delay_alu instid0(VALU_DEP_1) | instskip(NEXT) | instid1(VALU_DEP_1)
	v_bfe_u32 v34, v34, 2, 5
	v_cmpx_eq_u32_e32 0, v34
	s_cbranch_execz .LBB2_2827
; %bb.2826:                             ;   in Loop: Header=BB2_2268 Depth=2
	v_clz_i32_u32_e32 v34, v83
	s_delay_alu instid0(VALU_DEP_1) | instskip(SKIP_1) | instid1(VALU_DEP_2)
	v_min_u32_e32 v34, 32, v34
	v_mov_b32_e32 v101, v35
	v_subrev_nc_u32_e32 v83, 29, v34
	v_sub_nc_u32_e32 v34, 30, v34
	s_delay_alu instid0(VALU_DEP_2) | instskip(NEXT) | instid1(VALU_DEP_1)
	v_lshlrev_b64_e32 v[84:85], v83, v[100:101]
	v_and_b32_e32 v83, 3, v84
.LBB2_2827:                             ;   in Loop: Header=BB2_2268 Depth=2
	s_or_b32 exec_lo, exec_lo, s29
	v_bfe_i32 v84, v100, 0, 16
                                        ; implicit-def: $vgpr100
	s_delay_alu instid0(VALU_DEP_1) | instskip(NEXT) | instid1(VALU_DEP_1)
	v_and_b32_e32 v84, 0x80000000, v84
	v_lshl_add_u32 v34, v34, 23, v84
	s_delay_alu instid0(VALU_DEP_1) | instskip(NEXT) | instid1(VALU_DEP_1)
	v_lshl_or_b32 v34, v83, 21, v34
                                        ; implicit-def: $vgpr83
	v_add_nc_u32_e32 v34, 0x38000000, v34
.LBB2_2828:                             ;   in Loop: Header=BB2_2268 Depth=2
	s_and_not1_saveexec_b32 s28, s28
; %bb.2829:                             ;   in Loop: Header=BB2_2268 Depth=2
	v_cmp_lt_i16_e32 vcc_lo, -1, v100
	v_cndmask_b32_e32 v34, 0xff800000, v62, vcc_lo
	v_cmp_eq_u32_e32 vcc_lo, 0, v83
	s_delay_alu instid0(VALU_DEP_2)
	v_cndmask_b32_e32 v34, 0x7f800001, v34, vcc_lo
; %bb.2830:                             ;   in Loop: Header=BB2_2268 Depth=2
	s_or_b32 exec_lo, exec_lo, s28
.LBB2_2831:                             ;   in Loop: Header=BB2_2268 Depth=2
	s_delay_alu instid0(SALU_CYCLE_1)
	s_or_b32 exec_lo, exec_lo, s11
.LBB2_2832:                             ;   in Loop: Header=BB2_2268 Depth=2
	s_delay_alu instid0(SALU_CYCLE_1) | instskip(NEXT) | instid1(VALU_DEP_1)
	s_or_b32 exec_lo, exec_lo, s10
	v_dual_add_f32 v83, v81, v34 :: v_dual_mov_b32 v85, v35
	s_delay_alu instid0(VALU_DEP_1) | instskip(SKIP_1) | instid1(VALU_DEP_2)
	v_and_b32_e32 v84, 0x7f800000, v83
	v_and_b32_e32 v34, 0x7fffff, v83
	v_cmp_ne_u64_e32 vcc_lo, 0x7f800000, v[84:85]
                                        ; implicit-def: $vgpr85
	s_and_saveexec_b32 s10, vcc_lo
	s_delay_alu instid0(SALU_CYCLE_1)
	s_xor_b32 s11, exec_lo, s10
	s_cbranch_execz .LBB2_2850
; %bb.2833:                             ;   in Loop: Header=BB2_2268 Depth=2
	v_and_b32_e32 v84, 0x7fffffff, v83
	v_dual_mov_b32 v85, v35 :: v_dual_lshrrev_b32 v81, 24, v83
	s_delay_alu instid0(VALU_DEP_1) | instskip(NEXT) | instid1(VALU_DEP_2)
	v_cmp_gt_u64_e32 vcc_lo, 0x47600001, v[84:85]
	v_and_b32_e32 v81, 0x80, v81
                                        ; implicit-def: $vgpr85
	s_and_saveexec_b32 s10, vcc_lo
	s_delay_alu instid0(SALU_CYCLE_1)
	s_xor_b32 s28, exec_lo, s10
	s_cbranch_execz .LBB2_2847
; %bb.2834:                             ;   in Loop: Header=BB2_2268 Depth=2
	v_mov_b32_e32 v85, 0
	s_mov_b32 s29, exec_lo
	v_cmpx_ne_u32_e32 0, v83
	s_cbranch_execz .LBB2_2846
; %bb.2835:                             ;   in Loop: Header=BB2_2268 Depth=2
	v_bfe_u32 v83, v83, 23, 8
	v_or_b32_e32 v86, 0x800000, v34
	s_delay_alu instid0(VALU_DEP_2) | instskip(SKIP_1) | instid1(VALU_DEP_2)
	v_sub_nc_u32_e32 v84, 0x71, v83
	v_cmp_gt_u32_e32 vcc_lo, 0x72, v83
	v_cndmask_b32_e32 v84, 0, v84, vcc_lo
	v_cmp_eq_u32_e32 vcc_lo, 0, v83
	s_delay_alu instid0(VALU_DEP_2) | instskip(NEXT) | instid1(VALU_DEP_1)
	v_cndmask_b32_e64 v97, v84, 0x70, vcc_lo
	v_dual_cndmask_b32 v34, v86, v34, vcc_lo :: v_dual_add_nc_u32 v84, 21, v97
	v_add_nc_u32_e32 v87, 20, v97
	s_delay_alu instid0(VALU_DEP_2) | instskip(NEXT) | instid1(VALU_DEP_2)
	v_lshlrev_b64_e64 v[84:85], v84, -1
	v_lshlrev_b64_e64 v[86:87], v87, 1
	s_delay_alu instid0(VALU_DEP_2) | instskip(NEXT) | instid1(VALU_DEP_3)
	v_bfi_b32 v101, v85, 0, 0
	v_bfi_b32 v100, v84, 0, v34
	v_lshrrev_b64 v[84:85], v97, v[34:35]
	s_delay_alu instid0(VALU_DEP_2) | instskip(NEXT) | instid1(VALU_DEP_2)
	v_cmp_eq_u64_e64 s10, v[100:101], v[86:87]
	v_mov_b64_e32 v[86:87], v[84:85]
	s_and_saveexec_b32 s40, s10
; %bb.2836:                             ;   in Loop: Header=BB2_2268 Depth=2
	v_bfe_u32 v34, v84, 21, 1
	s_delay_alu instid0(VALU_DEP_1) | instskip(NEXT) | instid1(VALU_DEP_1)
	v_add_nc_u64_e32 v[86:87], v[84:85], v[34:35]
	v_add_nc_u64_e32 v[86:87], -1, v[86:87]
; %bb.2837:                             ;   in Loop: Header=BB2_2268 Depth=2
	s_or_b32 exec_lo, exec_lo, s40
	v_add_nc_u32_e32 v34, 0xffffff81, v83
	v_lshrrev_b32_e32 v83, 23, v84
	s_mov_b32 s10, exec_lo
	s_delay_alu instid0(VALU_DEP_2) | instskip(NEXT) | instid1(VALU_DEP_1)
	v_cndmask_b32_e64 v34, v34, 0xffffff82, vcc_lo
	v_add3_u32 v87, v97, v34, v83
	v_and_b32_e32 v34, 0x1fffff, v86
                                        ; implicit-def: $vgpr83
	s_delay_alu instid0(VALU_DEP_1) | instskip(NEXT) | instid1(VALU_DEP_1)
	v_dual_add_nc_u32 v86, 14, v87 :: v_dual_add_nc_u32 v34, v34, v84
                                        ; implicit-def: $vgpr84_vgpr85
	v_cmpx_ne_u32_e32 0, v86
	s_xor_b32 s10, exec_lo, s10
; %bb.2838:                             ;   in Loop: Header=BB2_2268 Depth=2
	s_delay_alu instid0(VALU_DEP_2) | instskip(SKIP_2) | instid1(VALU_DEP_2)
	v_cmp_lt_u64_e32 vcc_lo, 0xffffff, v[34:35]
	v_add_nc_u32_e32 v83, 15, v87
	v_cndmask_b32_e64 v84, 0, 1, vcc_lo
	v_cndmask_b32_e32 v83, v86, v83, vcc_lo
	s_delay_alu instid0(VALU_DEP_2)
	v_lshrrev_b64 v[84:85], v84, v[34:35]
; %bb.2839:                             ;   in Loop: Header=BB2_2268 Depth=2
	s_and_not1_saveexec_b32 s10, s10
; %bb.2840:                             ;   in Loop: Header=BB2_2268 Depth=2
	v_mov_b64_e32 v[84:85], v[34:35]
	v_bfe_u32 v83, v34, 23, 1
; %bb.2841:                             ;   in Loop: Header=BB2_2268 Depth=2
	s_or_b32 exec_lo, exec_lo, s10
	s_delay_alu instid0(VALU_DEP_2) | instskip(NEXT) | instid1(VALU_DEP_2)
	v_lshrrev_b64 v[84:85], 21, v[84:85]
	v_cmp_gt_i32_e32 vcc_lo, 32, v83
	v_cmp_ne_u32_e64 s10, 0, v83
	s_delay_alu instid0(VALU_DEP_3) | instskip(NEXT) | instid1(VALU_DEP_1)
	v_dual_cndmask_b32 v85, 0, v85 :: v_dual_cndmask_b32 v84, 3, v84
	v_cmp_ne_u64_e32 vcc_lo, 0, v[84:85]
                                        ; implicit-def: $vgpr85
	s_or_b32 s10, s10, vcc_lo
	s_delay_alu instid0(SALU_CYCLE_1) | instskip(NEXT) | instid1(SALU_CYCLE_1)
	s_and_saveexec_b32 s40, s10
	s_xor_b32 s10, exec_lo, s40
; %bb.2842:                             ;   in Loop: Header=BB2_2268 Depth=2
	v_min_i32_e32 v34, 31, v83
	s_delay_alu instid0(VALU_DEP_1) | instskip(NEXT) | instid1(VALU_DEP_1)
	v_lshl_or_b32 v34, v34, 2, v81
                                        ; implicit-def: $vgpr81
	v_and_or_b32 v85, v84, 3, v34
; %bb.2843:                             ;   in Loop: Header=BB2_2268 Depth=2
	s_and_not1_saveexec_b32 s10, s10
; %bb.2844:                             ;   in Loop: Header=BB2_2268 Depth=2
	v_mov_b32_e32 v85, v81
; %bb.2845:                             ;   in Loop: Header=BB2_2268 Depth=2
	s_or_b32 exec_lo, exec_lo, s10
.LBB2_2846:                             ;   in Loop: Header=BB2_2268 Depth=2
	s_delay_alu instid0(SALU_CYCLE_1)
	s_or_b32 exec_lo, exec_lo, s29
                                        ; implicit-def: $vgpr81
.LBB2_2847:                             ;   in Loop: Header=BB2_2268 Depth=2
	s_and_not1_saveexec_b32 s10, s28
; %bb.2848:                             ;   in Loop: Header=BB2_2268 Depth=2
	v_or_b32_e32 v85, 0x7b, v81
; %bb.2849:                             ;   in Loop: Header=BB2_2268 Depth=2
	s_or_b32 exec_lo, exec_lo, s10
                                        ; implicit-def: $vgpr83
.LBB2_2850:                             ;   in Loop: Header=BB2_2268 Depth=2
	s_and_not1_saveexec_b32 s10, s11
	s_cbranch_execz .LBB2_2856
; %bb.2851:                             ;   in Loop: Header=BB2_2268 Depth=2
	s_mov_b32 s11, exec_lo
                                        ; implicit-def: $vgpr85
	v_cmpx_ne_u64_e32 0, v[34:35]
	s_xor_b32 s11, exec_lo, s11
; %bb.2852:                             ;   in Loop: Header=BB2_2268 Depth=2
	v_lshrrev_b32_e32 v34, 24, v83
                                        ; implicit-def: $vgpr83
	s_delay_alu instid0(VALU_DEP_1)
	v_or_b32_e32 v85, 0x7f, v34
; %bb.2853:                             ;   in Loop: Header=BB2_2268 Depth=2
	s_and_not1_saveexec_b32 s11, s11
; %bb.2854:                             ;   in Loop: Header=BB2_2268 Depth=2
	v_cmp_lt_i32_e32 vcc_lo, -1, v83
	v_cndmask_b32_e64 v85, -4, 0x7c, vcc_lo
; %bb.2855:                             ;   in Loop: Header=BB2_2268 Depth=2
	s_or_b32 exec_lo, exec_lo, s11
.LBB2_2856:                             ;   in Loop: Header=BB2_2268 Depth=2
	s_delay_alu instid0(SALU_CYCLE_1) | instskip(SKIP_3) | instid1(VALU_DEP_2)
	s_or_b32 exec_lo, exec_lo, s10
	v_and_b32_e32 v84, 0xff, v80
	v_dual_mov_b32 v34, 0 :: v_dual_mov_b32 v81, 0
	s_mov_b32 s10, exec_lo
	v_cmpx_ne_u16_e32 0, v84
	s_cbranch_execz .LBB2_2866
; %bb.2857:                             ;   in Loop: Header=BB2_2268 Depth=2
	v_bfrev_b32_e32 v81, 1
	s_mov_b32 s11, exec_lo
	v_cmpx_ne_u16_e32 0x80, v84
	s_cbranch_execz .LBB2_2865
; %bb.2858:                             ;   in Loop: Header=BB2_2268 Depth=2
	v_and_b32_e32 v81, 0x7c, v80
	v_and_b32_e32 v83, 3, v80
	s_delay_alu instid0(VALU_DEP_2) | instskip(SKIP_1) | instid1(SALU_CYCLE_1)
	v_cmp_ne_u32_e32 vcc_lo, 0x7c, v81
                                        ; implicit-def: $vgpr81
	s_and_saveexec_b32 s28, vcc_lo
	s_xor_b32 s28, exec_lo, s28
	s_cbranch_execz .LBB2_2862
; %bb.2859:                             ;   in Loop: Header=BB2_2268 Depth=2
	v_bfe_u32 v81, v84, 2, 5
	s_mov_b32 s29, exec_lo
	s_delay_alu instid0(VALU_DEP_1)
	v_cmpx_eq_u32_e32 0, v81
; %bb.2860:                             ;   in Loop: Header=BB2_2268 Depth=2
	v_clz_i32_u32_e32 v81, v83
	s_delay_alu instid0(VALU_DEP_1) | instskip(SKIP_1) | instid1(VALU_DEP_2)
	v_min_u32_e32 v83, 32, v81
	v_mov_b32_e32 v81, v35
	v_subrev_nc_u32_e32 v84, 29, v83
	s_delay_alu instid0(VALU_DEP_1) | instskip(NEXT) | instid1(VALU_DEP_1)
	v_lshlrev_b64_e32 v[86:87], v84, v[80:81]
	v_dual_sub_nc_u32 v81, 30, v83 :: v_dual_bitop2_b32 v83, 3, v86 bitop3:0x40
; %bb.2861:                             ;   in Loop: Header=BB2_2268 Depth=2
	s_or_b32 exec_lo, exec_lo, s29
	v_lshlrev_b32_e32 v80, 24, v80
	s_delay_alu instid0(VALU_DEP_1) | instskip(NEXT) | instid1(VALU_DEP_1)
	v_and_b32_e32 v80, 0x80000000, v80
	v_lshl_add_u32 v80, v81, 23, v80
	s_delay_alu instid0(VALU_DEP_1) | instskip(NEXT) | instid1(VALU_DEP_1)
	v_lshl_or_b32 v80, v83, 21, v80
                                        ; implicit-def: $vgpr83
	v_add_nc_u32_e32 v81, 0x38000000, v80
                                        ; implicit-def: $vgpr80
.LBB2_2862:                             ;   in Loop: Header=BB2_2268 Depth=2
	s_and_not1_saveexec_b32 s28, s28
; %bb.2863:                             ;   in Loop: Header=BB2_2268 Depth=2
	v_bfe_i32 v80, v80, 0, 8
	s_delay_alu instid0(VALU_DEP_1) | instskip(SKIP_2) | instid1(VALU_DEP_2)
	v_cmp_lt_i16_e32 vcc_lo, -1, v80
	v_cndmask_b32_e32 v80, 0xff800000, v62, vcc_lo
	v_cmp_eq_u32_e32 vcc_lo, 0, v83
	v_cndmask_b32_e32 v81, 0x7f800001, v80, vcc_lo
; %bb.2864:                             ;   in Loop: Header=BB2_2268 Depth=2
	s_or_b32 exec_lo, exec_lo, s28
.LBB2_2865:                             ;   in Loop: Header=BB2_2268 Depth=2
	s_delay_alu instid0(SALU_CYCLE_1)
	s_or_b32 exec_lo, exec_lo, s11
.LBB2_2866:                             ;   in Loop: Header=BB2_2268 Depth=2
	s_delay_alu instid0(SALU_CYCLE_1) | instskip(NEXT) | instid1(SALU_CYCLE_1)
	s_or_b32 exec_lo, exec_lo, s10
	s_mov_b32 s10, exec_lo
	s_wait_loadcnt_dscnt 0x0
	v_cmpx_ne_u16_e32 0, v82
	s_cbranch_execz .LBB2_2876
; %bb.2867:                             ;   in Loop: Header=BB2_2268 Depth=2
	v_bfrev_b32_e32 v34, 1
	s_mov_b32 s11, exec_lo
	v_cmpx_ne_u16_e32 0xff80, v82
	s_cbranch_execz .LBB2_2875
; %bb.2868:                             ;   in Loop: Header=BB2_2268 Depth=2
	v_and_b32_e32 v34, 0x7c, v82
	v_and_b32_e32 v80, 3, v82
	s_delay_alu instid0(VALU_DEP_2) | instskip(SKIP_1) | instid1(SALU_CYCLE_1)
	v_cmp_ne_u32_e32 vcc_lo, 0x7c, v34
                                        ; implicit-def: $vgpr34
	s_and_saveexec_b32 s28, vcc_lo
	s_xor_b32 s28, exec_lo, s28
	s_cbranch_execz .LBB2_2872
; %bb.2869:                             ;   in Loop: Header=BB2_2268 Depth=2
	v_and_b32_e32 v34, 0xff, v82
	s_mov_b32 s29, exec_lo
	s_delay_alu instid0(VALU_DEP_1) | instskip(NEXT) | instid1(VALU_DEP_1)
	v_bfe_u32 v34, v34, 2, 5
	v_cmpx_eq_u32_e32 0, v34
	s_cbranch_execz .LBB2_2871
; %bb.2870:                             ;   in Loop: Header=BB2_2268 Depth=2
	v_clz_i32_u32_e32 v34, v80
	s_delay_alu instid0(VALU_DEP_1) | instskip(SKIP_1) | instid1(VALU_DEP_2)
	v_min_u32_e32 v34, 32, v34
	v_mov_b32_e32 v83, v35
	v_subrev_nc_u32_e32 v80, 29, v34
	v_sub_nc_u32_e32 v34, 30, v34
	s_delay_alu instid0(VALU_DEP_2) | instskip(NEXT) | instid1(VALU_DEP_1)
	v_lshlrev_b64_e32 v[86:87], v80, v[82:83]
	v_and_b32_e32 v80, 3, v86
.LBB2_2871:                             ;   in Loop: Header=BB2_2268 Depth=2
	s_or_b32 exec_lo, exec_lo, s29
	v_bfe_i32 v82, v82, 0, 16
	s_delay_alu instid0(VALU_DEP_1) | instskip(NEXT) | instid1(VALU_DEP_1)
	v_and_b32_e32 v82, 0x80000000, v82
	v_lshl_add_u32 v34, v34, 23, v82
                                        ; implicit-def: $vgpr82
	s_delay_alu instid0(VALU_DEP_1) | instskip(NEXT) | instid1(VALU_DEP_1)
	v_lshl_or_b32 v34, v80, 21, v34
                                        ; implicit-def: $vgpr80
	v_add_nc_u32_e32 v34, 0x38000000, v34
.LBB2_2872:                             ;   in Loop: Header=BB2_2268 Depth=2
	s_and_not1_saveexec_b32 s28, s28
; %bb.2873:                             ;   in Loop: Header=BB2_2268 Depth=2
	v_cmp_lt_i16_e32 vcc_lo, -1, v82
	v_cndmask_b32_e32 v34, 0xff800000, v62, vcc_lo
	v_cmp_eq_u32_e32 vcc_lo, 0, v80
	s_delay_alu instid0(VALU_DEP_2)
	v_cndmask_b32_e32 v34, 0x7f800001, v34, vcc_lo
; %bb.2874:                             ;   in Loop: Header=BB2_2268 Depth=2
	s_or_b32 exec_lo, exec_lo, s28
.LBB2_2875:                             ;   in Loop: Header=BB2_2268 Depth=2
	s_delay_alu instid0(SALU_CYCLE_1)
	s_or_b32 exec_lo, exec_lo, s11
.LBB2_2876:                             ;   in Loop: Header=BB2_2268 Depth=2
	s_delay_alu instid0(SALU_CYCLE_1) | instskip(NEXT) | instid1(VALU_DEP_1)
	s_or_b32 exec_lo, exec_lo, s10
	v_dual_add_f32 v80, v81, v34 :: v_dual_mov_b32 v83, v35
                                        ; implicit-def: $vgpr81
	s_mov_b32 s10, exec_lo
	s_delay_alu instid0(VALU_DEP_1) | instskip(SKIP_1) | instid1(VALU_DEP_2)
	v_and_b32_e32 v82, 0x7f800000, v80
	v_and_b32_e32 v34, 0x7fffff, v80
	v_cmpx_ne_u64_e32 0x7f800000, v[82:83]
	s_xor_b32 s11, exec_lo, s10
	s_cbranch_execz .LBB2_2894
; %bb.2877:                             ;   in Loop: Header=BB2_2268 Depth=2
	v_dual_mov_b32 v83, v35 :: v_dual_lshrrev_b32 v81, 24, v80
	v_and_b32_e32 v82, 0x7fffffff, v80
	s_mov_b32 s10, exec_lo
	s_delay_alu instid0(VALU_DEP_2) | instskip(NEXT) | instid1(VALU_DEP_2)
	v_and_b32_e32 v84, 0x80, v81
                                        ; implicit-def: $vgpr81
	v_cmpx_gt_u64_e32 0x47600001, v[82:83]
	s_xor_b32 s28, exec_lo, s10
	s_cbranch_execz .LBB2_2891
; %bb.2878:                             ;   in Loop: Header=BB2_2268 Depth=2
	v_mov_b32_e32 v81, 0
	s_mov_b32 s29, exec_lo
	v_cmpx_ne_u32_e32 0, v80
	s_cbranch_execz .LBB2_2890
; %bb.2879:                             ;   in Loop: Header=BB2_2268 Depth=2
	v_bfe_u32 v86, v80, 23, 8
	v_or_b32_e32 v82, 0x800000, v34
	s_delay_alu instid0(VALU_DEP_2) | instskip(SKIP_1) | instid1(VALU_DEP_2)
	v_sub_nc_u32_e32 v80, 0x71, v86
	v_cmp_gt_u32_e32 vcc_lo, 0x72, v86
	v_cndmask_b32_e32 v80, 0, v80, vcc_lo
	v_cmp_eq_u32_e32 vcc_lo, 0, v86
	s_delay_alu instid0(VALU_DEP_2) | instskip(NEXT) | instid1(VALU_DEP_1)
	v_cndmask_b32_e64 v87, v80, 0x70, vcc_lo
	v_dual_cndmask_b32 v34, v82, v34, vcc_lo :: v_dual_add_nc_u32 v80, 21, v87
	v_add_nc_u32_e32 v83, 20, v87
	s_delay_alu instid0(VALU_DEP_2) | instskip(NEXT) | instid1(VALU_DEP_2)
	v_lshlrev_b64_e64 v[80:81], v80, -1
	v_lshlrev_b64_e64 v[82:83], v83, 1
	s_delay_alu instid0(VALU_DEP_2) | instskip(NEXT) | instid1(VALU_DEP_3)
	v_bfi_b32 v101, v81, 0, 0
	v_bfi_b32 v100, v80, 0, v34
	v_lshrrev_b64 v[80:81], v87, v[34:35]
	s_delay_alu instid0(VALU_DEP_2) | instskip(NEXT) | instid1(VALU_DEP_2)
	v_cmp_eq_u64_e64 s10, v[100:101], v[82:83]
	v_mov_b64_e32 v[82:83], v[80:81]
	s_and_saveexec_b32 s40, s10
; %bb.2880:                             ;   in Loop: Header=BB2_2268 Depth=2
	v_bfe_u32 v34, v80, 21, 1
	s_delay_alu instid0(VALU_DEP_1) | instskip(NEXT) | instid1(VALU_DEP_1)
	v_add_nc_u64_e32 v[82:83], v[80:81], v[34:35]
	v_add_nc_u64_e32 v[82:83], -1, v[82:83]
; %bb.2881:                             ;   in Loop: Header=BB2_2268 Depth=2
	s_or_b32 exec_lo, exec_lo, s40
	v_add_nc_u32_e32 v34, 0xffffff81, v86
	v_lshrrev_b32_e32 v81, 23, v80
	s_mov_b32 s10, exec_lo
	s_delay_alu instid0(VALU_DEP_2) | instskip(NEXT) | instid1(VALU_DEP_1)
	v_cndmask_b32_e64 v34, v34, 0xffffff82, vcc_lo
	v_add3_u32 v83, v87, v34, v81
	v_and_b32_e32 v34, 0x1fffff, v82
                                        ; implicit-def: $vgpr82
	s_delay_alu instid0(VALU_DEP_1) | instskip(NEXT) | instid1(VALU_DEP_1)
	v_dual_add_nc_u32 v86, 14, v83 :: v_dual_add_nc_u32 v34, v34, v80
                                        ; implicit-def: $vgpr80_vgpr81
	v_cmpx_ne_u32_e32 0, v86
	s_xor_b32 s10, exec_lo, s10
; %bb.2882:                             ;   in Loop: Header=BB2_2268 Depth=2
	s_delay_alu instid0(VALU_DEP_2) | instskip(SKIP_1) | instid1(VALU_DEP_1)
	v_cmp_lt_u64_e32 vcc_lo, 0xffffff, v[34:35]
	v_add_nc_u32_e32 v80, 15, v83
	v_cndmask_b32_e32 v82, v86, v80, vcc_lo
	v_cndmask_b32_e64 v80, 0, 1, vcc_lo
	s_delay_alu instid0(VALU_DEP_1)
	v_lshrrev_b64 v[80:81], v80, v[34:35]
; %bb.2883:                             ;   in Loop: Header=BB2_2268 Depth=2
	s_and_not1_saveexec_b32 s10, s10
; %bb.2884:                             ;   in Loop: Header=BB2_2268 Depth=2
	v_mov_b64_e32 v[80:81], v[34:35]
	v_bfe_u32 v82, v34, 23, 1
; %bb.2885:                             ;   in Loop: Header=BB2_2268 Depth=2
	s_or_b32 exec_lo, exec_lo, s10
	s_delay_alu instid0(VALU_DEP_2) | instskip(NEXT) | instid1(VALU_DEP_2)
	v_lshrrev_b64 v[80:81], 21, v[80:81]
	v_cmp_gt_i32_e32 vcc_lo, 32, v82
	v_cmp_ne_u32_e64 s10, 0, v82
	s_delay_alu instid0(VALU_DEP_3) | instskip(NEXT) | instid1(VALU_DEP_1)
	v_dual_cndmask_b32 v81, 0, v81 :: v_dual_cndmask_b32 v80, 3, v80
	v_cmp_ne_u64_e32 vcc_lo, 0, v[80:81]
                                        ; implicit-def: $vgpr81
	s_or_b32 s10, s10, vcc_lo
	s_delay_alu instid0(SALU_CYCLE_1) | instskip(NEXT) | instid1(SALU_CYCLE_1)
	s_and_saveexec_b32 s40, s10
	s_xor_b32 s10, exec_lo, s40
; %bb.2886:                             ;   in Loop: Header=BB2_2268 Depth=2
	v_min_i32_e32 v34, 31, v82
	s_delay_alu instid0(VALU_DEP_1) | instskip(NEXT) | instid1(VALU_DEP_1)
	v_lshl_or_b32 v34, v34, 2, v84
                                        ; implicit-def: $vgpr84
	v_and_or_b32 v81, v80, 3, v34
; %bb.2887:                             ;   in Loop: Header=BB2_2268 Depth=2
	s_and_not1_saveexec_b32 s10, s10
; %bb.2888:                             ;   in Loop: Header=BB2_2268 Depth=2
	v_mov_b32_e32 v81, v84
; %bb.2889:                             ;   in Loop: Header=BB2_2268 Depth=2
	s_or_b32 exec_lo, exec_lo, s10
.LBB2_2890:                             ;   in Loop: Header=BB2_2268 Depth=2
	s_delay_alu instid0(SALU_CYCLE_1)
	s_or_b32 exec_lo, exec_lo, s29
                                        ; implicit-def: $vgpr84
.LBB2_2891:                             ;   in Loop: Header=BB2_2268 Depth=2
	s_and_not1_saveexec_b32 s10, s28
; %bb.2892:                             ;   in Loop: Header=BB2_2268 Depth=2
	v_or_b32_e32 v81, 0x7b, v84
; %bb.2893:                             ;   in Loop: Header=BB2_2268 Depth=2
	s_or_b32 exec_lo, exec_lo, s10
                                        ; implicit-def: $vgpr80
.LBB2_2894:                             ;   in Loop: Header=BB2_2268 Depth=2
	s_and_not1_saveexec_b32 s10, s11
	s_cbranch_execz .LBB2_2267
; %bb.2895:                             ;   in Loop: Header=BB2_2268 Depth=2
	s_mov_b32 s11, exec_lo
                                        ; implicit-def: $vgpr81
	v_cmpx_ne_u64_e32 0, v[34:35]
	s_xor_b32 s11, exec_lo, s11
; %bb.2896:                             ;   in Loop: Header=BB2_2268 Depth=2
	v_lshrrev_b32_e32 v34, 24, v80
                                        ; implicit-def: $vgpr80
	s_delay_alu instid0(VALU_DEP_1)
	v_or_b32_e32 v81, 0x7f, v34
; %bb.2897:                             ;   in Loop: Header=BB2_2268 Depth=2
	s_and_not1_saveexec_b32 s11, s11
	s_cbranch_execz .LBB2_2266
; %bb.2898:                             ;   in Loop: Header=BB2_2268 Depth=2
	v_cmp_lt_i32_e32 vcc_lo, -1, v80
	v_cndmask_b32_e64 v81, -4, 0x7c, vcc_lo
	s_branch .LBB2_2266
.LBB2_2899:                             ;   in Loop: Header=BB2_49 Depth=1
	s_or_b32 exec_lo, exec_lo, s27
.LBB2_2900:                             ;   in Loop: Header=BB2_49 Depth=1
	s_delay_alu instid0(SALU_CYCLE_1) | instskip(SKIP_1) | instid1(VALU_DEP_1)
	s_or_b32 exec_lo, exec_lo, s26
	v_and_b32_e32 v10, 0x3fffff00, v72
	v_cmp_ne_u32_e32 vcc_lo, v72, v10
	s_and_b32 exec_lo, exec_lo, vcc_lo
	s_cbranch_execz .LBB2_2990
; %bb.2901:                             ;   in Loop: Header=BB2_49 Depth=1
	v_dual_lshlrev_b32 v11, 5, v73 :: v_dual_lshlrev_b32 v12, 5, v74
	s_delay_alu instid0(VALU_DEP_1) | instskip(NEXT) | instid1(VALU_DEP_1)
	v_sub_nc_u32_e32 v11, v30, v11
	v_sub_nc_u32_e32 v11, v11, v12
	v_and_b32_e32 v12, 0xff, v72
	s_delay_alu instid0(VALU_DEP_1) | instskip(NEXT) | instid1(VALU_DEP_1)
	v_sub_nc_u32_e32 v30, v12, v11
	v_cmp_lt_i32_e32 vcc_lo, 0, v30
	s_and_b32 exec_lo, exec_lo, vcc_lo
	s_cbranch_execz .LBB2_2990
; %bb.2902:                             ;   in Loop: Header=BB2_49 Depth=1
	s_trap 2
	ds_load_b128 v[80:83], v0
	ds_load_b64 v[70:71], v0
	v_add3_u32 v84, v10, v69, v11
	s_mov_b32 s26, 0
	s_delay_alu instid0(VALU_DEP_1) | instskip(SKIP_1) | instid1(VALU_DEP_1)
	v_ashrrev_i32_e32 v85, 31, v84
	s_wait_dscnt 0x1
	v_add_nc_u64_e32 v[10:11], v[80:81], v[84:85]
	v_add_nc_u64_e32 v[12:13], v[82:83], v[84:85]
	s_wait_dscnt 0x0
	v_add_nc_u64_e32 v[70:71], v[70:71], v[84:85]
	s_branch .LBB2_2905
.LBB2_2903:                             ;   in Loop: Header=BB2_2905 Depth=2
	s_or_b32 exec_lo, exec_lo, s11
.LBB2_2904:                             ;   in Loop: Header=BB2_2905 Depth=2
	s_delay_alu instid0(SALU_CYCLE_1)
	s_or_b32 exec_lo, exec_lo, s10
	v_sub_nc_u32_e32 v30, v30, v52
	flat_store_b8 v[70:71], v81 th:TH_STORE_NT
	v_add_nc_u64_e32 v[10:11], v[10:11], v[52:53]
	v_add_nc_u64_e32 v[12:13], v[12:13], v[52:53]
	s_wait_xcnt 0x0
	v_add_nc_u64_e32 v[70:71], v[70:71], v[52:53]
	v_cmp_gt_i32_e32 vcc_lo, 1, v30
	s_or_b32 s26, vcc_lo, s26
	s_delay_alu instid0(SALU_CYCLE_1)
	s_and_not1_b32 exec_lo, exec_lo, s26
	s_cbranch_execz .LBB2_2990
.LBB2_2905:                             ;   Parent Loop BB2_49 Depth=1
                                        ; =>  This Inner Loop Header: Depth=2
	s_trap 2
	ds_load_b64 v[80:81], v0
	s_mov_b32 s27, 0
	s_wait_dscnt 0x0
	v_and_b32_e32 v34, 0xff, v80
	v_readfirstlane_b32 s10, v80
	v_readfirstlane_b32 s11, v81
	s_delay_alu instid0(VALU_DEP_3)
	v_cmp_eq_u32_e32 vcc_lo, 0, v34
	s_cbranch_vccnz .LBB2_2913
; %bb.2906:                             ;   in Loop: Header=BB2_2905 Depth=2
	s_bfe_i32 s29, s10, 0x80000
	s_delay_alu instid0(SALU_CYCLE_1) | instskip(NEXT) | instid1(SALU_CYCLE_1)
	s_and_b32 s27, 0xffff, s29
	s_cmp_eq_u32 s27, 0xff80
	s_brev_b32 s27, 1
	s_cbranch_scc1 .LBB2_2913
; %bb.2907:                             ;   in Loop: Header=BB2_2905 Depth=2
	s_and_b32 s27, s10, 0x7c
	s_and_b32 s28, s10, 3
	s_mov_b32 s40, -1
	s_cmp_lg_u32 s27, 0x7c
	s_sext_i32_i16 s29, s29
                                        ; implicit-def: $sgpr27
	s_cbranch_scc0 .LBB2_2911
; %bb.2908:                             ;   in Loop: Header=BB2_2905 Depth=2
	s_bfe_u32 s27, s10, 0x50002
	s_mov_b32 s40, s28
	s_cmp_lg_u32 s27, 0
	s_cbranch_scc1 .LBB2_2910
; %bb.2909:                             ;   in Loop: Header=BB2_2905 Depth=2
	s_clz_i32_u32 s27, s28
	s_delay_alu instid0(SALU_CYCLE_1) | instskip(NEXT) | instid1(SALU_CYCLE_1)
	s_min_u32 s27, s27, 32
	s_sub_co_i32 s40, s27, 29
	s_sub_co_i32 s27, 30, s27
	s_lshl_b64 s[10:11], s[10:11], s40
	s_delay_alu instid0(SALU_CYCLE_1)
	s_and_b32 s40, s10, 3
.LBB2_2910:                             ;   in Loop: Header=BB2_2905 Depth=2
	s_and_b32 s10, s29, 0x80000000
	s_lshl_b32 s11, s27, 23
	s_lshl_b32 s27, s40, 21
	s_add_co_i32 s11, s11, s10
	s_mov_b32 s40, 0
	s_or_b32 s10, s11, s27
	s_delay_alu instid0(SALU_CYCLE_1)
	s_add_co_i32 s27, s10, 0x38000000
.LBB2_2911:                             ;   in Loop: Header=BB2_2905 Depth=2
	s_and_b32 vcc_lo, exec_lo, s40
	s_cbranch_vccz .LBB2_2913
; %bb.2912:                             ;   in Loop: Header=BB2_2905 Depth=2
	s_cmp_gt_i32 s29, -1
	s_cselect_b32 s10, s22, 0xff800000
	s_cmp_eq_u32 s28, 0
	s_cselect_b32 s27, s10, 0x7f800001
.LBB2_2913:                             ;   in Loop: Header=BB2_2905 Depth=2
	flat_load_i8 v34, v[10:11] th:TH_LOAD_NT
	v_mov_b32_e32 v80, 0
	s_mov_b32 s10, exec_lo
	s_wait_loadcnt_dscnt 0x0
	v_cmpx_ne_u16_e32 0, v34
	s_cbranch_execz .LBB2_2923
; %bb.2914:                             ;   in Loop: Header=BB2_2905 Depth=2
	v_bfrev_b32_e32 v80, 1
	s_mov_b32 s11, exec_lo
	v_cmpx_ne_u16_e32 0xff80, v34
	s_cbranch_execz .LBB2_2922
; %bb.2915:                             ;   in Loop: Header=BB2_2905 Depth=2
	v_and_b32_e32 v80, 0x7c, v34
	v_and_b32_e32 v69, 3, v34
	s_delay_alu instid0(VALU_DEP_2) | instskip(SKIP_1) | instid1(SALU_CYCLE_1)
	v_cmp_ne_u32_e32 vcc_lo, 0x7c, v80
                                        ; implicit-def: $vgpr80
	s_and_saveexec_b32 s28, vcc_lo
	s_xor_b32 s28, exec_lo, s28
	s_cbranch_execz .LBB2_2919
; %bb.2916:                             ;   in Loop: Header=BB2_2905 Depth=2
	v_and_b32_e32 v80, 0xff, v34
	s_mov_b32 s29, exec_lo
	s_delay_alu instid0(VALU_DEP_1) | instskip(NEXT) | instid1(VALU_DEP_1)
	v_bfe_u32 v80, v80, 2, 5
	v_cmpx_eq_u32_e32 0, v80
; %bb.2917:                             ;   in Loop: Header=BB2_2905 Depth=2
	v_clz_i32_u32_e32 v69, v69
	s_delay_alu instid0(VALU_DEP_1) | instskip(NEXT) | instid1(VALU_DEP_1)
	v_min_u32_e32 v69, 32, v69
	v_subrev_nc_u32_e32 v80, 29, v69
	s_delay_alu instid0(VALU_DEP_1) | instskip(NEXT) | instid1(VALU_DEP_1)
	v_lshlrev_b64_e32 v[82:83], v80, v[34:35]
	v_dual_sub_nc_u32 v80, 30, v69 :: v_dual_bitop2_b32 v69, 3, v82 bitop3:0x40
; %bb.2918:                             ;   in Loop: Header=BB2_2905 Depth=2
	s_or_b32 exec_lo, exec_lo, s29
	v_bfe_i32 v34, v34, 0, 16
	s_delay_alu instid0(VALU_DEP_1) | instskip(NEXT) | instid1(VALU_DEP_1)
	v_and_b32_e32 v34, 0x80000000, v34
	v_lshl_add_u32 v34, v80, 23, v34
	s_delay_alu instid0(VALU_DEP_1) | instskip(NEXT) | instid1(VALU_DEP_1)
	v_lshl_or_b32 v34, v69, 21, v34
                                        ; implicit-def: $vgpr69
	v_add_nc_u32_e32 v80, 0x38000000, v34
.LBB2_2919:                             ;   in Loop: Header=BB2_2905 Depth=2
	s_and_not1_saveexec_b32 s28, s28
; %bb.2920:                             ;   in Loop: Header=BB2_2905 Depth=2
	v_cmp_lt_i16_e32 vcc_lo, -1, v34
	v_cndmask_b32_e32 v34, 0xff800000, v62, vcc_lo
	v_cmp_eq_u32_e32 vcc_lo, 0, v69
	s_delay_alu instid0(VALU_DEP_2)
	v_cndmask_b32_e32 v80, 0x7f800001, v34, vcc_lo
; %bb.2921:                             ;   in Loop: Header=BB2_2905 Depth=2
	s_or_b32 exec_lo, exec_lo, s28
.LBB2_2922:                             ;   in Loop: Header=BB2_2905 Depth=2
	s_delay_alu instid0(SALU_CYCLE_1)
	s_or_b32 exec_lo, exec_lo, s11
.LBB2_2923:                             ;   in Loop: Header=BB2_2905 Depth=2
	s_delay_alu instid0(SALU_CYCLE_1) | instskip(NEXT) | instid1(VALU_DEP_1)
	s_or_b32 exec_lo, exec_lo, s10
	v_dual_mul_f32 v81, s27, v80 :: v_dual_mov_b32 v83, v35
                                        ; implicit-def: $vgpr80
	s_mov_b32 s10, exec_lo
	s_delay_alu instid0(VALU_DEP_1) | instskip(SKIP_1) | instid1(VALU_DEP_2)
	v_and_b32_e32 v82, 0x7f800000, v81
	v_and_b32_e32 v34, 0x7fffff, v81
	v_cmpx_ne_u64_e32 0x7f800000, v[82:83]
	s_xor_b32 s11, exec_lo, s10
	s_cbranch_execz .LBB2_2941
; %bb.2924:                             ;   in Loop: Header=BB2_2905 Depth=2
	v_dual_mov_b32 v83, v35 :: v_dual_lshrrev_b32 v69, 24, v81
	v_and_b32_e32 v82, 0x7fffffff, v81
                                        ; implicit-def: $vgpr80
	s_mov_b32 s10, exec_lo
	s_delay_alu instid0(VALU_DEP_2) | instskip(NEXT) | instid1(VALU_DEP_2)
	v_and_b32_e32 v69, 0x80, v69
	v_cmpx_gt_u64_e32 0x47600001, v[82:83]
	s_xor_b32 s27, exec_lo, s10
	s_cbranch_execz .LBB2_2938
; %bb.2925:                             ;   in Loop: Header=BB2_2905 Depth=2
	v_mov_b32_e32 v80, 0
	s_mov_b32 s28, exec_lo
	v_cmpx_ne_u32_e32 0, v81
	s_cbranch_execz .LBB2_2937
; %bb.2926:                             ;   in Loop: Header=BB2_2905 Depth=2
	v_bfe_u32 v84, v81, 23, 8
	v_or_b32_e32 v82, 0x800000, v34
	s_delay_alu instid0(VALU_DEP_2) | instskip(SKIP_1) | instid1(VALU_DEP_2)
	v_sub_nc_u32_e32 v80, 0x71, v84
	v_cmp_gt_u32_e32 vcc_lo, 0x72, v84
	v_cndmask_b32_e32 v80, 0, v80, vcc_lo
	v_cmp_eq_u32_e32 vcc_lo, 0, v84
	s_delay_alu instid0(VALU_DEP_2) | instskip(NEXT) | instid1(VALU_DEP_1)
	v_cndmask_b32_e64 v85, v80, 0x70, vcc_lo
	v_dual_cndmask_b32 v34, v82, v34, vcc_lo :: v_dual_add_nc_u32 v80, 21, v85
	v_add_nc_u32_e32 v83, 20, v85
	s_delay_alu instid0(VALU_DEP_2) | instskip(NEXT) | instid1(VALU_DEP_2)
	v_lshlrev_b64_e64 v[80:81], v80, -1
	v_lshlrev_b64_e64 v[82:83], v83, 1
	s_delay_alu instid0(VALU_DEP_2) | instskip(NEXT) | instid1(VALU_DEP_3)
	v_bfi_b32 v87, v81, 0, 0
	v_bfi_b32 v86, v80, 0, v34
	v_lshrrev_b64 v[80:81], v85, v[34:35]
	s_delay_alu instid0(VALU_DEP_2) | instskip(NEXT) | instid1(VALU_DEP_2)
	v_cmp_eq_u64_e64 s10, v[86:87], v[82:83]
	v_mov_b64_e32 v[82:83], v[80:81]
	s_and_saveexec_b32 s29, s10
; %bb.2927:                             ;   in Loop: Header=BB2_2905 Depth=2
	v_bfe_u32 v34, v80, 21, 1
	s_delay_alu instid0(VALU_DEP_1) | instskip(NEXT) | instid1(VALU_DEP_1)
	v_add_nc_u64_e32 v[82:83], v[80:81], v[34:35]
	v_add_nc_u64_e32 v[82:83], -1, v[82:83]
; %bb.2928:                             ;   in Loop: Header=BB2_2905 Depth=2
	s_or_b32 exec_lo, exec_lo, s29
	v_add_nc_u32_e32 v34, 0xffffff81, v84
	v_lshrrev_b32_e32 v81, 23, v80
	s_mov_b32 s10, exec_lo
                                        ; implicit-def: $vgpr84
	s_delay_alu instid0(VALU_DEP_2) | instskip(NEXT) | instid1(VALU_DEP_1)
	v_cndmask_b32_e64 v34, v34, 0xffffff82, vcc_lo
	v_add3_u32 v83, v85, v34, v81
	v_and_b32_e32 v34, 0x1fffff, v82
	s_delay_alu instid0(VALU_DEP_1) | instskip(NEXT) | instid1(VALU_DEP_1)
	v_dual_add_nc_u32 v82, 14, v83 :: v_dual_add_nc_u32 v34, v34, v80
                                        ; implicit-def: $vgpr80_vgpr81
	v_cmpx_ne_u32_e32 0, v82
	s_xor_b32 s10, exec_lo, s10
; %bb.2929:                             ;   in Loop: Header=BB2_2905 Depth=2
	s_delay_alu instid0(VALU_DEP_2) | instskip(SKIP_1) | instid1(VALU_DEP_1)
	v_cmp_lt_u64_e32 vcc_lo, 0xffffff, v[34:35]
	v_add_nc_u32_e32 v80, 15, v83
	v_cndmask_b32_e32 v84, v82, v80, vcc_lo
	v_cndmask_b32_e64 v80, 0, 1, vcc_lo
	s_delay_alu instid0(VALU_DEP_1)
	v_lshrrev_b64 v[80:81], v80, v[34:35]
; %bb.2930:                             ;   in Loop: Header=BB2_2905 Depth=2
	s_and_not1_saveexec_b32 s10, s10
; %bb.2931:                             ;   in Loop: Header=BB2_2905 Depth=2
	v_mov_b64_e32 v[80:81], v[34:35]
	v_bfe_u32 v84, v34, 23, 1
; %bb.2932:                             ;   in Loop: Header=BB2_2905 Depth=2
	s_or_b32 exec_lo, exec_lo, s10
	s_delay_alu instid0(VALU_DEP_2) | instskip(NEXT) | instid1(VALU_DEP_2)
	v_lshrrev_b64 v[80:81], 21, v[80:81]
	v_cmp_gt_i32_e32 vcc_lo, 32, v84
	v_cmp_ne_u32_e64 s10, 0, v84
	s_delay_alu instid0(VALU_DEP_3) | instskip(NEXT) | instid1(VALU_DEP_1)
	v_dual_cndmask_b32 v83, 0, v81 :: v_dual_cndmask_b32 v82, 3, v80
                                        ; implicit-def: $vgpr80
	v_cmp_ne_u64_e32 vcc_lo, 0, v[82:83]
	s_or_b32 s10, s10, vcc_lo
	s_delay_alu instid0(SALU_CYCLE_1) | instskip(NEXT) | instid1(SALU_CYCLE_1)
	s_and_saveexec_b32 s29, s10
	s_xor_b32 s10, exec_lo, s29
; %bb.2933:                             ;   in Loop: Header=BB2_2905 Depth=2
	v_min_i32_e32 v34, 31, v84
	s_delay_alu instid0(VALU_DEP_1) | instskip(NEXT) | instid1(VALU_DEP_1)
	v_lshl_or_b32 v34, v34, 2, v69
                                        ; implicit-def: $vgpr69
	v_and_or_b32 v80, v82, 3, v34
; %bb.2934:                             ;   in Loop: Header=BB2_2905 Depth=2
	s_and_not1_saveexec_b32 s10, s10
; %bb.2935:                             ;   in Loop: Header=BB2_2905 Depth=2
	v_mov_b32_e32 v80, v69
; %bb.2936:                             ;   in Loop: Header=BB2_2905 Depth=2
	s_or_b32 exec_lo, exec_lo, s10
.LBB2_2937:                             ;   in Loop: Header=BB2_2905 Depth=2
	s_delay_alu instid0(SALU_CYCLE_1)
	s_or_b32 exec_lo, exec_lo, s28
                                        ; implicit-def: $vgpr69
.LBB2_2938:                             ;   in Loop: Header=BB2_2905 Depth=2
	s_and_not1_saveexec_b32 s10, s27
; %bb.2939:                             ;   in Loop: Header=BB2_2905 Depth=2
	v_or_b32_e32 v80, 0x7b, v69
; %bb.2940:                             ;   in Loop: Header=BB2_2905 Depth=2
	s_or_b32 exec_lo, exec_lo, s10
                                        ; implicit-def: $vgpr81
.LBB2_2941:                             ;   in Loop: Header=BB2_2905 Depth=2
	s_and_not1_saveexec_b32 s10, s11
	s_cbranch_execz .LBB2_2947
; %bb.2942:                             ;   in Loop: Header=BB2_2905 Depth=2
	s_mov_b32 s11, exec_lo
                                        ; implicit-def: $vgpr80
	v_cmpx_ne_u64_e32 0, v[34:35]
	s_xor_b32 s11, exec_lo, s11
; %bb.2943:                             ;   in Loop: Header=BB2_2905 Depth=2
	v_lshrrev_b32_e32 v34, 24, v81
                                        ; implicit-def: $vgpr81
	s_delay_alu instid0(VALU_DEP_1)
	v_or_b32_e32 v80, 0x7f, v34
; %bb.2944:                             ;   in Loop: Header=BB2_2905 Depth=2
	s_and_not1_saveexec_b32 s11, s11
; %bb.2945:                             ;   in Loop: Header=BB2_2905 Depth=2
	v_cmp_lt_i32_e32 vcc_lo, -1, v81
	v_cndmask_b32_e64 v80, -4, 0x7c, vcc_lo
; %bb.2946:                             ;   in Loop: Header=BB2_2905 Depth=2
	s_or_b32 exec_lo, exec_lo, s11
.LBB2_2947:                             ;   in Loop: Header=BB2_2905 Depth=2
	s_delay_alu instid0(SALU_CYCLE_1)
	s_or_b32 exec_lo, exec_lo, s10
	flat_load_i8 v34, v[12:13] th:TH_LOAD_NT
	v_and_b32_e32 v83, 0xff, v80
	v_dual_mov_b32 v69, 0 :: v_dual_mov_b32 v81, 0
	s_mov_b32 s10, exec_lo
	s_wait_xcnt 0x0
	s_delay_alu instid0(VALU_DEP_2)
	v_cmpx_ne_u16_e32 0, v83
	s_cbranch_execz .LBB2_2957
; %bb.2948:                             ;   in Loop: Header=BB2_2905 Depth=2
	v_bfrev_b32_e32 v81, 1
	s_mov_b32 s11, exec_lo
	v_cmpx_ne_u16_e32 0x80, v83
	s_cbranch_execz .LBB2_2956
; %bb.2949:                             ;   in Loop: Header=BB2_2905 Depth=2
	v_and_b32_e32 v81, 0x7c, v80
	v_and_b32_e32 v82, 3, v80
	s_delay_alu instid0(VALU_DEP_2) | instskip(SKIP_1) | instid1(SALU_CYCLE_1)
	v_cmp_ne_u32_e32 vcc_lo, 0x7c, v81
                                        ; implicit-def: $vgpr81
	s_and_saveexec_b32 s27, vcc_lo
	s_xor_b32 s27, exec_lo, s27
	s_cbranch_execz .LBB2_2953
; %bb.2950:                             ;   in Loop: Header=BB2_2905 Depth=2
	v_bfe_u32 v81, v83, 2, 5
	s_mov_b32 s28, exec_lo
	s_delay_alu instid0(VALU_DEP_1)
	v_cmpx_eq_u32_e32 0, v81
; %bb.2951:                             ;   in Loop: Header=BB2_2905 Depth=2
	v_clz_i32_u32_e32 v81, v82
	s_delay_alu instid0(VALU_DEP_1) | instskip(SKIP_1) | instid1(VALU_DEP_2)
	v_min_u32_e32 v84, 32, v81
	v_mov_b32_e32 v81, v35
	v_subrev_nc_u32_e32 v82, 29, v84
	s_delay_alu instid0(VALU_DEP_1) | instskip(NEXT) | instid1(VALU_DEP_1)
	v_lshlrev_b64_e32 v[82:83], v82, v[80:81]
	v_dual_sub_nc_u32 v81, 30, v84 :: v_dual_bitop2_b32 v82, 3, v82 bitop3:0x40
; %bb.2952:                             ;   in Loop: Header=BB2_2905 Depth=2
	s_or_b32 exec_lo, exec_lo, s28
	v_lshlrev_b32_e32 v80, 24, v80
	s_delay_alu instid0(VALU_DEP_1) | instskip(NEXT) | instid1(VALU_DEP_1)
	v_and_b32_e32 v80, 0x80000000, v80
	v_lshl_add_u32 v80, v81, 23, v80
	s_delay_alu instid0(VALU_DEP_1) | instskip(NEXT) | instid1(VALU_DEP_1)
	v_lshl_or_b32 v80, v82, 21, v80
                                        ; implicit-def: $vgpr82
	v_add_nc_u32_e32 v81, 0x38000000, v80
                                        ; implicit-def: $vgpr80
.LBB2_2953:                             ;   in Loop: Header=BB2_2905 Depth=2
	s_and_not1_saveexec_b32 s27, s27
; %bb.2954:                             ;   in Loop: Header=BB2_2905 Depth=2
	v_bfe_i32 v80, v80, 0, 8
	s_delay_alu instid0(VALU_DEP_1) | instskip(SKIP_2) | instid1(VALU_DEP_2)
	v_cmp_lt_i16_e32 vcc_lo, -1, v80
	v_cndmask_b32_e32 v80, 0xff800000, v62, vcc_lo
	v_cmp_eq_u32_e32 vcc_lo, 0, v82
	v_cndmask_b32_e32 v81, 0x7f800001, v80, vcc_lo
; %bb.2955:                             ;   in Loop: Header=BB2_2905 Depth=2
	s_or_b32 exec_lo, exec_lo, s27
.LBB2_2956:                             ;   in Loop: Header=BB2_2905 Depth=2
	s_delay_alu instid0(SALU_CYCLE_1)
	s_or_b32 exec_lo, exec_lo, s11
.LBB2_2957:                             ;   in Loop: Header=BB2_2905 Depth=2
	s_delay_alu instid0(SALU_CYCLE_1) | instskip(NEXT) | instid1(SALU_CYCLE_1)
	s_or_b32 exec_lo, exec_lo, s10
	s_mov_b32 s10, exec_lo
	s_wait_loadcnt_dscnt 0x0
	v_cmpx_ne_u16_e32 0, v34
	s_cbranch_execz .LBB2_2967
; %bb.2958:                             ;   in Loop: Header=BB2_2905 Depth=2
	v_bfrev_b32_e32 v69, 1
	s_mov_b32 s11, exec_lo
	v_cmpx_ne_u16_e32 0xff80, v34
	s_cbranch_execz .LBB2_2966
; %bb.2959:                             ;   in Loop: Header=BB2_2905 Depth=2
	v_and_b32_e32 v69, 0x7c, v34
	v_and_b32_e32 v80, 3, v34
	s_delay_alu instid0(VALU_DEP_2) | instskip(SKIP_1) | instid1(SALU_CYCLE_1)
	v_cmp_ne_u32_e32 vcc_lo, 0x7c, v69
                                        ; implicit-def: $vgpr69
	s_and_saveexec_b32 s27, vcc_lo
	s_xor_b32 s27, exec_lo, s27
	s_cbranch_execz .LBB2_2963
; %bb.2960:                             ;   in Loop: Header=BB2_2905 Depth=2
	v_and_b32_e32 v69, 0xff, v34
	s_mov_b32 s28, exec_lo
	s_delay_alu instid0(VALU_DEP_1) | instskip(NEXT) | instid1(VALU_DEP_1)
	v_bfe_u32 v69, v69, 2, 5
	v_cmpx_eq_u32_e32 0, v69
; %bb.2961:                             ;   in Loop: Header=BB2_2905 Depth=2
	v_clz_i32_u32_e32 v69, v80
	s_delay_alu instid0(VALU_DEP_1) | instskip(NEXT) | instid1(VALU_DEP_1)
	v_min_u32_e32 v69, 32, v69
	v_subrev_nc_u32_e32 v80, 29, v69
	s_delay_alu instid0(VALU_DEP_1) | instskip(NEXT) | instid1(VALU_DEP_1)
	v_lshlrev_b64_e32 v[82:83], v80, v[34:35]
	v_dual_sub_nc_u32 v69, 30, v69 :: v_dual_bitop2_b32 v80, 3, v82 bitop3:0x40
; %bb.2962:                             ;   in Loop: Header=BB2_2905 Depth=2
	s_or_b32 exec_lo, exec_lo, s28
	v_bfe_i32 v34, v34, 0, 16
	s_delay_alu instid0(VALU_DEP_1) | instskip(NEXT) | instid1(VALU_DEP_1)
	v_and_b32_e32 v34, 0x80000000, v34
	v_lshl_add_u32 v34, v69, 23, v34
	s_delay_alu instid0(VALU_DEP_1) | instskip(NEXT) | instid1(VALU_DEP_1)
	v_lshl_or_b32 v34, v80, 21, v34
                                        ; implicit-def: $vgpr80
	v_add_nc_u32_e32 v69, 0x38000000, v34
.LBB2_2963:                             ;   in Loop: Header=BB2_2905 Depth=2
	s_and_not1_saveexec_b32 s27, s27
; %bb.2964:                             ;   in Loop: Header=BB2_2905 Depth=2
	v_cmp_lt_i16_e32 vcc_lo, -1, v34
	v_cndmask_b32_e32 v34, 0xff800000, v62, vcc_lo
	v_cmp_eq_u32_e32 vcc_lo, 0, v80
	s_delay_alu instid0(VALU_DEP_2)
	v_cndmask_b32_e32 v69, 0x7f800001, v34, vcc_lo
; %bb.2965:                             ;   in Loop: Header=BB2_2905 Depth=2
	s_or_b32 exec_lo, exec_lo, s27
.LBB2_2966:                             ;   in Loop: Header=BB2_2905 Depth=2
	s_delay_alu instid0(SALU_CYCLE_1)
	s_or_b32 exec_lo, exec_lo, s11
.LBB2_2967:                             ;   in Loop: Header=BB2_2905 Depth=2
	s_delay_alu instid0(SALU_CYCLE_1) | instskip(NEXT) | instid1(VALU_DEP_1)
	s_or_b32 exec_lo, exec_lo, s10
	v_dual_add_f32 v80, v81, v69 :: v_dual_mov_b32 v83, v35
                                        ; implicit-def: $vgpr81
	s_mov_b32 s10, exec_lo
	s_delay_alu instid0(VALU_DEP_1) | instskip(SKIP_1) | instid1(VALU_DEP_2)
	v_and_b32_e32 v82, 0x7f800000, v80
	v_and_b32_e32 v34, 0x7fffff, v80
	v_cmpx_ne_u64_e32 0x7f800000, v[82:83]
	s_xor_b32 s11, exec_lo, s10
	s_cbranch_execz .LBB2_2985
; %bb.2968:                             ;   in Loop: Header=BB2_2905 Depth=2
	v_dual_mov_b32 v83, v35 :: v_dual_lshrrev_b32 v69, 24, v80
	v_and_b32_e32 v82, 0x7fffffff, v80
                                        ; implicit-def: $vgpr81
	s_mov_b32 s10, exec_lo
	s_delay_alu instid0(VALU_DEP_2) | instskip(NEXT) | instid1(VALU_DEP_2)
	v_and_b32_e32 v69, 0x80, v69
	v_cmpx_gt_u64_e32 0x47600001, v[82:83]
	s_xor_b32 s27, exec_lo, s10
	s_cbranch_execz .LBB2_2982
; %bb.2969:                             ;   in Loop: Header=BB2_2905 Depth=2
	v_mov_b32_e32 v81, 0
	s_mov_b32 s28, exec_lo
	v_cmpx_ne_u32_e32 0, v80
	s_cbranch_execz .LBB2_2981
; %bb.2970:                             ;   in Loop: Header=BB2_2905 Depth=2
	v_bfe_u32 v84, v80, 23, 8
	v_or_b32_e32 v82, 0x800000, v34
	s_delay_alu instid0(VALU_DEP_2) | instskip(SKIP_1) | instid1(VALU_DEP_2)
	v_sub_nc_u32_e32 v80, 0x71, v84
	v_cmp_gt_u32_e32 vcc_lo, 0x72, v84
	v_cndmask_b32_e32 v80, 0, v80, vcc_lo
	v_cmp_eq_u32_e32 vcc_lo, 0, v84
	s_delay_alu instid0(VALU_DEP_2) | instskip(NEXT) | instid1(VALU_DEP_1)
	v_cndmask_b32_e64 v85, v80, 0x70, vcc_lo
	v_dual_cndmask_b32 v34, v82, v34, vcc_lo :: v_dual_add_nc_u32 v80, 21, v85
	v_add_nc_u32_e32 v83, 20, v85
	s_delay_alu instid0(VALU_DEP_2) | instskip(NEXT) | instid1(VALU_DEP_2)
	v_lshlrev_b64_e64 v[80:81], v80, -1
	v_lshlrev_b64_e64 v[82:83], v83, 1
	s_delay_alu instid0(VALU_DEP_2) | instskip(NEXT) | instid1(VALU_DEP_3)
	v_bfi_b32 v87, v81, 0, 0
	v_bfi_b32 v86, v80, 0, v34
	v_lshrrev_b64 v[80:81], v85, v[34:35]
	s_delay_alu instid0(VALU_DEP_2) | instskip(NEXT) | instid1(VALU_DEP_2)
	v_cmp_eq_u64_e64 s10, v[86:87], v[82:83]
	v_mov_b64_e32 v[82:83], v[80:81]
	s_and_saveexec_b32 s29, s10
; %bb.2971:                             ;   in Loop: Header=BB2_2905 Depth=2
	v_bfe_u32 v34, v80, 21, 1
	s_delay_alu instid0(VALU_DEP_1) | instskip(NEXT) | instid1(VALU_DEP_1)
	v_add_nc_u64_e32 v[82:83], v[80:81], v[34:35]
	v_add_nc_u64_e32 v[82:83], -1, v[82:83]
; %bb.2972:                             ;   in Loop: Header=BB2_2905 Depth=2
	s_or_b32 exec_lo, exec_lo, s29
	v_add_nc_u32_e32 v34, 0xffffff81, v84
	v_lshrrev_b32_e32 v81, 23, v80
	s_mov_b32 s10, exec_lo
	s_delay_alu instid0(VALU_DEP_2) | instskip(NEXT) | instid1(VALU_DEP_1)
	v_cndmask_b32_e64 v34, v34, 0xffffff82, vcc_lo
	v_add3_u32 v83, v85, v34, v81
	v_and_b32_e32 v34, 0x1fffff, v82
                                        ; implicit-def: $vgpr82
	s_delay_alu instid0(VALU_DEP_1) | instskip(NEXT) | instid1(VALU_DEP_1)
	v_dual_add_nc_u32 v84, 14, v83 :: v_dual_add_nc_u32 v34, v34, v80
                                        ; implicit-def: $vgpr80_vgpr81
	v_cmpx_ne_u32_e32 0, v84
	s_xor_b32 s10, exec_lo, s10
; %bb.2973:                             ;   in Loop: Header=BB2_2905 Depth=2
	s_delay_alu instid0(VALU_DEP_2) | instskip(SKIP_1) | instid1(VALU_DEP_1)
	v_cmp_lt_u64_e32 vcc_lo, 0xffffff, v[34:35]
	v_add_nc_u32_e32 v80, 15, v83
	v_cndmask_b32_e32 v82, v84, v80, vcc_lo
	v_cndmask_b32_e64 v80, 0, 1, vcc_lo
	s_delay_alu instid0(VALU_DEP_1)
	v_lshrrev_b64 v[80:81], v80, v[34:35]
; %bb.2974:                             ;   in Loop: Header=BB2_2905 Depth=2
	s_and_not1_saveexec_b32 s10, s10
; %bb.2975:                             ;   in Loop: Header=BB2_2905 Depth=2
	v_mov_b64_e32 v[80:81], v[34:35]
	v_bfe_u32 v82, v34, 23, 1
; %bb.2976:                             ;   in Loop: Header=BB2_2905 Depth=2
	s_or_b32 exec_lo, exec_lo, s10
	s_delay_alu instid0(VALU_DEP_2) | instskip(NEXT) | instid1(VALU_DEP_2)
	v_lshrrev_b64 v[80:81], 21, v[80:81]
	v_cmp_gt_i32_e32 vcc_lo, 32, v82
	v_cmp_ne_u32_e64 s10, 0, v82
	s_delay_alu instid0(VALU_DEP_3) | instskip(NEXT) | instid1(VALU_DEP_1)
	v_dual_cndmask_b32 v81, 0, v81 :: v_dual_cndmask_b32 v80, 3, v80
	v_cmp_ne_u64_e32 vcc_lo, 0, v[80:81]
                                        ; implicit-def: $vgpr81
	s_or_b32 s10, s10, vcc_lo
	s_delay_alu instid0(SALU_CYCLE_1) | instskip(NEXT) | instid1(SALU_CYCLE_1)
	s_and_saveexec_b32 s29, s10
	s_xor_b32 s10, exec_lo, s29
; %bb.2977:                             ;   in Loop: Header=BB2_2905 Depth=2
	v_min_i32_e32 v34, 31, v82
	s_delay_alu instid0(VALU_DEP_1) | instskip(NEXT) | instid1(VALU_DEP_1)
	v_lshl_or_b32 v34, v34, 2, v69
                                        ; implicit-def: $vgpr69
	v_and_or_b32 v81, v80, 3, v34
; %bb.2978:                             ;   in Loop: Header=BB2_2905 Depth=2
	s_and_not1_saveexec_b32 s10, s10
; %bb.2979:                             ;   in Loop: Header=BB2_2905 Depth=2
	v_mov_b32_e32 v81, v69
; %bb.2980:                             ;   in Loop: Header=BB2_2905 Depth=2
	s_or_b32 exec_lo, exec_lo, s10
.LBB2_2981:                             ;   in Loop: Header=BB2_2905 Depth=2
	s_delay_alu instid0(SALU_CYCLE_1)
	s_or_b32 exec_lo, exec_lo, s28
                                        ; implicit-def: $vgpr69
.LBB2_2982:                             ;   in Loop: Header=BB2_2905 Depth=2
	s_and_not1_saveexec_b32 s10, s27
; %bb.2983:                             ;   in Loop: Header=BB2_2905 Depth=2
	v_or_b32_e32 v81, 0x7b, v69
; %bb.2984:                             ;   in Loop: Header=BB2_2905 Depth=2
	s_or_b32 exec_lo, exec_lo, s10
                                        ; implicit-def: $vgpr80
.LBB2_2985:                             ;   in Loop: Header=BB2_2905 Depth=2
	s_and_not1_saveexec_b32 s10, s11
	s_cbranch_execz .LBB2_2904
; %bb.2986:                             ;   in Loop: Header=BB2_2905 Depth=2
	s_mov_b32 s11, exec_lo
                                        ; implicit-def: $vgpr81
	v_cmpx_ne_u64_e32 0, v[34:35]
	s_xor_b32 s11, exec_lo, s11
; %bb.2987:                             ;   in Loop: Header=BB2_2905 Depth=2
	v_lshrrev_b32_e32 v34, 24, v80
                                        ; implicit-def: $vgpr80
	s_delay_alu instid0(VALU_DEP_1)
	v_or_b32_e32 v81, 0x7f, v34
; %bb.2988:                             ;   in Loop: Header=BB2_2905 Depth=2
	s_and_not1_saveexec_b32 s11, s11
	s_cbranch_execz .LBB2_2903
; %bb.2989:                             ;   in Loop: Header=BB2_2905 Depth=2
	v_cmp_lt_i32_e32 vcc_lo, -1, v80
	v_cndmask_b32_e64 v81, -4, 0x7c, vcc_lo
	s_branch .LBB2_2903
.LBB2_2990:                             ;   in Loop: Header=BB2_49 Depth=1
	s_or_b32 exec_lo, exec_lo, s25
	v_cmp_ne_u32_e64 s10, 0, v67
	s_and_saveexec_b32 s11, s2
	s_cbranch_execz .LBB2_3009
.LBB2_2991:                             ;   in Loop: Header=BB2_49 Depth=1
	s_and_saveexec_b32 s25, s3
	s_delay_alu instid0(SALU_CYCLE_1)
	s_xor_b32 s25, exec_lo, s25
	s_cbranch_execz .LBB2_3006
; %bb.2992:                             ;   in Loop: Header=BB2_49 Depth=1
	s_and_saveexec_b32 s26, s4
	s_cbranch_execz .LBB2_3005
; %bb.2993:                             ;   in Loop: Header=BB2_49 Depth=1
	s_mov_b32 s28, exec_lo
	s_mov_b32 s27, exec_lo
	v_mbcnt_lo_u32_b32 v10, s28, 0
	global_wb scope:SCOPE_DEV
	s_wait_storecnt 0x0
	s_wait_loadcnt_dscnt 0x0
	global_inv scope:SCOPE_DEV
	v_cmpx_eq_u32_e32 0, v10
	s_cbranch_execz .LBB2_2995
; %bb.2994:                             ;   in Loop: Header=BB2_49 Depth=1
	s_bcnt1_i32_b32 s28, s28
	s_delay_alu instid0(SALU_CYCLE_1)
	v_mov_b32_e32 v34, s28
	s_wait_loadcnt 0x0
	ds_add_u64 v0, v[34:35]
	s_trap 2
.LBB2_2995:                             ;   in Loop: Header=BB2_49 Depth=1
	s_or_b32 exec_lo, exec_lo, s27
	s_trap 2
	ds_load_b64 v[10:11], v0
	s_wait_dscnt 0x0
	v_add_nc_u64_e32 v[24:25], v[24:25], v[36:37]
	s_mov_b32 s27, exec_lo
	s_delay_alu instid0(VALU_DEP_1)
	v_cmpx_lt_u64_e64 v[10:11], v[24:25]
	s_cbranch_execz .LBB2_3004
; %bb.2996:                             ;   in Loop: Header=BB2_49 Depth=1
	s_mov_b32 s28, 0
	s_mov_b32 s41, 0
                                        ; implicit-def: $sgpr29
                                        ; implicit-def: $sgpr40
	s_branch .LBB2_2998
.LBB2_2997:                             ;   in Loop: Header=BB2_2998 Depth=2
	s_or_b32 exec_lo, exec_lo, s43
	s_delay_alu instid0(SALU_CYCLE_1) | instskip(NEXT) | instid1(SALU_CYCLE_1)
	s_and_b32 s42, exec_lo, s44
	s_or_b32 s28, s42, s28
	s_and_not1_b32 s29, s29, exec_lo
	s_and_b32 s42, s40, exec_lo
	s_delay_alu instid0(SALU_CYCLE_1)
	s_or_b32 s29, s29, s42
	s_and_not1_b32 exec_lo, exec_lo, s28
	s_cbranch_execz .LBB2_3002
.LBB2_2998:                             ;   Parent Loop BB2_49 Depth=1
                                        ; =>  This Inner Loop Header: Depth=2
	s_add_co_i32 s41, s41, 1
	s_delay_alu instid0(SALU_CYCLE_1) | instskip(SKIP_1) | instid1(SALU_CYCLE_1)
	s_cmp_lg_u32 s41, 0x2710
	s_cselect_b32 s42, -1, 0
	s_and_b32 vcc_lo, exec_lo, s42
	s_cbranch_vccz .LBB2_3000
; %bb.2999:                             ;   in Loop: Header=BB2_2998 Depth=2
	s_mov_b32 s44, -1
	s_or_b32 s40, s40, exec_lo
	s_and_saveexec_b32 s43, s42
	s_cbranch_execz .LBB2_2997
	s_branch .LBB2_3001
.LBB2_3000:                             ;   in Loop: Header=BB2_2998 Depth=2
	s_trap 2
	ds_load_b64 v[10:11], v0
	s_and_not1_b32 s42, s42, exec_lo
	s_mov_b32 s41, 0
	s_wait_loadcnt_dscnt 0x0
	flat_load_b32 v10, v[10:11] scope:SCOPE_SYS
	s_wait_loadcnt_dscnt 0x0
	global_inv scope:SCOPE_SYS
	v_cmp_eq_u32_e32 vcc_lo, 0, v10
	s_and_b32 s43, vcc_lo, exec_lo
	s_delay_alu instid0(SALU_CYCLE_1)
	s_or_b32 s42, s42, s43
	s_mov_b32 s44, -1
	s_or_b32 s40, s40, exec_lo
	s_and_saveexec_b32 s43, s42
	s_cbranch_execz .LBB2_2997
.LBB2_3001:                             ;   in Loop: Header=BB2_2998 Depth=2
	s_sleep 1
	s_trap 2
	ds_load_b64 v[10:11], v0
	s_wait_dscnt 0x0
	s_and_not1_b32 s40, s40, exec_lo
	v_cmp_ge_u64_e32 vcc_lo, v[10:11], v[24:25]
	s_or_not1_b32 s44, vcc_lo, exec_lo
	s_branch .LBB2_2997
.LBB2_3002:                             ;   in Loop: Header=BB2_49 Depth=1
	s_or_b32 exec_lo, exec_lo, s28
	s_and_saveexec_b32 s28, s29
	s_delay_alu instid0(SALU_CYCLE_1)
	s_xor_b32 s28, exec_lo, s28
	s_cbranch_execz .LBB2_3004
; %bb.3003:                             ;   in Loop: Header=BB2_49 Depth=1
	ds_store_b32 v0, v60
	s_trap 2
.LBB2_3004:                             ;   in Loop: Header=BB2_49 Depth=1
	s_or_b32 exec_lo, exec_lo, s27
	;;#ASMSTART
	s_wakeup
	;;#ASMEND
.LBB2_3005:                             ;   in Loop: Header=BB2_49 Depth=1
	s_or_b32 exec_lo, exec_lo, s26
.LBB2_3006:                             ;   in Loop: Header=BB2_49 Depth=1
	s_and_not1_saveexec_b32 s25, s25
	s_cbranch_execz .LBB2_3008
; %bb.3007:                             ;   in Loop: Header=BB2_49 Depth=1
	global_wb scope:SCOPE_DEV
	s_wait_storecnt 0x0
	s_wait_loadcnt_dscnt 0x0
	global_inv scope:SCOPE_DEV
	s_barrier_signal -1
	s_barrier_wait -1
.LBB2_3008:                             ;   in Loop: Header=BB2_49 Depth=1
	s_or_b32 exec_lo, exec_lo, s25
.LBB2_3009:                             ;   in Loop: Header=BB2_49 Depth=1
	s_delay_alu instid0(SALU_CYCLE_1) | instskip(SKIP_1) | instid1(VALU_DEP_1)
	s_or_b32 exec_lo, exec_lo, s11
	v_and_b32_e32 v10, 16, v56
	v_cmp_ne_u32_e32 vcc_lo, 0, v10
	s_and_b32 s11, vcc_lo, s10
	s_delay_alu instid0(SALU_CYCLE_1)
	s_and_saveexec_b32 s10, s11
	s_cbranch_execz .LBB2_3011
; %bb.3010:                             ;   in Loop: Header=BB2_49 Depth=1
	global_wb scope:SCOPE_SYS
	s_wait_storecnt 0x0
	s_wait_loadcnt_dscnt 0x0
	global_inv scope:SCOPE_SYS
.LBB2_3011:                             ;   in Loop: Header=BB2_49 Depth=1
	s_or_b32 exec_lo, exec_lo, s10
	v_cmp_ne_u32_e32 vcc_lo, 0, v10
	s_xor_b32 s10, s7, -1
	s_delay_alu instid0(SALU_CYCLE_1) | instskip(NEXT) | instid1(SALU_CYCLE_1)
	s_and_b32 s11, vcc_lo, s10
	s_and_saveexec_b32 s10, s11
	s_cbranch_execz .LBB2_3013
; %bb.3012:                             ;   in Loop: Header=BB2_49 Depth=1
	global_wb scope:SCOPE_SYS
	s_wait_storecnt 0x0
	s_wait_loadcnt_dscnt 0x0
	flat_store_b32 v[32:33], v60 scope:SCOPE_SYS
.LBB2_3013:                             ;   in Loop: Header=BB2_49 Depth=1
	s_wait_xcnt 0x0
	s_or_b32 exec_lo, exec_lo, s10
	v_and_b32_e32 v10, 48, v56
	s_mov_b32 s10, exec_lo
	s_delay_alu instid0(VALU_DEP_1)
	v_cmpx_ne_u32_e32 0, v10
	s_cbranch_execz .LBB2_3015
; %bb.3014:                             ;   in Loop: Header=BB2_49 Depth=1
	v_add_nc_u64_e32 v[8:9], 1, v[8:9]
	global_wb scope:SCOPE_SYS
	s_wait_storecnt 0x0
	s_wait_loadcnt_dscnt 0x0
	flat_store_b64 v[18:19], v[8:9] scope:SCOPE_SYS
.LBB2_3015:                             ;   in Loop: Header=BB2_49 Depth=1
	s_wait_xcnt 0x0
	s_or_b32 exec_lo, exec_lo, s10
	v_mov_b32_e32 v10, v68
.LBB2_3016:                             ;   in Loop: Header=BB2_49 Depth=1
	s_or_b32 exec_lo, exec_lo, s24
	s_and_saveexec_b32 s11, s23
	s_cbranch_execz .LBB2_48
; %bb.3017:                             ;   in Loop: Header=BB2_49 Depth=1
	s_delay_alu instid0(VALU_DEP_1) | instskip(SKIP_1) | instid1(VALU_DEP_1)
	v_dual_sub_nc_u32 v10, v66, v10 :: v_dual_bitop2_b32 v11, 12, v56 bitop3:0x40
	s_mov_b32 s23, exec_lo
	v_min_i32_e32 v10, v68, v10
	s_delay_alu instid0(VALU_DEP_2)
	v_cmpx_ne_u32_e32 0, v11
	s_cbranch_execz .LBB2_3043
; %bb.3018:                             ;   in Loop: Header=BB2_49 Depth=1
	v_and_b32_e32 v34, 8, v56
	v_add_nc_u64_e32 v[12:13], 1, v[8:9]
	s_mov_b32 s24, exec_lo
	s_wait_loadcnt 0x0
	s_delay_alu instid0(VALU_DEP_2) | instskip(NEXT) | instid1(VALU_DEP_1)
	v_add_nc_u64_e32 v[66:67], v[26:27], v[34:35]
	v_cmpx_lt_u64_e64 v[66:67], v[12:13]
	s_cbranch_execz .LBB2_3030
; %bb.3019:                             ;   in Loop: Header=BB2_49 Depth=1
	v_and_b32_e32 v9, 64, v56
	s_mov_b32 s25, 0
	s_mov_b32 s29, 0
                                        ; implicit-def: $sgpr26
                                        ; implicit-def: $sgpr27
                                        ; implicit-def: $sgpr28
	s_delay_alu instid0(VALU_DEP_1)
	v_cmp_eq_u32_e32 vcc_lo, 0, v9
	s_branch .LBB2_3022
.LBB2_3020:                             ;   in Loop: Header=BB2_3022 Depth=2
	s_or_b32 exec_lo, exec_lo, s44
	s_delay_alu instid0(SALU_CYCLE_1)
	s_and_not1_b32 s10, s28, exec_lo
	s_and_b32 s28, s42, exec_lo
	s_and_not1_b32 s27, s27, exec_lo
	s_and_b32 s41, s41, exec_lo
	s_or_b32 s28, s10, s28
	s_or_b32 s27, s27, s41
.LBB2_3021:                             ;   in Loop: Header=BB2_3022 Depth=2
	s_or_b32 exec_lo, exec_lo, s40
	s_delay_alu instid0(SALU_CYCLE_1) | instskip(NEXT) | instid1(SALU_CYCLE_1)
	s_and_b32 s10, exec_lo, s27
	s_or_b32 s25, s10, s25
	s_and_not1_b32 s10, s26, exec_lo
	s_and_b32 s26, s28, exec_lo
	s_delay_alu instid0(SALU_CYCLE_1)
	s_or_b32 s26, s10, s26
	s_and_not1_b32 exec_lo, exec_lo, s25
	s_cbranch_execz .LBB2_3027
.LBB2_3022:                             ;   Parent Loop BB2_49 Depth=1
                                        ; =>  This Inner Loop Header: Depth=2
	s_sleep 1
	s_wait_loadcnt_dscnt 0x0
	flat_load_b64 v[26:27], v[18:19] scope:SCOPE_SYS
	s_or_b32 s28, s28, exec_lo
	s_or_b32 s27, s27, exec_lo
                                        ; implicit-def: $vgpr9
	s_wait_xcnt 0x0
	s_and_saveexec_b32 s40, vcc_lo
	s_cbranch_execz .LBB2_3021
; %bb.3023:                             ;   in Loop: Header=BB2_3022 Depth=2
	s_cmp_lt_i32 s29, 0x270f
	s_mov_b32 s41, -1
	s_cselect_b32 s43, -1, 0
	s_cmp_gt_i32 s29, 0x270e
	s_cbranch_scc0 .LBB2_3025
; %bb.3024:                             ;   in Loop: Header=BB2_3022 Depth=2
	s_trap 2
	ds_load_b64 v[66:67], v0
	s_and_not1_b32 s29, s43, exec_lo
	s_mov_b32 s42, 0
	s_wait_storecnt 0x0
	s_wait_loadcnt_dscnt 0x0
	flat_load_b32 v9, v[66:67] scope:SCOPE_SYS
	s_wait_loadcnt_dscnt 0x0
	global_inv scope:SCOPE_SYS
	v_cmp_eq_u32_e64 s10, 0, v9
	s_and_b32 s10, s10, exec_lo
	s_delay_alu instid0(SALU_CYCLE_1)
	s_or_b32 s43, s29, s10
	s_mov_b32 s29, 0
	s_and_saveexec_b32 s44, s43
	s_cbranch_execz .LBB2_3020
	s_branch .LBB2_3026
.LBB2_3025:                             ;   in Loop: Header=BB2_3022 Depth=2
	s_add_co_i32 s29, s29, 1
	s_mov_b32 s42, -1
                                        ; implicit-def: $vgpr9
	s_and_saveexec_b32 s44, s43
	s_cbranch_execz .LBB2_3020
.LBB2_3026:                             ;   in Loop: Header=BB2_3022 Depth=2
	s_wait_loadcnt_dscnt 0x0
	v_add_nc_u64_e32 v[66:67], v[26:27], v[34:35]
	s_or_b32 s42, s42, exec_lo
	s_delay_alu instid0(VALU_DEP_1)
	v_cmp_ge_u64_e64 s10, v[66:67], v[12:13]
	s_or_not1_b32 s41, s10, exec_lo
	s_branch .LBB2_3020
.LBB2_3027:                             ;   in Loop: Header=BB2_49 Depth=1
	s_or_b32 exec_lo, exec_lo, s25
	s_xor_b32 s10, s26, -1
	s_delay_alu instid0(SALU_CYCLE_1) | instskip(NEXT) | instid1(SALU_CYCLE_1)
	s_and_saveexec_b32 s25, s10
	s_xor_b32 s10, exec_lo, s25
	s_cbranch_execz .LBB2_3029
; %bb.3028:                             ;   in Loop: Header=BB2_49 Depth=1
	v_or_b32_e32 v56, 64, v56
	s_wait_storecnt 0x0
	s_wait_loadcnt_dscnt 0x0
	ds_store_b32 v0, v9
	s_trap 2
.LBB2_3029:                             ;   in Loop: Header=BB2_49 Depth=1
	s_or_b32 exec_lo, exec_lo, s10
.LBB2_3030:                             ;   in Loop: Header=BB2_49 Depth=1
	s_delay_alu instid0(SALU_CYCLE_1) | instskip(SKIP_2) | instid1(VALU_DEP_1)
	s_or_b32 exec_lo, exec_lo, s24
	v_and_b32_e32 v9, 0x108, v56
	;;#ASMSTART
	s_wakeup
	;;#ASMEND
	v_cmp_ne_u32_e32 vcc_lo, 0x108, v9
	v_and_b32_e32 v8, 7, v8
	s_and_saveexec_b32 s10, vcc_lo
	s_delay_alu instid0(SALU_CYCLE_1)
	s_xor_b32 s10, exec_lo, s10
; %bb.3031:                             ;   in Loop: Header=BB2_49 Depth=1
	v_mov_b32_e32 v9, v35
; %bb.3032:                             ;   in Loop: Header=BB2_49 Depth=1
	s_and_not1_saveexec_b32 s10, s10
	s_cbranch_execz .LBB2_3034
; %bb.3033:                             ;   in Loop: Header=BB2_49 Depth=1
	v_mad_nc_u64_u32 v[66:67], v8, 24, v[6:7]
	v_dual_ashrrev_i32 v11, 31, v10 :: v_dual_mov_b32 v9, v35
	flat_store_b64 v[66:67], v[10:11] offset:8
.LBB2_3034:                             ;   in Loop: Header=BB2_49 Depth=1
	s_wait_xcnt 0x0
	s_or_b32 exec_lo, exec_lo, s10
	v_and_b32_e32 v11, 0x100, v56
	s_mov_b32 s10, -1
	s_mov_b32 s24, exec_lo
                                        ; implicit-def: $vgpr66_vgpr67
	s_delay_alu instid0(VALU_DEP_1)
	v_cmpx_ne_u32_e32 0, v11
	s_cbranch_execz .LBB2_3038
; %bb.3035:                             ;   in Loop: Header=BB2_49 Depth=1
	v_mad_nc_u64_u32 v[68:69], v8, 24, v[6:7]
	s_mov_b32 s25, exec_lo
                                        ; implicit-def: $vgpr66_vgpr67
	s_delay_alu instid0(VALU_DEP_1)
	v_mad_u32 v69, v9, 24, v69
	flat_load_b32 v11, v[68:69]
	s_wait_loadcnt_dscnt 0x0
	v_cmp_ne_u32_e32 vcc_lo, 1, v11
	s_wait_xcnt 0x0
	v_cmpx_eq_u32_e32 1, v11
	s_cbranch_execz .LBB2_3037
; %bb.3036:                             ;   in Loop: Header=BB2_49 Depth=1
	flat_load_b32 v66, v[68:69] offset:4 scope:SCOPE_SYS
	s_wait_loadcnt_dscnt 0x0
	v_ashrrev_i32_e32 v67, 31, v66
.LBB2_3037:                             ;   in Loop: Header=BB2_49 Depth=1
	s_wait_xcnt 0x0
	s_or_b32 exec_lo, exec_lo, s25
	s_delay_alu instid0(SALU_CYCLE_1)
	s_or_not1_b32 s10, vcc_lo, exec_lo
.LBB2_3038:                             ;   in Loop: Header=BB2_49 Depth=1
	s_or_b32 exec_lo, exec_lo, s24
	s_and_saveexec_b32 s24, s10
; %bb.3039:                             ;   in Loop: Header=BB2_49 Depth=1
	v_mul_u64_e32 v[66:67], v[8:9], v[20:21]
; %bb.3040:                             ;   in Loop: Header=BB2_49 Depth=1
	s_or_b32 exec_lo, exec_lo, s24
	v_cmp_eq_u32_e32 vcc_lo, 0, v34
	s_delay_alu instid0(VALU_DEP_2) | instskip(SKIP_3) | instid1(VALU_DEP_1)
	v_add_nc_u64_e32 v[8:9], v[22:23], v[66:67]
	v_and_b32_e32 v30, 0x2000, v56
	s_mov_b32 s10, exec_lo
	v_cndmask_b32_e32 v11, 0xc8, v61, vcc_lo
	v_add_nc_u32_e32 v11, v0, v11
	ds_store_b64 v11, v[8:9] offset:584
	v_cmpx_ne_u32_e32 0, v30
	s_cbranch_execz .LBB2_3042
; %bb.3041:                             ;   in Loop: Header=BB2_49 Depth=1
	ds_load_b64 v[8:9], v0 offset:872
	s_wait_dscnt 0x0
	v_add_nc_u64_e32 v[8:9], 1, v[8:9]
	ds_store_b64 v0, v[8:9] offset:872
.LBB2_3042:                             ;   in Loop: Header=BB2_49 Depth=1
	s_or_b32 exec_lo, exec_lo, s10
	v_mov_b64_e32 v[8:9], v[12:13]
.LBB2_3043:                             ;   in Loop: Header=BB2_49 Depth=1
	s_or_b32 exec_lo, exec_lo, s23
	s_and_saveexec_b32 s10, s2
	s_cbranch_execz .LBB2_3062
; %bb.3044:                             ;   in Loop: Header=BB2_49 Depth=1
	s_and_saveexec_b32 s23, s3
	s_delay_alu instid0(SALU_CYCLE_1)
	s_xor_b32 s23, exec_lo, s23
	s_cbranch_execz .LBB2_3059
; %bb.3045:                             ;   in Loop: Header=BB2_49 Depth=1
	s_and_saveexec_b32 s24, s4
	s_cbranch_execz .LBB2_3058
; %bb.3046:                             ;   in Loop: Header=BB2_49 Depth=1
	s_mov_b32 s26, exec_lo
	s_mov_b32 s25, exec_lo
	v_mbcnt_lo_u32_b32 v11, s26, 0
	global_wb scope:SCOPE_DEV
	s_wait_storecnt 0x0
	s_wait_loadcnt_dscnt 0x0
	global_inv scope:SCOPE_DEV
	v_cmpx_eq_u32_e32 0, v11
	s_cbranch_execz .LBB2_3048
; %bb.3047:                             ;   in Loop: Header=BB2_49 Depth=1
	s_bcnt1_i32_b32 s26, s26
	s_delay_alu instid0(SALU_CYCLE_1)
	v_mov_b32_e32 v34, s26
	s_wait_loadcnt 0x0
	ds_add_u64 v0, v[34:35]
	s_trap 2
.LBB2_3048:                             ;   in Loop: Header=BB2_49 Depth=1
	s_or_b32 exec_lo, exec_lo, s25
	s_trap 2
	ds_load_b64 v[12:13], v0
	s_wait_dscnt 0x0
	v_add_nc_u64_e32 v[24:25], v[24:25], v[36:37]
	s_mov_b32 s25, exec_lo
	s_delay_alu instid0(VALU_DEP_1)
	v_cmpx_lt_u64_e64 v[12:13], v[24:25]
	s_cbranch_execz .LBB2_3057
; %bb.3049:                             ;   in Loop: Header=BB2_49 Depth=1
	s_mov_b32 s26, 0
	s_mov_b32 s29, 0
                                        ; implicit-def: $sgpr27
                                        ; implicit-def: $sgpr28
	s_branch .LBB2_3051
.LBB2_3050:                             ;   in Loop: Header=BB2_3051 Depth=2
	s_or_b32 exec_lo, exec_lo, s41
	s_delay_alu instid0(SALU_CYCLE_1) | instskip(NEXT) | instid1(SALU_CYCLE_1)
	s_and_b32 s40, exec_lo, s42
	s_or_b32 s26, s40, s26
	s_and_not1_b32 s27, s27, exec_lo
	s_and_b32 s40, s28, exec_lo
	s_delay_alu instid0(SALU_CYCLE_1)
	s_or_b32 s27, s27, s40
	s_and_not1_b32 exec_lo, exec_lo, s26
	s_cbranch_execz .LBB2_3055
.LBB2_3051:                             ;   Parent Loop BB2_49 Depth=1
                                        ; =>  This Inner Loop Header: Depth=2
	s_add_co_i32 s29, s29, 1
	s_delay_alu instid0(SALU_CYCLE_1) | instskip(SKIP_1) | instid1(SALU_CYCLE_1)
	s_cmp_lg_u32 s29, 0x2710
	s_cselect_b32 s40, -1, 0
	s_and_b32 vcc_lo, exec_lo, s40
	s_cbranch_vccz .LBB2_3053
; %bb.3052:                             ;   in Loop: Header=BB2_3051 Depth=2
	s_mov_b32 s42, -1
	s_or_b32 s28, s28, exec_lo
	s_and_saveexec_b32 s41, s40
	s_cbranch_execz .LBB2_3050
	s_branch .LBB2_3054
.LBB2_3053:                             ;   in Loop: Header=BB2_3051 Depth=2
	s_trap 2
	ds_load_b64 v[12:13], v0
	s_and_not1_b32 s40, s40, exec_lo
	s_mov_b32 s29, 0
	s_wait_loadcnt_dscnt 0x0
	flat_load_b32 v11, v[12:13] scope:SCOPE_SYS
	s_wait_loadcnt_dscnt 0x0
	global_inv scope:SCOPE_SYS
	v_cmp_eq_u32_e32 vcc_lo, 0, v11
	s_and_b32 s41, vcc_lo, exec_lo
	s_delay_alu instid0(SALU_CYCLE_1)
	s_or_b32 s40, s40, s41
	s_mov_b32 s42, -1
	s_or_b32 s28, s28, exec_lo
	s_and_saveexec_b32 s41, s40
	s_cbranch_execz .LBB2_3050
.LBB2_3054:                             ;   in Loop: Header=BB2_3051 Depth=2
	s_sleep 1
	s_trap 2
	ds_load_b64 v[12:13], v0
	s_wait_dscnt 0x0
	s_and_not1_b32 s28, s28, exec_lo
	v_cmp_ge_u64_e32 vcc_lo, v[12:13], v[24:25]
	s_or_not1_b32 s42, vcc_lo, exec_lo
	s_branch .LBB2_3050
.LBB2_3055:                             ;   in Loop: Header=BB2_49 Depth=1
	s_or_b32 exec_lo, exec_lo, s26
	s_and_saveexec_b32 s26, s27
	s_delay_alu instid0(SALU_CYCLE_1)
	s_xor_b32 s26, exec_lo, s26
	s_cbranch_execz .LBB2_3057
; %bb.3056:                             ;   in Loop: Header=BB2_49 Depth=1
	ds_store_b32 v0, v60
	s_trap 2
.LBB2_3057:                             ;   in Loop: Header=BB2_49 Depth=1
	s_or_b32 exec_lo, exec_lo, s25
	;;#ASMSTART
	s_wakeup
	;;#ASMEND
.LBB2_3058:                             ;   in Loop: Header=BB2_49 Depth=1
	s_or_b32 exec_lo, exec_lo, s24
.LBB2_3059:                             ;   in Loop: Header=BB2_49 Depth=1
	s_and_not1_saveexec_b32 s23, s23
	s_cbranch_execz .LBB2_3061
; %bb.3060:                             ;   in Loop: Header=BB2_49 Depth=1
	global_wb scope:SCOPE_DEV
	s_wait_storecnt 0x0
	s_wait_loadcnt_dscnt 0x0
	global_inv scope:SCOPE_DEV
	s_barrier_signal -1
	s_barrier_wait -1
.LBB2_3061:                             ;   in Loop: Header=BB2_49 Depth=1
	s_or_b32 exec_lo, exec_lo, s23
.LBB2_3062:                             ;   in Loop: Header=BB2_49 Depth=1
	s_delay_alu instid0(SALU_CYCLE_1)
	s_or_b32 exec_lo, exec_lo, s10
	s_trap 2
	ds_load_b32 v11, v0
	v_cmp_lt_i32_e32 vcc_lo, 0, v10
	s_wait_dscnt 0x0
	v_readfirstlane_b32 s10, v11
	v_and_b32_e32 v11, 16, v56
	s_cmp_eq_u32 s10, 0
	s_delay_alu instid0(VALU_DEP_1) | instskip(SKIP_1) | instid1(SALU_CYCLE_1)
	v_cmp_ne_u32_e64 s10, 0, v11
	s_cselect_b32 s23, -1, 0
	s_and_b32 s23, vcc_lo, s23
	s_delay_alu instid0(SALU_CYCLE_1) | instskip(NEXT) | instid1(SALU_CYCLE_1)
	s_and_b32 s23, s10, s23
	s_and_saveexec_b32 s10, s23
	s_cbranch_execz .LBB2_3064
; %bb.3063:                             ;   in Loop: Header=BB2_49 Depth=1
	global_wb scope:SCOPE_SYS
	s_wait_loadcnt 0x0
	s_wait_storecnt 0x0
	global_inv scope:SCOPE_SYS
.LBB2_3064:                             ;   in Loop: Header=BB2_49 Depth=1
	s_or_b32 exec_lo, exec_lo, s10
	v_cmp_ne_u32_e32 vcc_lo, 0, v11
	s_xor_b32 s10, s7, -1
	s_delay_alu instid0(SALU_CYCLE_1) | instskip(NEXT) | instid1(SALU_CYCLE_1)
	s_and_b32 s23, vcc_lo, s10
	s_and_saveexec_b32 s10, s23
	s_cbranch_execz .LBB2_3066
; %bb.3065:                             ;   in Loop: Header=BB2_49 Depth=1
	global_wb scope:SCOPE_SYS
	s_wait_loadcnt 0x0
	s_wait_storecnt 0x0
	flat_store_b32 v[32:33], v60 scope:SCOPE_SYS
.LBB2_3066:                             ;   in Loop: Header=BB2_49 Depth=1
	s_wait_xcnt 0x0
	s_or_b32 exec_lo, exec_lo, s10
	v_and_b32_e32 v10, 48, v56
	s_mov_b32 s10, exec_lo
	s_delay_alu instid0(VALU_DEP_1)
	v_cmpx_ne_u32_e32 0, v10
	s_cbranch_execz .LBB2_47
; %bb.3067:                             ;   in Loop: Header=BB2_49 Depth=1
	v_add_nc_u64_e32 v[8:9], 1, v[8:9]
	global_wb scope:SCOPE_SYS
	s_wait_storecnt 0x0
	s_wait_loadcnt_dscnt 0x0
	flat_store_b64 v[18:19], v[8:9] scope:SCOPE_SYS
	s_branch .LBB2_47
.LBB2_3068:
	s_or_b32 exec_lo, exec_lo, s20
.LBB2_3069:
	s_delay_alu instid0(SALU_CYCLE_1)
	s_or_b32 exec_lo, exec_lo, s18
                                        ; implicit-def: $vgpr14_vgpr15
                                        ; implicit-def: $vgpr4_vgpr5
                                        ; implicit-def: $vgpr20
                                        ; implicit-def: $vgpr26_vgpr27
                                        ; implicit-def: $vgpr22_vgpr23
                                        ; implicit-def: $vgpr18_vgpr19
                                        ; implicit-def: $vgpr0
                                        ; implicit-def: $vgpr30
                                        ; implicit-def: $vgpr28_vgpr29
.LBB2_3070:
	s_and_not1_saveexec_b32 s17, s17
	s_cbranch_execz .LBB2_6084
; %bb.3071:
	v_mov_b64_e32 v[24:25], 0
	s_mov_b32 s18, exec_lo
	v_cmpx_ne_u64_e32 0, v[4:5]
	s_cbranch_execz .LBB2_6083
; %bb.3072:
	s_ashr_i32 s2, s15, 31
	v_dual_ashrrev_i32 v21, 31, v20 :: v_dual_bitop2_b32 v10, 31, v31 bitop3:0x40
	v_dual_mov_b32 v33, 0 :: v_dual_bitop2_b32 v42, 31, v0 bitop3:0x40
	v_lshrrev_b32_e32 v34, 5, v1
	s_lshr_b32 s2, s2, 24
	v_cmp_eq_u32_e32 vcc_lo, 32, v1
	s_add_co_i32 s2, s15, s2
	v_mov_b64_e32 v[52:53], 0
	v_mov_b64_e32 v[24:25], 0
	v_cmp_ge_u32_e64 s1, v0, v1
	s_ashr_i32 s19, s2, 8
	v_cmp_ne_u32_e64 s2, 32, v1
	v_cmp_ne_u32_e64 s3, v1, v57
	v_cmp_eq_u32_e64 s4, 0, v10
	v_mov_b32_e32 v35, v33
	v_cmp_le_u32_e64 s5, v42, v30
	v_cmp_eq_u32_e64 s6, 0, v42
	v_dual_lshrrev_b32 v43, 5, v0 :: v_dual_lshlrev_b32 v36, 4, v0
	v_dual_mov_b32 v37, v33 :: v_dual_lshlrev_b32 v38, 9, v34
	v_dual_mov_b32 v39, v33 :: v_dual_lshlrev_b32 v48, 8, v34
	v_dual_mov_b32 v49, v33 :: v_dual_mov_b32 v51, v33
	v_and_b32_e32 v50, 0x1fe0, v1
	v_dual_mov_b32 v44, 1 :: v_dual_mov_b32 v45, 0x7f800000
	v_mov_b32_e32 v46, 0x7c
	s_mov_b64 s[12:13], 0xffffffffffffff
	s_mov_b32 s20, 0
	s_xor_b32 s21, vcc_lo, -1
	s_mov_b32 s22, 0x7f800000
	s_trap 2
	s_branch .LBB2_3075
.LBB2_3073:                             ;   in Loop: Header=BB2_3075 Depth=1
	s_wait_xcnt 0x0
	s_or_b32 exec_lo, exec_lo, s7
.LBB2_3074:                             ;   in Loop: Header=BB2_3075 Depth=1
	s_delay_alu instid0(SALU_CYCLE_1) | instskip(SKIP_1) | instid1(VALU_DEP_1)
	s_or_b32 exec_lo, exec_lo, s10
	v_add_nc_u64_e32 v[52:53], v[52:53], v[28:29]
	v_cmp_ge_u64_e32 vcc_lo, v[52:53], v[4:5]
	s_or_b32 s20, vcc_lo, s20
	s_delay_alu instid0(SALU_CYCLE_1)
	s_and_not1_b32 exec_lo, exec_lo, s20
	s_cbranch_execz .LBB2_6082
.LBB2_3075:                             ; =>This Loop Header: Depth=1
                                        ;     Child Loop BB2_3083 Depth 2
                                        ;     Child Loop BB2_3108 Depth 2
	;; [unrolled: 1-line block ×10, first 2 shown]
	v_sub_nc_u64_e32 v[10:11], v[4:5], v[52:53]
	v_mov_b32_e32 v30, v33
	s_delay_alu instid0(VALU_DEP_2) | instskip(NEXT) | instid1(VALU_DEP_1)
	v_min_u64 v[54:55], v[28:29], v[10:11]
	v_add_nc_u32_e32 v10, 15, v54
	s_delay_alu instid0(VALU_DEP_2) | instskip(NEXT) | instid1(VALU_DEP_2)
	v_cmp_eq_u64_e32 vcc_lo, 0, v[54:55]
	v_and_b32_e32 v10, 0x7ffffff0, v10
	s_or_b32 s23, s1, vcc_lo
	s_delay_alu instid0(SALU_CYCLE_1) | instskip(NEXT) | instid1(VALU_DEP_1)
	s_xor_b32 s7, s23, -1
	v_max_i32_e32 v55, s19, v10
	s_and_saveexec_b32 s24, s7
	s_cbranch_execz .LBB2_6036
; %bb.3076:                             ;   in Loop: Header=BB2_3075 Depth=1
	s_and_saveexec_b32 s7, s0
	s_cbranch_execz .LBB2_3078
; %bb.3077:                             ;   in Loop: Header=BB2_3075 Depth=1
	s_trap 2
	ds_load_b64 v[64:65], v0
	ds_load_2addr_b64 v[10:13], v0 offset1:1
	v_add_nc_u64_e32 v[66:67], v[52:53], v[14:15]
	s_wait_dscnt 0x1
	s_delay_alu instid0(VALU_DEP_1) | instskip(SKIP_4) | instid1(VALU_DEP_4)
	v_add_nc_u64_e32 v[68:69], v[64:65], v[66:67]
	v_cmp_ne_u64_e32 vcc_lo, 0, v[64:65]
	s_wait_dscnt 0x0
	v_add_nc_u64_e32 v[10:11], v[10:11], v[66:67]
	v_add_nc_u64_e32 v[12:13], v[12:13], v[66:67]
	v_dual_cndmask_b32 v65, 0, v69 :: v_dual_cndmask_b32 v64, 0, v68
	ds_store_b64 v0, v[10:11]
	ds_store_b64 v0, v[12:13]
	;; [unrolled: 1-line block ×3, first 2 shown]
.LBB2_3078:                             ;   in Loop: Header=BB2_3075 Depth=1
	s_or_b32 exec_lo, exec_lo, s7
	v_and_b32_e32 v10, 4, v56
	s_mov_b32 s10, exec_lo
	s_delay_alu instid0(VALU_DEP_1)
	v_cmpx_ne_u32_e32 0, v10
	s_cbranch_execz .LBB2_3100
; %bb.3079:                             ;   in Loop: Header=BB2_3075 Depth=1
	v_add_nc_u64_e32 v[10:11], 1, v[8:9]
	s_mov_b32 s11, exec_lo
	s_wait_loadcnt 0x0
	s_delay_alu instid0(VALU_DEP_1)
	v_cmpx_lt_u64_e64 v[26:27], v[10:11]
	s_cbranch_execz .LBB2_3091
; %bb.3080:                             ;   in Loop: Header=BB2_3075 Depth=1
	v_and_b32_e32 v9, 64, v56
	s_mov_b32 s25, 0
	s_mov_b32 s29, 0
                                        ; implicit-def: $sgpr26
                                        ; implicit-def: $sgpr27
                                        ; implicit-def: $sgpr28
	s_delay_alu instid0(VALU_DEP_1)
	v_cmp_eq_u32_e32 vcc_lo, 0, v9
	s_branch .LBB2_3083
.LBB2_3081:                             ;   in Loop: Header=BB2_3083 Depth=2
	s_or_b32 exec_lo, exec_lo, s44
	s_delay_alu instid0(SALU_CYCLE_1)
	s_and_not1_b32 s7, s28, exec_lo
	s_and_b32 s28, s42, exec_lo
	s_and_not1_b32 s27, s27, exec_lo
	s_and_b32 s41, s41, exec_lo
	s_or_b32 s28, s7, s28
	s_or_b32 s27, s27, s41
.LBB2_3082:                             ;   in Loop: Header=BB2_3083 Depth=2
	s_or_b32 exec_lo, exec_lo, s40
	s_delay_alu instid0(SALU_CYCLE_1) | instskip(NEXT) | instid1(SALU_CYCLE_1)
	s_and_b32 s7, exec_lo, s27
	s_or_b32 s25, s7, s25
	s_and_not1_b32 s7, s26, exec_lo
	s_and_b32 s26, s28, exec_lo
	s_delay_alu instid0(SALU_CYCLE_1)
	s_or_b32 s26, s7, s26
	s_and_not1_b32 exec_lo, exec_lo, s25
	s_cbranch_execz .LBB2_3088
.LBB2_3083:                             ;   Parent Loop BB2_3075 Depth=1
                                        ; =>  This Inner Loop Header: Depth=2
	s_sleep 1
	s_wait_loadcnt_dscnt 0x0
	flat_load_b64 v[26:27], v[18:19] scope:SCOPE_SYS
	s_or_b32 s28, s28, exec_lo
	s_or_b32 s27, s27, exec_lo
                                        ; implicit-def: $vgpr9
	s_wait_xcnt 0x0
	s_and_saveexec_b32 s40, vcc_lo
	s_cbranch_execz .LBB2_3082
; %bb.3084:                             ;   in Loop: Header=BB2_3083 Depth=2
	s_cmp_lt_i32 s29, 0x270f
	s_mov_b32 s41, -1
	s_cselect_b32 s43, -1, 0
	s_cmp_gt_i32 s29, 0x270e
	s_cbranch_scc0 .LBB2_3086
; %bb.3085:                             ;   in Loop: Header=BB2_3083 Depth=2
	s_trap 2
	ds_load_b64 v[12:13], v0
	s_and_not1_b32 s29, s43, exec_lo
	s_mov_b32 s42, 0
	s_wait_storecnt 0x0
	s_wait_loadcnt_dscnt 0x0
	flat_load_b32 v9, v[12:13] scope:SCOPE_SYS
	s_wait_loadcnt_dscnt 0x0
	global_inv scope:SCOPE_SYS
	v_cmp_eq_u32_e64 s7, 0, v9
	s_and_b32 s7, s7, exec_lo
	s_delay_alu instid0(SALU_CYCLE_1)
	s_or_b32 s43, s29, s7
	s_mov_b32 s29, 0
	s_and_saveexec_b32 s44, s43
	s_cbranch_execz .LBB2_3081
	s_branch .LBB2_3087
.LBB2_3086:                             ;   in Loop: Header=BB2_3083 Depth=2
	s_add_co_i32 s29, s29, 1
	s_mov_b32 s42, -1
                                        ; implicit-def: $vgpr9
	s_and_saveexec_b32 s44, s43
	s_cbranch_execz .LBB2_3081
.LBB2_3087:                             ;   in Loop: Header=BB2_3083 Depth=2
	s_wait_loadcnt_dscnt 0x0
	v_cmp_ge_u64_e64 s7, v[26:27], v[10:11]
	s_or_b32 s42, s42, exec_lo
	s_or_not1_b32 s41, s7, exec_lo
	s_branch .LBB2_3081
.LBB2_3088:                             ;   in Loop: Header=BB2_3075 Depth=1
	s_or_b32 exec_lo, exec_lo, s25
	s_xor_b32 s7, s26, -1
	s_delay_alu instid0(SALU_CYCLE_1) | instskip(NEXT) | instid1(SALU_CYCLE_1)
	s_and_saveexec_b32 s25, s7
	s_xor_b32 s7, exec_lo, s25
	s_cbranch_execz .LBB2_3090
; %bb.3089:                             ;   in Loop: Header=BB2_3075 Depth=1
	v_or_b32_e32 v56, 64, v56
	s_wait_storecnt 0x0
	s_wait_loadcnt_dscnt 0x0
	ds_store_b32 v0, v9
	s_trap 2
.LBB2_3090:                             ;   in Loop: Header=BB2_3075 Depth=1
	s_or_b32 exec_lo, exec_lo, s7
.LBB2_3091:                             ;   in Loop: Header=BB2_3075 Depth=1
	s_delay_alu instid0(SALU_CYCLE_1) | instskip(SKIP_4) | instid1(VALU_DEP_2)
	s_or_b32 exec_lo, exec_lo, s11
	v_and_b32_e32 v9, 0x100, v56
	v_and_b32_e32 v32, 7, v8
	s_mov_b32 s7, -1
	;;#ASMSTART
	s_wakeup
	;;#ASMEND
	v_cmp_ne_u32_e32 vcc_lo, 0, v9
                                        ; implicit-def: $vgpr8_vgpr9
	s_and_saveexec_b32 s11, vcc_lo
	s_cbranch_execz .LBB2_3095
; %bb.3092:                             ;   in Loop: Header=BB2_3075 Depth=1
	v_mad_nc_u64_u32 v[12:13], v32, 24, v[6:7]
	flat_load_b32 v8, v[12:13]
	s_wait_loadcnt_dscnt 0x0
	v_cmp_eq_u32_e64 s7, 1, v8
	v_cmp_ne_u32_e32 vcc_lo, 1, v8
                                        ; implicit-def: $vgpr8_vgpr9
	s_wait_xcnt 0x0
	s_and_saveexec_b32 s25, s7
	s_cbranch_execz .LBB2_3094
; %bb.3093:                             ;   in Loop: Header=BB2_3075 Depth=1
	flat_load_b32 v8, v[12:13] offset:4 scope:SCOPE_SYS
	s_wait_loadcnt_dscnt 0x0
	v_ashrrev_i32_e32 v9, 31, v8
.LBB2_3094:                             ;   in Loop: Header=BB2_3075 Depth=1
	s_wait_xcnt 0x0
	s_or_b32 exec_lo, exec_lo, s25
	s_delay_alu instid0(SALU_CYCLE_1)
	s_or_not1_b32 s7, vcc_lo, exec_lo
.LBB2_3095:                             ;   in Loop: Header=BB2_3075 Depth=1
	s_or_b32 exec_lo, exec_lo, s11
	s_and_saveexec_b32 s11, s7
; %bb.3096:                             ;   in Loop: Header=BB2_3075 Depth=1
	v_mul_u64_e32 v[8:9], v[32:33], v[20:21]
; %bb.3097:                             ;   in Loop: Header=BB2_3075 Depth=1
	s_or_b32 exec_lo, exec_lo, s11
	s_delay_alu instid0(VALU_DEP_1)
	v_add_nc_u64_e32 v[8:9], v[22:23], v[8:9]
	v_and_b32_e32 v12, 0x2000, v56
	s_mov_b32 s7, exec_lo
	ds_store_b64 v0, v[8:9] offset:728
	v_cmpx_ne_u32_e32 0, v12
	s_cbranch_execz .LBB2_3099
; %bb.3098:                             ;   in Loop: Header=BB2_3075 Depth=1
	ds_load_b64 v[8:9], v0 offset:872
	s_wait_dscnt 0x0
	v_add_nc_u64_e32 v[8:9], 1, v[8:9]
	ds_store_b64 v0, v[8:9] offset:872
.LBB2_3099:                             ;   in Loop: Header=BB2_3075 Depth=1
	s_or_b32 exec_lo, exec_lo, s7
	v_mov_b64_e32 v[8:9], v[10:11]
.LBB2_3100:                             ;   in Loop: Header=BB2_3075 Depth=1
	s_or_b32 exec_lo, exec_lo, s10
	s_and_saveexec_b32 s7, s2
	s_cbranch_execz .LBB2_3119
; %bb.3101:                             ;   in Loop: Header=BB2_3075 Depth=1
	s_and_saveexec_b32 s10, s3
	s_delay_alu instid0(SALU_CYCLE_1)
	s_xor_b32 s10, exec_lo, s10
	s_cbranch_execz .LBB2_3116
; %bb.3102:                             ;   in Loop: Header=BB2_3075 Depth=1
	s_and_saveexec_b32 s11, s4
	s_cbranch_execz .LBB2_3115
; %bb.3103:                             ;   in Loop: Header=BB2_3075 Depth=1
	s_mov_b32 s26, exec_lo
	s_mov_b32 s25, exec_lo
	v_mbcnt_lo_u32_b32 v10, s26, 0
	global_wb scope:SCOPE_DEV
	s_wait_storecnt 0x0
	s_wait_loadcnt_dscnt 0x0
	global_inv scope:SCOPE_DEV
	v_cmpx_eq_u32_e32 0, v10
	s_cbranch_execz .LBB2_3105
; %bb.3104:                             ;   in Loop: Header=BB2_3075 Depth=1
	s_bcnt1_i32_b32 s26, s26
	s_delay_alu instid0(SALU_CYCLE_1)
	v_mov_b32_e32 v32, s26
	s_wait_loadcnt 0x0
	ds_add_u64 v0, v[32:33]
	s_trap 2
.LBB2_3105:                             ;   in Loop: Header=BB2_3075 Depth=1
	s_or_b32 exec_lo, exec_lo, s25
	s_trap 2
	ds_load_b64 v[10:11], v0
	s_wait_dscnt 0x0
	v_add_nc_u64_e32 v[24:25], v[24:25], v[34:35]
	s_mov_b32 s25, exec_lo
	s_delay_alu instid0(VALU_DEP_1)
	v_cmpx_lt_u64_e64 v[10:11], v[24:25]
	s_cbranch_execz .LBB2_3114
; %bb.3106:                             ;   in Loop: Header=BB2_3075 Depth=1
	s_mov_b32 s26, 0
	s_mov_b32 s29, 0
                                        ; implicit-def: $sgpr27
                                        ; implicit-def: $sgpr28
	s_branch .LBB2_3108
.LBB2_3107:                             ;   in Loop: Header=BB2_3108 Depth=2
	s_or_b32 exec_lo, exec_lo, s41
	s_delay_alu instid0(SALU_CYCLE_1) | instskip(NEXT) | instid1(SALU_CYCLE_1)
	s_and_b32 s40, exec_lo, s42
	s_or_b32 s26, s40, s26
	s_and_not1_b32 s27, s27, exec_lo
	s_and_b32 s40, s28, exec_lo
	s_delay_alu instid0(SALU_CYCLE_1)
	s_or_b32 s27, s27, s40
	s_and_not1_b32 exec_lo, exec_lo, s26
	s_cbranch_execz .LBB2_3112
.LBB2_3108:                             ;   Parent Loop BB2_3075 Depth=1
                                        ; =>  This Inner Loop Header: Depth=2
	s_add_co_i32 s29, s29, 1
	s_delay_alu instid0(SALU_CYCLE_1) | instskip(SKIP_1) | instid1(SALU_CYCLE_1)
	s_cmp_lg_u32 s29, 0x2710
	s_cselect_b32 s40, -1, 0
	s_and_b32 vcc_lo, exec_lo, s40
	s_cbranch_vccz .LBB2_3110
; %bb.3109:                             ;   in Loop: Header=BB2_3108 Depth=2
	s_mov_b32 s42, -1
	s_or_b32 s28, s28, exec_lo
	s_and_saveexec_b32 s41, s40
	s_cbranch_execz .LBB2_3107
	s_branch .LBB2_3111
.LBB2_3110:                             ;   in Loop: Header=BB2_3108 Depth=2
	s_trap 2
	ds_load_b64 v[10:11], v0
	s_and_not1_b32 s40, s40, exec_lo
	s_mov_b32 s29, 0
	s_wait_loadcnt_dscnt 0x0
	flat_load_b32 v10, v[10:11] scope:SCOPE_SYS
	s_wait_loadcnt_dscnt 0x0
	global_inv scope:SCOPE_SYS
	v_cmp_eq_u32_e32 vcc_lo, 0, v10
	s_and_b32 s41, vcc_lo, exec_lo
	s_delay_alu instid0(SALU_CYCLE_1)
	s_or_b32 s40, s40, s41
	s_mov_b32 s42, -1
	s_or_b32 s28, s28, exec_lo
	s_and_saveexec_b32 s41, s40
	s_cbranch_execz .LBB2_3107
.LBB2_3111:                             ;   in Loop: Header=BB2_3108 Depth=2
	s_sleep 1
	s_trap 2
	ds_load_b64 v[10:11], v0
	s_wait_dscnt 0x0
	s_and_not1_b32 s28, s28, exec_lo
	v_cmp_ge_u64_e32 vcc_lo, v[10:11], v[24:25]
	s_or_not1_b32 s42, vcc_lo, exec_lo
	s_branch .LBB2_3107
.LBB2_3112:                             ;   in Loop: Header=BB2_3075 Depth=1
	s_or_b32 exec_lo, exec_lo, s26
	s_and_saveexec_b32 s26, s27
	s_delay_alu instid0(SALU_CYCLE_1)
	s_xor_b32 s26, exec_lo, s26
	s_cbranch_execz .LBB2_3114
; %bb.3113:                             ;   in Loop: Header=BB2_3075 Depth=1
	ds_store_b32 v0, v44
	s_trap 2
.LBB2_3114:                             ;   in Loop: Header=BB2_3075 Depth=1
	s_or_b32 exec_lo, exec_lo, s25
	;;#ASMSTART
	s_wakeup
	;;#ASMEND
.LBB2_3115:                             ;   in Loop: Header=BB2_3075 Depth=1
	s_or_b32 exec_lo, exec_lo, s11
.LBB2_3116:                             ;   in Loop: Header=BB2_3075 Depth=1
	s_and_not1_saveexec_b32 s10, s10
	s_cbranch_execz .LBB2_3118
; %bb.3117:                             ;   in Loop: Header=BB2_3075 Depth=1
	global_wb scope:SCOPE_DEV
	s_wait_storecnt 0x0
	s_wait_loadcnt_dscnt 0x0
	global_inv scope:SCOPE_DEV
	s_barrier_signal -1
	s_barrier_wait -1
.LBB2_3118:                             ;   in Loop: Header=BB2_3075 Depth=1
	s_or_b32 exec_lo, exec_lo, s10
.LBB2_3119:                             ;   in Loop: Header=BB2_3075 Depth=1
	s_delay_alu instid0(SALU_CYCLE_1) | instskip(SKIP_3) | instid1(VALU_DEP_1)
	s_or_b32 exec_lo, exec_lo, s7
	s_trap 2
	ds_load_b32 v10, v0
	v_and_b32_e32 v11, 0x4000, v56
	v_cmp_ne_u32_e32 vcc_lo, 0, v11
	s_and_b32 s10, s21, vcc_lo
	s_delay_alu instid0(SALU_CYCLE_1)
	s_and_saveexec_b32 s7, s10
	s_cbranch_execz .LBB2_3138
; %bb.3120:                             ;   in Loop: Header=BB2_3075 Depth=1
	s_and_saveexec_b32 s10, s3
	s_delay_alu instid0(SALU_CYCLE_1)
	s_xor_b32 s10, exec_lo, s10
	s_cbranch_execz .LBB2_3135
; %bb.3121:                             ;   in Loop: Header=BB2_3075 Depth=1
	s_and_saveexec_b32 s11, s4
	s_cbranch_execz .LBB2_3134
; %bb.3122:                             ;   in Loop: Header=BB2_3075 Depth=1
	s_mov_b32 s26, exec_lo
	s_mov_b32 s25, exec_lo
	v_mbcnt_lo_u32_b32 v11, s26, 0
	global_wb scope:SCOPE_DEV
	s_wait_storecnt 0x0
	s_wait_loadcnt_dscnt 0x0
	global_inv scope:SCOPE_DEV
	v_cmpx_eq_u32_e32 0, v11
	s_cbranch_execz .LBB2_3124
; %bb.3123:                             ;   in Loop: Header=BB2_3075 Depth=1
	s_bcnt1_i32_b32 s26, s26
	s_delay_alu instid0(SALU_CYCLE_1)
	v_mov_b32_e32 v32, s26
	s_wait_loadcnt 0x0
	ds_add_u64 v0, v[32:33]
	s_trap 2
.LBB2_3124:                             ;   in Loop: Header=BB2_3075 Depth=1
	s_or_b32 exec_lo, exec_lo, s25
	s_trap 2
	ds_load_b64 v[12:13], v0
	s_wait_dscnt 0x0
	v_add_nc_u64_e32 v[24:25], v[24:25], v[34:35]
	s_mov_b32 s25, exec_lo
	s_delay_alu instid0(VALU_DEP_1)
	v_cmpx_lt_u64_e64 v[12:13], v[24:25]
	s_cbranch_execz .LBB2_3133
; %bb.3125:                             ;   in Loop: Header=BB2_3075 Depth=1
	s_mov_b32 s26, 0
	s_mov_b32 s29, 0
                                        ; implicit-def: $sgpr27
                                        ; implicit-def: $sgpr28
	s_branch .LBB2_3127
.LBB2_3126:                             ;   in Loop: Header=BB2_3127 Depth=2
	s_or_b32 exec_lo, exec_lo, s41
	s_delay_alu instid0(SALU_CYCLE_1) | instskip(NEXT) | instid1(SALU_CYCLE_1)
	s_and_b32 s40, exec_lo, s42
	s_or_b32 s26, s40, s26
	s_and_not1_b32 s27, s27, exec_lo
	s_and_b32 s40, s28, exec_lo
	s_delay_alu instid0(SALU_CYCLE_1)
	s_or_b32 s27, s27, s40
	s_and_not1_b32 exec_lo, exec_lo, s26
	s_cbranch_execz .LBB2_3131
.LBB2_3127:                             ;   Parent Loop BB2_3075 Depth=1
                                        ; =>  This Inner Loop Header: Depth=2
	s_add_co_i32 s29, s29, 1
	s_delay_alu instid0(SALU_CYCLE_1) | instskip(SKIP_1) | instid1(SALU_CYCLE_1)
	s_cmp_lg_u32 s29, 0x2710
	s_cselect_b32 s40, -1, 0
	s_and_b32 vcc_lo, exec_lo, s40
	s_cbranch_vccz .LBB2_3129
; %bb.3128:                             ;   in Loop: Header=BB2_3127 Depth=2
	s_mov_b32 s42, -1
	s_or_b32 s28, s28, exec_lo
	s_and_saveexec_b32 s41, s40
	s_cbranch_execz .LBB2_3126
	s_branch .LBB2_3130
.LBB2_3129:                             ;   in Loop: Header=BB2_3127 Depth=2
	s_trap 2
	ds_load_b64 v[12:13], v0
	s_and_not1_b32 s40, s40, exec_lo
	s_mov_b32 s29, 0
	s_wait_loadcnt_dscnt 0x0
	flat_load_b32 v11, v[12:13] scope:SCOPE_SYS
	s_wait_loadcnt_dscnt 0x0
	global_inv scope:SCOPE_SYS
	v_cmp_eq_u32_e32 vcc_lo, 0, v11
	s_and_b32 s41, vcc_lo, exec_lo
	s_delay_alu instid0(SALU_CYCLE_1)
	s_or_b32 s40, s40, s41
	s_mov_b32 s42, -1
	s_or_b32 s28, s28, exec_lo
	s_and_saveexec_b32 s41, s40
	s_cbranch_execz .LBB2_3126
.LBB2_3130:                             ;   in Loop: Header=BB2_3127 Depth=2
	s_sleep 1
	s_trap 2
	ds_load_b64 v[12:13], v0
	s_wait_dscnt 0x0
	s_and_not1_b32 s28, s28, exec_lo
	v_cmp_ge_u64_e32 vcc_lo, v[12:13], v[24:25]
	s_or_not1_b32 s42, vcc_lo, exec_lo
	s_branch .LBB2_3126
.LBB2_3131:                             ;   in Loop: Header=BB2_3075 Depth=1
	s_or_b32 exec_lo, exec_lo, s26
	s_and_saveexec_b32 s26, s27
	s_delay_alu instid0(SALU_CYCLE_1)
	s_xor_b32 s26, exec_lo, s26
	s_cbranch_execz .LBB2_3133
; %bb.3132:                             ;   in Loop: Header=BB2_3075 Depth=1
	ds_store_b32 v0, v44
	s_trap 2
.LBB2_3133:                             ;   in Loop: Header=BB2_3075 Depth=1
	s_or_b32 exec_lo, exec_lo, s25
	;;#ASMSTART
	s_wakeup
	;;#ASMEND
.LBB2_3134:                             ;   in Loop: Header=BB2_3075 Depth=1
	s_or_b32 exec_lo, exec_lo, s11
.LBB2_3135:                             ;   in Loop: Header=BB2_3075 Depth=1
	s_and_not1_saveexec_b32 s10, s10
	s_cbranch_execz .LBB2_3137
; %bb.3136:                             ;   in Loop: Header=BB2_3075 Depth=1
	global_wb scope:SCOPE_DEV
	s_wait_storecnt 0x0
	s_wait_loadcnt_dscnt 0x0
	global_inv scope:SCOPE_DEV
	s_barrier_signal -1
	s_barrier_wait -1
.LBB2_3137:                             ;   in Loop: Header=BB2_3075 Depth=1
	s_or_b32 exec_lo, exec_lo, s10
.LBB2_3138:                             ;   in Loop: Header=BB2_3075 Depth=1
	s_delay_alu instid0(SALU_CYCLE_1)
	s_or_b32 exec_lo, exec_lo, s7
	s_trap 2
	ds_load_b64 v[64:65], v0
	v_min_u32_e32 v55, v55, v54
	s_wait_dscnt 0x0
	v_cmp_eq_u64_e32 vcc_lo, 0, v[64:65]
	s_cbranch_vccnz .LBB2_3146
; %bb.3139:                             ;   in Loop: Header=BB2_3075 Depth=1
	s_trap 2
	ds_load_b64 v[66:67], v0
	s_wait_dscnt 0x0
	v_cmp_eq_u64_e32 vcc_lo, 0, v[66:67]
	s_cbranch_vccnz .LBB2_3146
; %bb.3140:                             ;   in Loop: Header=BB2_3075 Depth=1
	s_mov_b32 s7, -1
	s_and_saveexec_b32 s10, s5
	s_cbranch_execz .LBB2_3142
; %bb.3141:                             ;   in Loop: Header=BB2_3075 Depth=1
	ds_load_b32 v11, v0 offset:720
	s_wait_dscnt 0x0
	v_and_b32_e32 v11, 15, v11
	s_delay_alu instid0(VALU_DEP_1)
	v_cmp_eq_u32_e32 vcc_lo, 0, v11
	s_or_not1_b32 s7, vcc_lo, exec_lo
.LBB2_3142:                             ;   in Loop: Header=BB2_3075 Depth=1
	s_or_b32 exec_lo, exec_lo, s10
	s_and_saveexec_b32 s10, s6
	s_cbranch_execz .LBB2_3144
; %bb.3143:                             ;   in Loop: Header=BB2_3075 Depth=1
	ds_load_b32 v11, v0 offset:784
	s_wait_dscnt 0x0
	v_and_b32_e32 v11, 15, v11
	s_delay_alu instid0(VALU_DEP_1) | instskip(SKIP_3) | instid1(SALU_CYCLE_1)
	v_cmp_eq_u32_e32 vcc_lo, 0, v11
	s_and_b32 s11, s7, vcc_lo
	s_and_not1_b32 s7, s7, exec_lo
	s_and_b32 s11, s11, exec_lo
	s_or_b32 s7, s7, s11
.LBB2_3144:                             ;   in Loop: Header=BB2_3075 Depth=1
	s_or_b32 exec_lo, exec_lo, s10
	v_cmp_eq_u32_e32 vcc_lo, 0, v10
	s_xor_b32 s7, s7, -1
	s_mov_b32 s11, -1
	v_cndmask_b32_e64 v11, 0, 1, s7
	v_dual_mov_b32 v58, 0 :: v_dual_cndmask_b32 v47, 0, v55
	v_mov_b32_e32 v30, v0
	s_delay_alu instid0(VALU_DEP_3) | instskip(NEXT) | instid1(VALU_DEP_3)
	v_cmp_ne_u32_e32 vcc_lo, 0, v11
	v_mov_b32_e32 v59, v47
	s_cbranch_vccz .LBB2_3147
; %bb.3145:                             ;   in Loop: Header=BB2_3075 Depth=1
	s_and_saveexec_b32 s25, s11
	s_cbranch_execnz .LBB2_5286
	s_branch .LBB2_6012
.LBB2_3146:                             ;   in Loop: Header=BB2_3075 Depth=1
	s_mov_b32 s7, 0
	s_and_saveexec_b32 s10, s2
	s_cbranch_execnz .LBB2_6013
	s_branch .LBB2_6031
.LBB2_3147:                             ;   in Loop: Header=BB2_3075 Depth=1
	v_dual_lshrrev_b32 v10, 9, v47 :: v_dual_sub_nc_u32 v98, v47, v36
	v_and_b32_e32 v97, 0x1ff, v47
	s_mov_b32 s11, exec_lo
	s_delay_alu instid0(VALU_DEP_2) | instskip(NEXT) | instid1(VALU_DEP_2)
	v_sub_nc_u32_e32 v10, v10, v43
	v_cmp_lt_u32_e64 s7, 15, v97
	s_delay_alu instid0(VALU_DEP_1)
	v_add_co_ci_u32_e64 v96, null, 0, v10, s7
	v_cmpx_lt_i32_e32 15, v98
	s_cbranch_execz .LBB2_4215
; %bb.3148:                             ;   in Loop: Header=BB2_3075 Depth=1
	s_trap 2
	ds_load_b64 v[10:11], v0
	v_add_nc_u64_e32 v[68:69], v[64:65], v[36:37]
	v_add_nc_u64_e32 v[70:71], v[66:67], v[36:37]
	s_wait_dscnt 0x0
	v_readfirstlane_b32 s26, v10
	v_readfirstlane_b32 s27, v11
	v_add_nc_u64_e32 v[80:81], v[10:11], v[36:37]
	s_and_b32 s25, s26, 3
	s_bfe_i32 s10, s26, 0x80000
	s_clz_i32_u32 s40, s25
	s_bfe_u32 s28, s26, 0x50002
	s_min_u32 s40, s40, 32
	s_and_b32 s29, s26, 0x7c
	s_sub_co_i32 s43, s40, 29
	s_lshl_b32 s41, s26, 24
	s_sext_i32_i8 s42, s26
	s_lshl_b64 s[26:27], s[26:27], s43
	s_and_b32 s41, s41, 0x80000000
	s_sub_co_i32 s27, 30, s40
	s_and_b32 s26, s26, 3
	s_cmp_gt_i32 s42, -1
	s_cselect_b32 s40, s22, 0xff800000
	s_cmp_eq_u32 s25, 0
	s_cselect_b32 s40, s40, 0x7f800001
	s_cmp_eq_u32 s28, 0
	s_cselect_b32 s27, s27, s28
	s_cselect_b32 s25, s26, s25
	s_lshl_b32 s26, s27, 23
	s_lshl_b32 s25, s25, 21
	s_add_co_i32 s26, s26, s41
	s_delay_alu instid0(SALU_CYCLE_1)
	s_or_b32 s25, s26, s25
	s_mov_b32 s26, 0
	s_add_co_i32 s25, s25, 0x38000000
	s_cmp_eq_u32 s29, 0x7c
	s_cselect_b32 s25, s40, s25
	s_and_b32 s27, s10, 0xff
	s_delay_alu instid0(SALU_CYCLE_1)
	s_and_b32 s28, 0xffff, s27
	s_branch .LBB2_3151
.LBB2_3149:                             ;   in Loop: Header=BB2_3151 Depth=2
	s_or_b32 exec_lo, exec_lo, s29
.LBB2_3150:                             ;   in Loop: Header=BB2_3151 Depth=2
	s_delay_alu instid0(SALU_CYCLE_1)
	s_or_b32 exec_lo, exec_lo, s10
	v_lshl_or_b32 v11, v87, 8, v86
	v_dual_lshlrev_b32 v12, 16, v118 :: v_dual_lshlrev_b32 v32, 16, v112
	v_dual_lshlrev_b32 v13, 24, v30 :: v_dual_lshlrev_b32 v83, 24, v115
	v_lshl_or_b32 v30, v101, 8, v99
	v_lshl_or_b32 v86, v114, 8, v102
	v_dual_lshlrev_b32 v87, 16, v117 :: v_dual_lshlrev_b32 v99, 24, v119
	v_lshlrev_b32_e32 v100, 24, v10
	v_lshlrev_b32_e32 v82, 16, v82
	v_lshl_or_b32 v84, v85, 8, v84
	v_or3_b32 v11, v11, v12, v13
	v_or3_b32 v10, v30, v32, v83
	;; [unrolled: 1-line block ×3, first 2 shown]
	v_sub_nc_u32_e32 v98, v98, v38
	v_or3_b32 v13, v84, v82, v100
	v_add_nc_u64_e32 v[68:69], v[68:69], v[38:39]
	v_add_nc_u64_e32 v[80:81], v[80:81], v[38:39]
	v_sub_nc_u32_e32 v96, v96, v34
	v_cmp_gt_i32_e32 vcc_lo, 16, v98
	global_store_b128 v[70:71], v[10:13], off th:TH_STORE_NT
	s_wait_xcnt 0x0
	v_add_nc_u64_e32 v[70:71], v[70:71], v[38:39]
	s_or_b32 s26, vcc_lo, s26
	s_delay_alu instid0(SALU_CYCLE_1)
	s_and_not1_b32 exec_lo, exec_lo, s26
	s_cbranch_execz .LBB2_4214
.LBB2_3151:                             ;   Parent Loop BB2_3075 Depth=1
                                        ; =>  This Inner Loop Header: Depth=2
	s_cmp_lt_i32 s27, 0x80
	s_cbranch_scc1 .LBB2_3155
; %bb.3152:                             ;   in Loop: Header=BB2_3151 Depth=2
	s_cmp_eq_u32 s28, 0x80
	s_mov_b32 s10, -1
	s_cbranch_scc0 .LBB2_3154
; %bb.3153:                             ;   in Loop: Header=BB2_3151 Depth=2
	s_mov_b32 s10, 0
.LBB2_3154:                             ;   in Loop: Header=BB2_3151 Depth=2
	s_brev_b32 s29, 1
	s_branch .LBB2_3157
.LBB2_3155:                             ;   in Loop: Header=BB2_3151 Depth=2
	s_mov_b32 s10, 0
	s_brev_b32 s29, 1
	s_cbranch_execz .LBB2_3157
; %bb.3156:                             ;   in Loop: Header=BB2_3151 Depth=2
	s_cmp_lg_u32 s28, 0
	s_mov_b32 s29, 0
	s_cselect_b32 s10, -1, 0
.LBB2_3157:                             ;   in Loop: Header=BB2_3151 Depth=2
	s_delay_alu instid0(SALU_CYCLE_1)
	s_and_not1_b32 vcc_lo, exec_lo, s10
	s_cbranch_vccnz .LBB2_3159
; %bb.3158:                             ;   in Loop: Header=BB2_3151 Depth=2
	s_mov_b32 s29, s25
.LBB2_3159:                             ;   in Loop: Header=BB2_3151 Depth=2
	global_load_b128 v[10:13], v[68:69], off th:TH_LOAD_NT
	s_wait_loadcnt 0x0
	v_and_b32_e32 v30, 0xff, v10
	s_delay_alu instid0(VALU_DEP_1)
	v_cmp_ne_u16_e32 vcc_lo, 0, v30
	v_mov_b32_e32 v30, 0
	s_wait_xcnt 0x0
	s_and_saveexec_b32 s10, vcc_lo
	s_cbranch_execz .LBB2_3169
; %bb.3160:                             ;   in Loop: Header=BB2_3151 Depth=2
	v_bfe_i32 v82, v10, 0, 8
	v_bfrev_b32_e32 v30, 1
	s_mov_b32 s40, exec_lo
	s_delay_alu instid0(VALU_DEP_2)
	v_cmpx_ne_u16_e32 0xff80, v82
	s_cbranch_execz .LBB2_3168
; %bb.3161:                             ;   in Loop: Header=BB2_3151 Depth=2
	v_and_b32_e32 v30, 0x7c, v10
	v_and_b32_e32 v32, 3, v10
	s_delay_alu instid0(VALU_DEP_2) | instskip(SKIP_1) | instid1(SALU_CYCLE_1)
	v_cmp_ne_u32_e32 vcc_lo, 0x7c, v30
                                        ; implicit-def: $vgpr30
	s_and_saveexec_b32 s41, vcc_lo
	s_xor_b32 s41, exec_lo, s41
	s_cbranch_execz .LBB2_3165
; %bb.3162:                             ;   in Loop: Header=BB2_3151 Depth=2
	v_bfe_u32 v30, v10, 2, 5
	s_mov_b32 s42, exec_lo
	s_delay_alu instid0(VALU_DEP_1)
	v_cmpx_eq_u32_e32 0, v30
; %bb.3163:                             ;   in Loop: Header=BB2_3151 Depth=2
	v_clz_i32_u32_e32 v30, v32
	s_delay_alu instid0(VALU_DEP_1) | instskip(NEXT) | instid1(VALU_DEP_1)
	v_min_u32_e32 v30, 32, v30
	v_subrev_nc_u32_e32 v32, 29, v30
	v_sub_nc_u32_e32 v30, 30, v30
	s_delay_alu instid0(VALU_DEP_2) | instskip(NEXT) | instid1(VALU_DEP_1)
	v_lshlrev_b64_e32 v[82:83], v32, v[10:11]
	v_and_b32_e32 v32, 3, v82
; %bb.3164:                             ;   in Loop: Header=BB2_3151 Depth=2
	s_or_b32 exec_lo, exec_lo, s42
	v_lshlrev_b32_e32 v82, 24, v10
	s_delay_alu instid0(VALU_DEP_1) | instskip(NEXT) | instid1(VALU_DEP_1)
	v_and_b32_e32 v82, 0x80000000, v82
	v_lshl_add_u32 v30, v30, 23, v82
                                        ; implicit-def: $vgpr82
	s_delay_alu instid0(VALU_DEP_1) | instskip(NEXT) | instid1(VALU_DEP_1)
	v_lshl_or_b32 v30, v32, 21, v30
                                        ; implicit-def: $vgpr32
	v_add_nc_u32_e32 v30, 0x38000000, v30
.LBB2_3165:                             ;   in Loop: Header=BB2_3151 Depth=2
	s_and_not1_saveexec_b32 s41, s41
; %bb.3166:                             ;   in Loop: Header=BB2_3151 Depth=2
	v_cmp_lt_i16_e32 vcc_lo, -1, v82
	v_cndmask_b32_e32 v30, 0xff800000, v45, vcc_lo
	v_cmp_eq_u32_e32 vcc_lo, 0, v32
	s_delay_alu instid0(VALU_DEP_2)
	v_cndmask_b32_e32 v30, 0x7f800001, v30, vcc_lo
; %bb.3167:                             ;   in Loop: Header=BB2_3151 Depth=2
	s_or_b32 exec_lo, exec_lo, s41
.LBB2_3168:                             ;   in Loop: Header=BB2_3151 Depth=2
	s_delay_alu instid0(SALU_CYCLE_1)
	s_or_b32 exec_lo, exec_lo, s40
.LBB2_3169:                             ;   in Loop: Header=BB2_3151 Depth=2
	s_delay_alu instid0(SALU_CYCLE_1) | instskip(NEXT) | instid1(VALU_DEP_1)
	s_or_b32 exec_lo, exec_lo, s10
	v_dual_mul_f32 v82, s29, v30 :: v_dual_mov_b32 v85, v33
                                        ; implicit-def: $vgpr87
	s_mov_b32 s10, exec_lo
	s_delay_alu instid0(VALU_DEP_1) | instskip(SKIP_2) | instid1(VALU_DEP_3)
	v_and_b32_e32 v84, 0x7f800000, v82
	v_and_b32_e32 v32, 0x7fffff, v82
	v_lshrrev_b32_e32 v30, 24, v82
	v_cmpx_ne_u64_e32 0x7f800000, v[84:85]
	s_xor_b32 s40, exec_lo, s10
	s_cbranch_execz .LBB2_3183
; %bb.3170:                             ;   in Loop: Header=BB2_3151 Depth=2
	v_and_b32_e32 v84, 0x7fffffff, v82
	v_mov_b32_e32 v85, v33
	v_and_b32_e32 v30, 0x80, v30
                                        ; implicit-def: $vgpr87
	s_mov_b32 s10, exec_lo
	s_delay_alu instid0(VALU_DEP_2)
	v_cmpx_gt_u64_e32 0x47600001, v[84:85]
	s_xor_b32 s41, exec_lo, s10
	s_cbranch_execz .LBB2_3180
; %bb.3171:                             ;   in Loop: Header=BB2_3151 Depth=2
	v_mov_b32_e32 v87, 0
	s_mov_b32 s42, exec_lo
	v_cmpx_ne_u32_e32 0, v82
	s_cbranch_execz .LBB2_3179
; %bb.3172:                             ;   in Loop: Header=BB2_3151 Depth=2
	v_bfe_u32 v86, v82, 23, 8
	v_or_b32_e32 v84, 0x800000, v32
	s_delay_alu instid0(VALU_DEP_2) | instskip(SKIP_1) | instid1(VALU_DEP_2)
	v_sub_nc_u32_e32 v82, 0x71, v86
	v_cmp_gt_u32_e32 vcc_lo, 0x72, v86
	v_cndmask_b32_e32 v82, 0, v82, vcc_lo
	v_cmp_eq_u32_e32 vcc_lo, 0, v86
	s_delay_alu instid0(VALU_DEP_2) | instskip(NEXT) | instid1(VALU_DEP_1)
	v_cndmask_b32_e64 v87, v82, 0x70, vcc_lo
	v_dual_cndmask_b32 v32, v84, v32, vcc_lo :: v_dual_add_nc_u32 v82, 21, v87
	v_add_nc_u32_e32 v85, 20, v87
	s_delay_alu instid0(VALU_DEP_2) | instskip(NEXT) | instid1(VALU_DEP_2)
	v_lshlrev_b64_e64 v[82:83], v82, -1
	v_lshlrev_b64_e64 v[84:85], v85, 1
	s_delay_alu instid0(VALU_DEP_2) | instskip(NEXT) | instid1(VALU_DEP_3)
	v_bfi_b32 v101, v83, 0, 0
	v_bfi_b32 v100, v82, 0, v32
	v_lshrrev_b64 v[82:83], v87, v[32:33]
	s_delay_alu instid0(VALU_DEP_2) | instskip(NEXT) | instid1(VALU_DEP_2)
	v_cmp_eq_u64_e64 s10, v[100:101], v[84:85]
	v_mov_b64_e32 v[84:85], v[82:83]
	s_and_saveexec_b32 s43, s10
; %bb.3173:                             ;   in Loop: Header=BB2_3151 Depth=2
	v_bfe_u32 v32, v82, 21, 1
	s_delay_alu instid0(VALU_DEP_1) | instskip(NEXT) | instid1(VALU_DEP_1)
	v_add_nc_u64_e32 v[84:85], v[82:83], v[32:33]
	v_add_nc_u64_e32 v[84:85], -1, v[84:85]
; %bb.3174:                             ;   in Loop: Header=BB2_3151 Depth=2
	s_or_b32 exec_lo, exec_lo, s43
	v_add_nc_u32_e32 v32, 0xffffff81, v86
	v_lshrrev_b32_e32 v83, 23, v82
	s_mov_b32 s10, exec_lo
	s_delay_alu instid0(VALU_DEP_2) | instskip(NEXT) | instid1(VALU_DEP_1)
	v_cndmask_b32_e64 v32, v32, 0xffffff82, vcc_lo
	v_add3_u32 v85, v87, v32, v83
	v_and_b32_e32 v32, 0x1fffff, v84
                                        ; implicit-def: $vgpr84
	s_delay_alu instid0(VALU_DEP_1) | instskip(NEXT) | instid1(VALU_DEP_1)
	v_dual_add_nc_u32 v86, 14, v85 :: v_dual_add_nc_u32 v32, v32, v82
                                        ; implicit-def: $vgpr82_vgpr83
	v_cmpx_ne_u32_e32 0, v86
	s_xor_b32 s10, exec_lo, s10
; %bb.3175:                             ;   in Loop: Header=BB2_3151 Depth=2
	s_delay_alu instid0(VALU_DEP_2) | instskip(SKIP_1) | instid1(VALU_DEP_1)
	v_cmp_lt_u64_e32 vcc_lo, 0xffffff, v[32:33]
	v_add_nc_u32_e32 v82, 15, v85
	v_cndmask_b32_e32 v84, v86, v82, vcc_lo
	v_cndmask_b32_e64 v82, 0, 1, vcc_lo
	s_delay_alu instid0(VALU_DEP_1)
	v_lshrrev_b64 v[82:83], v82, v[32:33]
; %bb.3176:                             ;   in Loop: Header=BB2_3151 Depth=2
	s_and_not1_saveexec_b32 s10, s10
; %bb.3177:                             ;   in Loop: Header=BB2_3151 Depth=2
	v_mov_b64_e32 v[82:83], v[32:33]
	v_bfe_u32 v84, v32, 23, 1
; %bb.3178:                             ;   in Loop: Header=BB2_3151 Depth=2
	s_or_b32 exec_lo, exec_lo, s10
	s_delay_alu instid0(VALU_DEP_2) | instskip(NEXT) | instid1(VALU_DEP_2)
	v_lshrrev_b64 v[82:83], 21, v[82:83]
	v_cmp_gt_i32_e32 vcc_lo, 32, v84
	v_min_i32_e32 v32, 31, v84
	v_cmp_eq_u32_e64 s10, 0, v84
	s_delay_alu instid0(VALU_DEP_2) | instskip(SKIP_1) | instid1(VALU_DEP_2)
	v_dual_cndmask_b32 v83, 0, v83 :: v_dual_lshlrev_b32 v32, 2, v32
	v_cndmask_b32_e32 v82, 3, v82, vcc_lo
	v_and_b32_e32 v32, 0xfc, v32
	s_delay_alu instid0(VALU_DEP_2) | instskip(NEXT) | instid1(VALU_DEP_2)
	v_cmp_eq_u64_e32 vcc_lo, 0, v[82:83]
	v_and_or_b32 v32, v82, 3, v32
	s_and_b32 s10, s10, vcc_lo
	s_delay_alu instid0(VALU_DEP_1) | instid1(SALU_CYCLE_1)
	v_cndmask_b32_e64 v32, v32, 0, s10
	s_delay_alu instid0(VALU_DEP_1)
	v_or_b32_e32 v87, v32, v30
.LBB2_3179:                             ;   in Loop: Header=BB2_3151 Depth=2
	s_or_b32 exec_lo, exec_lo, s42
                                        ; implicit-def: $vgpr30
.LBB2_3180:                             ;   in Loop: Header=BB2_3151 Depth=2
	s_and_not1_saveexec_b32 s10, s41
; %bb.3181:                             ;   in Loop: Header=BB2_3151 Depth=2
	v_or_b32_e32 v87, 0x7b, v30
; %bb.3182:                             ;   in Loop: Header=BB2_3151 Depth=2
	s_or_b32 exec_lo, exec_lo, s10
                                        ; implicit-def: $vgpr82
                                        ; implicit-def: $vgpr30
.LBB2_3183:                             ;   in Loop: Header=BB2_3151 Depth=2
	s_and_not1_saveexec_b32 s10, s40
	s_cbranch_execz .LBB2_3189
; %bb.3184:                             ;   in Loop: Header=BB2_3151 Depth=2
	s_mov_b32 s40, exec_lo
                                        ; implicit-def: $vgpr87
	v_cmpx_ne_u64_e32 0, v[32:33]
	s_xor_b32 s40, exec_lo, s40
; %bb.3185:                             ;   in Loop: Header=BB2_3151 Depth=2
	v_or_b32_e32 v87, 0x7f, v30
                                        ; implicit-def: $vgpr82
; %bb.3186:                             ;   in Loop: Header=BB2_3151 Depth=2
	s_and_not1_saveexec_b32 s40, s40
; %bb.3187:                             ;   in Loop: Header=BB2_3151 Depth=2
	v_cmp_lt_i32_e32 vcc_lo, -1, v82
	v_cndmask_b32_e32 v87, 0xfc, v46, vcc_lo
; %bb.3188:                             ;   in Loop: Header=BB2_3151 Depth=2
	s_or_b32 exec_lo, exec_lo, s40
.LBB2_3189:                             ;   in Loop: Header=BB2_3151 Depth=2
	s_delay_alu instid0(SALU_CYCLE_1) | instskip(SKIP_3) | instid1(VALU_DEP_2)
	s_or_b32 exec_lo, exec_lo, s10
	v_lshrrev_b16 v32, 8, v10
	v_mov_b32_e32 v82, 0
	s_mov_b32 s10, exec_lo
	v_cmpx_ne_u16_e32 0, v32
	s_cbranch_execz .LBB2_3199
; %bb.3190:                             ;   in Loop: Header=BB2_3151 Depth=2
	v_bfrev_b32_e32 v82, 1
	s_mov_b32 s40, exec_lo
	v_cmpx_ne_u16_e32 0x80, v32
	s_cbranch_execz .LBB2_3198
; %bb.3191:                             ;   in Loop: Header=BB2_3151 Depth=2
	v_and_b32_e32 v83, 0xffff, v32
	s_delay_alu instid0(VALU_DEP_1) | instskip(SKIP_1) | instid1(VALU_DEP_2)
	v_and_b32_e32 v82, 0x7c, v83
	v_and_b32_e32 v30, 3, v83
	v_cmp_ne_u32_e32 vcc_lo, 0x7c, v82
                                        ; implicit-def: $vgpr82
	s_and_saveexec_b32 s41, vcc_lo
	s_delay_alu instid0(SALU_CYCLE_1)
	s_xor_b32 s41, exec_lo, s41
	s_cbranch_execz .LBB2_3195
; %bb.3192:                             ;   in Loop: Header=BB2_3151 Depth=2
	v_bfe_u32 v82, v83, 2, 5
	s_mov_b32 s42, exec_lo
	s_delay_alu instid0(VALU_DEP_1)
	v_cmpx_eq_u32_e32 0, v82
; %bb.3193:                             ;   in Loop: Header=BB2_3151 Depth=2
	v_clz_i32_u32_e32 v30, v30
	s_delay_alu instid0(VALU_DEP_1) | instskip(NEXT) | instid1(VALU_DEP_1)
	v_min_u32_e32 v30, 32, v30
	v_subrev_nc_u32_e32 v82, 29, v30
	s_delay_alu instid0(VALU_DEP_1) | instskip(NEXT) | instid1(VALU_DEP_1)
	v_lshlrev_b64_e32 v[84:85], v82, v[32:33]
	v_dual_sub_nc_u32 v82, 30, v30 :: v_dual_bitop2_b32 v30, 3, v84 bitop3:0x40
; %bb.3194:                             ;   in Loop: Header=BB2_3151 Depth=2
	s_or_b32 exec_lo, exec_lo, s42
	v_lshlrev_b32_e32 v32, 16, v10
	s_delay_alu instid0(VALU_DEP_1) | instskip(NEXT) | instid1(VALU_DEP_1)
	v_and_b32_e32 v32, 0x80000000, v32
	v_lshl_add_u32 v32, v82, 23, v32
	s_delay_alu instid0(VALU_DEP_1) | instskip(NEXT) | instid1(VALU_DEP_1)
	v_lshl_or_b32 v30, v30, 21, v32
	v_add_nc_u32_e32 v82, 0x38000000, v30
                                        ; implicit-def: $vgpr30
.LBB2_3195:                             ;   in Loop: Header=BB2_3151 Depth=2
	s_and_not1_saveexec_b32 s41, s41
; %bb.3196:                             ;   in Loop: Header=BB2_3151 Depth=2
	v_cmp_lt_i16_e32 vcc_lo, -1, v10
	v_cndmask_b32_e32 v32, 0xff800000, v45, vcc_lo
	v_cmp_eq_u32_e32 vcc_lo, 0, v30
	s_delay_alu instid0(VALU_DEP_2)
	v_cndmask_b32_e32 v82, 0x7f800001, v32, vcc_lo
; %bb.3197:                             ;   in Loop: Header=BB2_3151 Depth=2
	s_or_b32 exec_lo, exec_lo, s41
.LBB2_3198:                             ;   in Loop: Header=BB2_3151 Depth=2
	s_delay_alu instid0(SALU_CYCLE_1)
	s_or_b32 exec_lo, exec_lo, s40
.LBB2_3199:                             ;   in Loop: Header=BB2_3151 Depth=2
	s_delay_alu instid0(SALU_CYCLE_1) | instskip(NEXT) | instid1(VALU_DEP_1)
	s_or_b32 exec_lo, exec_lo, s10
	v_dual_mul_f32 v82, s29, v82 :: v_dual_mov_b32 v85, v33
                                        ; implicit-def: $vgpr99
	s_mov_b32 s10, exec_lo
	s_delay_alu instid0(VALU_DEP_1) | instskip(SKIP_2) | instid1(VALU_DEP_3)
	v_and_b32_e32 v84, 0x7f800000, v82
	v_and_b32_e32 v32, 0x7fffff, v82
	v_lshrrev_b32_e32 v30, 24, v82
	v_cmpx_ne_u64_e32 0x7f800000, v[84:85]
	s_xor_b32 s40, exec_lo, s10
	s_cbranch_execz .LBB2_3213
; %bb.3200:                             ;   in Loop: Header=BB2_3151 Depth=2
	v_and_b32_e32 v84, 0x7fffffff, v82
	v_mov_b32_e32 v85, v33
	v_and_b32_e32 v30, 0x80, v30
                                        ; implicit-def: $vgpr99
	s_mov_b32 s10, exec_lo
	s_delay_alu instid0(VALU_DEP_2)
	v_cmpx_gt_u64_e32 0x47600001, v[84:85]
	s_xor_b32 s41, exec_lo, s10
	s_cbranch_execz .LBB2_3210
; %bb.3201:                             ;   in Loop: Header=BB2_3151 Depth=2
	v_mov_b32_e32 v99, 0
	s_mov_b32 s42, exec_lo
	v_cmpx_ne_u32_e32 0, v82
	s_cbranch_execz .LBB2_3209
; %bb.3202:                             ;   in Loop: Header=BB2_3151 Depth=2
	v_bfe_u32 v86, v82, 23, 8
	v_or_b32_e32 v84, 0x800000, v32
	s_delay_alu instid0(VALU_DEP_2) | instskip(SKIP_1) | instid1(VALU_DEP_2)
	v_sub_nc_u32_e32 v82, 0x71, v86
	v_cmp_gt_u32_e32 vcc_lo, 0x72, v86
	v_cndmask_b32_e32 v82, 0, v82, vcc_lo
	v_cmp_eq_u32_e32 vcc_lo, 0, v86
	s_delay_alu instid0(VALU_DEP_2) | instskip(NEXT) | instid1(VALU_DEP_1)
	v_cndmask_b32_e64 v99, v82, 0x70, vcc_lo
	v_dual_cndmask_b32 v32, v84, v32, vcc_lo :: v_dual_add_nc_u32 v82, 21, v99
	v_add_nc_u32_e32 v85, 20, v99
	s_delay_alu instid0(VALU_DEP_2) | instskip(NEXT) | instid1(VALU_DEP_2)
	v_lshlrev_b64_e64 v[82:83], v82, -1
	v_lshlrev_b64_e64 v[84:85], v85, 1
	s_delay_alu instid0(VALU_DEP_2) | instskip(NEXT) | instid1(VALU_DEP_3)
	v_bfi_b32 v101, v83, 0, 0
	v_bfi_b32 v100, v82, 0, v32
	v_lshrrev_b64 v[82:83], v99, v[32:33]
	s_delay_alu instid0(VALU_DEP_2) | instskip(NEXT) | instid1(VALU_DEP_2)
	v_cmp_eq_u64_e64 s10, v[100:101], v[84:85]
	v_mov_b64_e32 v[84:85], v[82:83]
	s_and_saveexec_b32 s43, s10
; %bb.3203:                             ;   in Loop: Header=BB2_3151 Depth=2
	v_bfe_u32 v32, v82, 21, 1
	s_delay_alu instid0(VALU_DEP_1) | instskip(NEXT) | instid1(VALU_DEP_1)
	v_add_nc_u64_e32 v[84:85], v[82:83], v[32:33]
	v_add_nc_u64_e32 v[84:85], -1, v[84:85]
; %bb.3204:                             ;   in Loop: Header=BB2_3151 Depth=2
	s_or_b32 exec_lo, exec_lo, s43
	v_add_nc_u32_e32 v32, 0xffffff81, v86
	v_lshrrev_b32_e32 v83, 23, v82
	s_mov_b32 s10, exec_lo
	s_delay_alu instid0(VALU_DEP_2) | instskip(NEXT) | instid1(VALU_DEP_1)
	v_cndmask_b32_e64 v32, v32, 0xffffff82, vcc_lo
	v_add3_u32 v85, v99, v32, v83
	v_and_b32_e32 v32, 0x1fffff, v84
                                        ; implicit-def: $vgpr84
	s_delay_alu instid0(VALU_DEP_1) | instskip(NEXT) | instid1(VALU_DEP_1)
	v_dual_add_nc_u32 v86, 14, v85 :: v_dual_add_nc_u32 v32, v32, v82
                                        ; implicit-def: $vgpr82_vgpr83
	v_cmpx_ne_u32_e32 0, v86
	s_xor_b32 s10, exec_lo, s10
; %bb.3205:                             ;   in Loop: Header=BB2_3151 Depth=2
	s_delay_alu instid0(VALU_DEP_2) | instskip(SKIP_1) | instid1(VALU_DEP_1)
	v_cmp_lt_u64_e32 vcc_lo, 0xffffff, v[32:33]
	v_add_nc_u32_e32 v82, 15, v85
	v_cndmask_b32_e32 v84, v86, v82, vcc_lo
	v_cndmask_b32_e64 v82, 0, 1, vcc_lo
	s_delay_alu instid0(VALU_DEP_1)
	v_lshrrev_b64 v[82:83], v82, v[32:33]
; %bb.3206:                             ;   in Loop: Header=BB2_3151 Depth=2
	s_and_not1_saveexec_b32 s10, s10
; %bb.3207:                             ;   in Loop: Header=BB2_3151 Depth=2
	v_mov_b64_e32 v[82:83], v[32:33]
	v_bfe_u32 v84, v32, 23, 1
; %bb.3208:                             ;   in Loop: Header=BB2_3151 Depth=2
	s_or_b32 exec_lo, exec_lo, s10
	s_delay_alu instid0(VALU_DEP_2) | instskip(NEXT) | instid1(VALU_DEP_2)
	v_lshrrev_b64 v[82:83], 21, v[82:83]
	v_cmp_gt_i32_e32 vcc_lo, 32, v84
	v_min_i32_e32 v32, 31, v84
	v_cmp_eq_u32_e64 s10, 0, v84
	s_delay_alu instid0(VALU_DEP_2) | instskip(SKIP_1) | instid1(VALU_DEP_2)
	v_dual_cndmask_b32 v83, 0, v83 :: v_dual_lshlrev_b32 v32, 2, v32
	v_cndmask_b32_e32 v82, 3, v82, vcc_lo
	v_and_b32_e32 v32, 0xfc, v32
	s_delay_alu instid0(VALU_DEP_2) | instskip(NEXT) | instid1(VALU_DEP_2)
	v_cmp_eq_u64_e32 vcc_lo, 0, v[82:83]
	v_and_or_b32 v32, v82, 3, v32
	s_and_b32 s10, s10, vcc_lo
	s_delay_alu instid0(VALU_DEP_1) | instid1(SALU_CYCLE_1)
	v_cndmask_b32_e64 v32, v32, 0, s10
	s_delay_alu instid0(VALU_DEP_1)
	v_or_b32_e32 v99, v32, v30
.LBB2_3209:                             ;   in Loop: Header=BB2_3151 Depth=2
	s_or_b32 exec_lo, exec_lo, s42
                                        ; implicit-def: $vgpr30
.LBB2_3210:                             ;   in Loop: Header=BB2_3151 Depth=2
	s_and_not1_saveexec_b32 s10, s41
; %bb.3211:                             ;   in Loop: Header=BB2_3151 Depth=2
	v_or_b32_e32 v99, 0x7b, v30
; %bb.3212:                             ;   in Loop: Header=BB2_3151 Depth=2
	s_or_b32 exec_lo, exec_lo, s10
                                        ; implicit-def: $vgpr82
                                        ; implicit-def: $vgpr30
.LBB2_3213:                             ;   in Loop: Header=BB2_3151 Depth=2
	s_and_not1_saveexec_b32 s10, s40
	s_cbranch_execz .LBB2_3219
; %bb.3214:                             ;   in Loop: Header=BB2_3151 Depth=2
	s_mov_b32 s40, exec_lo
                                        ; implicit-def: $vgpr99
	v_cmpx_ne_u64_e32 0, v[32:33]
	s_xor_b32 s40, exec_lo, s40
; %bb.3215:                             ;   in Loop: Header=BB2_3151 Depth=2
	v_or_b32_e32 v99, 0x7f, v30
                                        ; implicit-def: $vgpr82
; %bb.3216:                             ;   in Loop: Header=BB2_3151 Depth=2
	s_and_not1_saveexec_b32 s40, s40
; %bb.3217:                             ;   in Loop: Header=BB2_3151 Depth=2
	v_cmp_lt_i32_e32 vcc_lo, -1, v82
	v_cndmask_b32_e32 v99, 0xfc, v46, vcc_lo
; %bb.3218:                             ;   in Loop: Header=BB2_3151 Depth=2
	s_or_b32 exec_lo, exec_lo, s40
.LBB2_3219:                             ;   in Loop: Header=BB2_3151 Depth=2
	s_delay_alu instid0(SALU_CYCLE_1) | instskip(SKIP_2) | instid1(VALU_DEP_1)
	s_or_b32 exec_lo, exec_lo, s10
	v_dual_lshrrev_b32 v30, 16, v10 :: v_dual_mov_b32 v32, 0
	s_mov_b32 s10, exec_lo
	v_and_b32_e32 v82, 0xff, v30
	s_delay_alu instid0(VALU_DEP_1)
	v_cmpx_ne_u16_e32 0, v82
	s_cbranch_execz .LBB2_3229
; %bb.3220:                             ;   in Loop: Header=BB2_3151 Depth=2
	v_bfrev_b32_e32 v32, 1
	s_mov_b32 s40, exec_lo
	v_cmpx_ne_u16_e32 0x80, v82
	s_cbranch_execz .LBB2_3228
; %bb.3221:                             ;   in Loop: Header=BB2_3151 Depth=2
	v_and_b32_e32 v32, 0x7c0000, v10
	v_bfe_u32 v82, v10, 16, 2
	s_delay_alu instid0(VALU_DEP_2) | instskip(SKIP_1) | instid1(SALU_CYCLE_1)
	v_cmp_ne_u32_e32 vcc_lo, 0x7c0000, v32
                                        ; implicit-def: $vgpr32
	s_and_saveexec_b32 s41, vcc_lo
	s_xor_b32 s41, exec_lo, s41
	s_cbranch_execz .LBB2_3225
; %bb.3222:                             ;   in Loop: Header=BB2_3151 Depth=2
	v_bfe_u32 v32, v10, 18, 5
	s_mov_b32 s42, exec_lo
	s_delay_alu instid0(VALU_DEP_1)
	v_cmpx_eq_u32_e32 0, v32
; %bb.3223:                             ;   in Loop: Header=BB2_3151 Depth=2
	v_clz_i32_u32_e32 v32, v82
	s_delay_alu instid0(VALU_DEP_1) | instskip(NEXT) | instid1(VALU_DEP_1)
	v_min_u32_e32 v32, 32, v32
	v_subrev_nc_u32_e32 v82, 29, v32
	s_delay_alu instid0(VALU_DEP_1) | instskip(NEXT) | instid1(VALU_DEP_1)
	v_lshlrev_b64_e32 v[82:83], v82, v[30:31]
	v_dual_sub_nc_u32 v32, 30, v32 :: v_dual_bitop2_b32 v82, 3, v82 bitop3:0x40
; %bb.3224:                             ;   in Loop: Header=BB2_3151 Depth=2
	s_or_b32 exec_lo, exec_lo, s42
	v_lshlrev_b32_e32 v30, 24, v30
	s_delay_alu instid0(VALU_DEP_1) | instskip(NEXT) | instid1(VALU_DEP_1)
	v_and_b32_e32 v30, 0x80000000, v30
	v_lshl_add_u32 v30, v32, 23, v30
	s_delay_alu instid0(VALU_DEP_1) | instskip(NEXT) | instid1(VALU_DEP_1)
	v_lshl_or_b32 v30, v82, 21, v30
                                        ; implicit-def: $vgpr82
	v_add_nc_u32_e32 v32, 0x38000000, v30
                                        ; implicit-def: $vgpr30
.LBB2_3225:                             ;   in Loop: Header=BB2_3151 Depth=2
	s_and_not1_saveexec_b32 s41, s41
; %bb.3226:                             ;   in Loop: Header=BB2_3151 Depth=2
	v_bfe_i32 v30, v30, 0, 8
	s_delay_alu instid0(VALU_DEP_1) | instskip(SKIP_2) | instid1(VALU_DEP_2)
	v_cmp_lt_i16_e32 vcc_lo, -1, v30
	v_cndmask_b32_e32 v30, 0xff800000, v45, vcc_lo
	v_cmp_eq_u32_e32 vcc_lo, 0, v82
	v_cndmask_b32_e32 v32, 0x7f800001, v30, vcc_lo
; %bb.3227:                             ;   in Loop: Header=BB2_3151 Depth=2
	s_or_b32 exec_lo, exec_lo, s41
.LBB2_3228:                             ;   in Loop: Header=BB2_3151 Depth=2
	s_delay_alu instid0(SALU_CYCLE_1)
	s_or_b32 exec_lo, exec_lo, s40
.LBB2_3229:                             ;   in Loop: Header=BB2_3151 Depth=2
	s_delay_alu instid0(SALU_CYCLE_1) | instskip(NEXT) | instid1(VALU_DEP_1)
	s_or_b32 exec_lo, exec_lo, s10
	v_dual_mul_f32 v82, s29, v32 :: v_dual_mov_b32 v85, v33
                                        ; implicit-def: $vgpr101
	s_mov_b32 s10, exec_lo
	s_delay_alu instid0(VALU_DEP_1) | instskip(SKIP_2) | instid1(VALU_DEP_3)
	v_and_b32_e32 v84, 0x7f800000, v82
	v_and_b32_e32 v32, 0x7fffff, v82
	v_lshrrev_b32_e32 v30, 24, v82
	v_cmpx_ne_u64_e32 0x7f800000, v[84:85]
	s_xor_b32 s40, exec_lo, s10
	s_cbranch_execz .LBB2_3243
; %bb.3230:                             ;   in Loop: Header=BB2_3151 Depth=2
	v_and_b32_e32 v84, 0x7fffffff, v82
	v_mov_b32_e32 v85, v33
	v_and_b32_e32 v30, 0x80, v30
                                        ; implicit-def: $vgpr101
	s_mov_b32 s10, exec_lo
	s_delay_alu instid0(VALU_DEP_2)
	v_cmpx_gt_u64_e32 0x47600001, v[84:85]
	s_xor_b32 s41, exec_lo, s10
	s_cbranch_execz .LBB2_3240
; %bb.3231:                             ;   in Loop: Header=BB2_3151 Depth=2
	v_mov_b32_e32 v101, 0
	s_mov_b32 s42, exec_lo
	v_cmpx_ne_u32_e32 0, v82
	s_cbranch_execz .LBB2_3239
; %bb.3232:                             ;   in Loop: Header=BB2_3151 Depth=2
	v_bfe_u32 v86, v82, 23, 8
	v_or_b32_e32 v84, 0x800000, v32
	s_delay_alu instid0(VALU_DEP_2) | instskip(SKIP_1) | instid1(VALU_DEP_2)
	v_sub_nc_u32_e32 v82, 0x71, v86
	v_cmp_gt_u32_e32 vcc_lo, 0x72, v86
	v_cndmask_b32_e32 v82, 0, v82, vcc_lo
	v_cmp_eq_u32_e32 vcc_lo, 0, v86
	s_delay_alu instid0(VALU_DEP_2) | instskip(SKIP_1) | instid1(VALU_DEP_2)
	v_cndmask_b32_e64 v100, v82, 0x70, vcc_lo
	v_cndmask_b32_e32 v32, v84, v32, vcc_lo
	v_dual_add_nc_u32 v82, 21, v100 :: v_dual_add_nc_u32 v85, 20, v100
	s_delay_alu instid0(VALU_DEP_1) | instskip(NEXT) | instid1(VALU_DEP_2)
	v_lshlrev_b64_e64 v[82:83], v82, -1
	v_lshlrev_b64_e64 v[84:85], v85, 1
	s_delay_alu instid0(VALU_DEP_2) | instskip(NEXT) | instid1(VALU_DEP_3)
	v_bfi_b32 v103, v83, 0, 0
	v_bfi_b32 v102, v82, 0, v32
	v_lshrrev_b64 v[82:83], v100, v[32:33]
	s_delay_alu instid0(VALU_DEP_2) | instskip(NEXT) | instid1(VALU_DEP_2)
	v_cmp_eq_u64_e64 s10, v[102:103], v[84:85]
	v_mov_b64_e32 v[84:85], v[82:83]
	s_and_saveexec_b32 s43, s10
; %bb.3233:                             ;   in Loop: Header=BB2_3151 Depth=2
	v_bfe_u32 v32, v82, 21, 1
	s_delay_alu instid0(VALU_DEP_1) | instskip(NEXT) | instid1(VALU_DEP_1)
	v_add_nc_u64_e32 v[84:85], v[82:83], v[32:33]
	v_add_nc_u64_e32 v[84:85], -1, v[84:85]
; %bb.3234:                             ;   in Loop: Header=BB2_3151 Depth=2
	s_or_b32 exec_lo, exec_lo, s43
	v_add_nc_u32_e32 v32, 0xffffff81, v86
	v_lshrrev_b32_e32 v83, 23, v82
	s_mov_b32 s10, exec_lo
	s_delay_alu instid0(VALU_DEP_2) | instskip(NEXT) | instid1(VALU_DEP_1)
	v_cndmask_b32_e64 v32, v32, 0xffffff82, vcc_lo
	v_add3_u32 v85, v100, v32, v83
	v_and_b32_e32 v32, 0x1fffff, v84
                                        ; implicit-def: $vgpr84
	s_delay_alu instid0(VALU_DEP_1) | instskip(NEXT) | instid1(VALU_DEP_1)
	v_dual_add_nc_u32 v86, 14, v85 :: v_dual_add_nc_u32 v32, v32, v82
                                        ; implicit-def: $vgpr82_vgpr83
	v_cmpx_ne_u32_e32 0, v86
	s_xor_b32 s10, exec_lo, s10
; %bb.3235:                             ;   in Loop: Header=BB2_3151 Depth=2
	s_delay_alu instid0(VALU_DEP_2) | instskip(SKIP_1) | instid1(VALU_DEP_1)
	v_cmp_lt_u64_e32 vcc_lo, 0xffffff, v[32:33]
	v_add_nc_u32_e32 v82, 15, v85
	v_cndmask_b32_e32 v84, v86, v82, vcc_lo
	v_cndmask_b32_e64 v82, 0, 1, vcc_lo
	s_delay_alu instid0(VALU_DEP_1)
	v_lshrrev_b64 v[82:83], v82, v[32:33]
; %bb.3236:                             ;   in Loop: Header=BB2_3151 Depth=2
	s_and_not1_saveexec_b32 s10, s10
; %bb.3237:                             ;   in Loop: Header=BB2_3151 Depth=2
	v_mov_b64_e32 v[82:83], v[32:33]
	v_bfe_u32 v84, v32, 23, 1
; %bb.3238:                             ;   in Loop: Header=BB2_3151 Depth=2
	s_or_b32 exec_lo, exec_lo, s10
	s_delay_alu instid0(VALU_DEP_2) | instskip(NEXT) | instid1(VALU_DEP_2)
	v_lshrrev_b64 v[82:83], 21, v[82:83]
	v_cmp_gt_i32_e32 vcc_lo, 32, v84
	v_min_i32_e32 v32, 31, v84
	v_cmp_eq_u32_e64 s10, 0, v84
	s_delay_alu instid0(VALU_DEP_2) | instskip(SKIP_1) | instid1(VALU_DEP_2)
	v_dual_cndmask_b32 v83, 0, v83 :: v_dual_lshlrev_b32 v32, 2, v32
	v_cndmask_b32_e32 v82, 3, v82, vcc_lo
	v_and_b32_e32 v32, 0xfc, v32
	s_delay_alu instid0(VALU_DEP_2) | instskip(NEXT) | instid1(VALU_DEP_2)
	v_cmp_eq_u64_e32 vcc_lo, 0, v[82:83]
	v_and_or_b32 v32, v82, 3, v32
	s_and_b32 s10, s10, vcc_lo
	s_delay_alu instid0(VALU_DEP_1) | instid1(SALU_CYCLE_1)
	v_cndmask_b32_e64 v32, v32, 0, s10
	s_delay_alu instid0(VALU_DEP_1)
	v_or_b32_e32 v101, v32, v30
.LBB2_3239:                             ;   in Loop: Header=BB2_3151 Depth=2
	s_or_b32 exec_lo, exec_lo, s42
                                        ; implicit-def: $vgpr30
.LBB2_3240:                             ;   in Loop: Header=BB2_3151 Depth=2
	s_and_not1_saveexec_b32 s10, s41
; %bb.3241:                             ;   in Loop: Header=BB2_3151 Depth=2
	v_or_b32_e32 v101, 0x7b, v30
; %bb.3242:                             ;   in Loop: Header=BB2_3151 Depth=2
	s_or_b32 exec_lo, exec_lo, s10
                                        ; implicit-def: $vgpr82
                                        ; implicit-def: $vgpr30
.LBB2_3243:                             ;   in Loop: Header=BB2_3151 Depth=2
	s_and_not1_saveexec_b32 s10, s40
	s_cbranch_execz .LBB2_3249
; %bb.3244:                             ;   in Loop: Header=BB2_3151 Depth=2
	s_mov_b32 s40, exec_lo
                                        ; implicit-def: $vgpr101
	v_cmpx_ne_u64_e32 0, v[32:33]
	s_xor_b32 s40, exec_lo, s40
; %bb.3245:                             ;   in Loop: Header=BB2_3151 Depth=2
	v_or_b32_e32 v101, 0x7f, v30
                                        ; implicit-def: $vgpr82
; %bb.3246:                             ;   in Loop: Header=BB2_3151 Depth=2
	s_and_not1_saveexec_b32 s40, s40
; %bb.3247:                             ;   in Loop: Header=BB2_3151 Depth=2
	v_cmp_lt_i32_e32 vcc_lo, -1, v82
	v_cndmask_b32_e32 v101, 0xfc, v46, vcc_lo
; %bb.3248:                             ;   in Loop: Header=BB2_3151 Depth=2
	s_or_b32 exec_lo, exec_lo, s40
.LBB2_3249:                             ;   in Loop: Header=BB2_3151 Depth=2
	s_delay_alu instid0(SALU_CYCLE_1)
	s_or_b32 exec_lo, exec_lo, s10
	v_mov_b32_e32 v32, 0
	s_mov_b32 s10, exec_lo
	v_cmpx_lt_u32_e32 0xffffff, v10
	s_cbranch_execz .LBB2_3259
; %bb.3250:                             ;   in Loop: Header=BB2_3151 Depth=2
	v_lshrrev_b32_e32 v30, 24, v10
	v_bfrev_b32_e32 v32, 1
	s_mov_b32 s40, exec_lo
	s_delay_alu instid0(VALU_DEP_2)
	v_cmpx_ne_u32_e32 0x80, v30
	s_cbranch_execz .LBB2_3258
; %bb.3251:                             ;   in Loop: Header=BB2_3151 Depth=2
	v_and_b32_e32 v32, 0x7c000000, v10
	v_bfe_u32 v82, v10, 24, 2
	s_delay_alu instid0(VALU_DEP_2) | instskip(SKIP_1) | instid1(SALU_CYCLE_1)
	v_cmp_ne_u32_e32 vcc_lo, 0x7c000000, v32
                                        ; implicit-def: $vgpr32
	s_and_saveexec_b32 s41, vcc_lo
	s_xor_b32 s41, exec_lo, s41
	s_cbranch_execz .LBB2_3255
; %bb.3252:                             ;   in Loop: Header=BB2_3151 Depth=2
	v_bfe_u32 v32, v10, 26, 5
	s_mov_b32 s42, exec_lo
	s_delay_alu instid0(VALU_DEP_1)
	v_cmpx_eq_u32_e32 0, v32
; %bb.3253:                             ;   in Loop: Header=BB2_3151 Depth=2
	v_clz_i32_u32_e32 v32, v82
	s_delay_alu instid0(VALU_DEP_1) | instskip(NEXT) | instid1(VALU_DEP_1)
	v_min_u32_e32 v32, 32, v32
	v_subrev_nc_u32_e32 v82, 29, v32
	s_delay_alu instid0(VALU_DEP_1) | instskip(NEXT) | instid1(VALU_DEP_1)
	v_lshlrev_b64_e32 v[82:83], v82, v[30:31]
	v_dual_sub_nc_u32 v32, 30, v32 :: v_dual_bitop2_b32 v82, 3, v82 bitop3:0x40
; %bb.3254:                             ;   in Loop: Header=BB2_3151 Depth=2
	s_or_b32 exec_lo, exec_lo, s42
	v_and_b32_e32 v30, 0x80000000, v10
	s_delay_alu instid0(VALU_DEP_1) | instskip(NEXT) | instid1(VALU_DEP_1)
	v_lshl_add_u32 v30, v32, 23, v30
	v_lshl_or_b32 v30, v82, 21, v30
                                        ; implicit-def: $vgpr82
	s_delay_alu instid0(VALU_DEP_1)
	v_add_nc_u32_e32 v32, 0x38000000, v30
.LBB2_3255:                             ;   in Loop: Header=BB2_3151 Depth=2
	s_and_not1_saveexec_b32 s41, s41
; %bb.3256:                             ;   in Loop: Header=BB2_3151 Depth=2
	v_cmp_lt_i32_e32 vcc_lo, -1, v10
	v_cndmask_b32_e32 v30, 0xff800000, v45, vcc_lo
	v_cmp_eq_u32_e32 vcc_lo, 0, v82
	s_delay_alu instid0(VALU_DEP_2)
	v_cndmask_b32_e32 v32, 0x7f800001, v30, vcc_lo
; %bb.3257:                             ;   in Loop: Header=BB2_3151 Depth=2
	s_or_b32 exec_lo, exec_lo, s41
.LBB2_3258:                             ;   in Loop: Header=BB2_3151 Depth=2
	s_delay_alu instid0(SALU_CYCLE_1)
	s_or_b32 exec_lo, exec_lo, s40
.LBB2_3259:                             ;   in Loop: Header=BB2_3151 Depth=2
	s_delay_alu instid0(SALU_CYCLE_1) | instskip(NEXT) | instid1(VALU_DEP_1)
	s_or_b32 exec_lo, exec_lo, s10
	v_dual_mul_f32 v82, s29, v32 :: v_dual_mov_b32 v85, v33
                                        ; implicit-def: $vgpr112
	s_mov_b32 s10, exec_lo
	s_delay_alu instid0(VALU_DEP_1) | instskip(SKIP_2) | instid1(VALU_DEP_3)
	v_and_b32_e32 v84, 0x7f800000, v82
	v_and_b32_e32 v32, 0x7fffff, v82
	v_lshrrev_b32_e32 v30, 24, v82
	v_cmpx_ne_u64_e32 0x7f800000, v[84:85]
	s_xor_b32 s40, exec_lo, s10
	s_cbranch_execz .LBB2_3273
; %bb.3260:                             ;   in Loop: Header=BB2_3151 Depth=2
	v_and_b32_e32 v84, 0x7fffffff, v82
	v_mov_b32_e32 v85, v33
	v_and_b32_e32 v30, 0x80, v30
                                        ; implicit-def: $vgpr112
	s_mov_b32 s10, exec_lo
	s_delay_alu instid0(VALU_DEP_2)
	v_cmpx_gt_u64_e32 0x47600001, v[84:85]
	s_xor_b32 s41, exec_lo, s10
	s_cbranch_execz .LBB2_3270
; %bb.3261:                             ;   in Loop: Header=BB2_3151 Depth=2
	v_mov_b32_e32 v112, 0
	s_mov_b32 s42, exec_lo
	v_cmpx_ne_u32_e32 0, v82
	s_cbranch_execz .LBB2_3269
; %bb.3262:                             ;   in Loop: Header=BB2_3151 Depth=2
	v_bfe_u32 v86, v82, 23, 8
	v_or_b32_e32 v84, 0x800000, v32
	s_delay_alu instid0(VALU_DEP_2) | instskip(SKIP_1) | instid1(VALU_DEP_2)
	v_sub_nc_u32_e32 v82, 0x71, v86
	v_cmp_gt_u32_e32 vcc_lo, 0x72, v86
	v_cndmask_b32_e32 v82, 0, v82, vcc_lo
	v_cmp_eq_u32_e32 vcc_lo, 0, v86
	s_delay_alu instid0(VALU_DEP_2) | instskip(SKIP_1) | instid1(VALU_DEP_2)
	v_cndmask_b32_e64 v100, v82, 0x70, vcc_lo
	v_cndmask_b32_e32 v32, v84, v32, vcc_lo
	v_dual_add_nc_u32 v82, 21, v100 :: v_dual_add_nc_u32 v85, 20, v100
	s_delay_alu instid0(VALU_DEP_1) | instskip(NEXT) | instid1(VALU_DEP_2)
	v_lshlrev_b64_e64 v[82:83], v82, -1
	v_lshlrev_b64_e64 v[84:85], v85, 1
	s_delay_alu instid0(VALU_DEP_2) | instskip(NEXT) | instid1(VALU_DEP_3)
	v_bfi_b32 v103, v83, 0, 0
	v_bfi_b32 v102, v82, 0, v32
	v_lshrrev_b64 v[82:83], v100, v[32:33]
	s_delay_alu instid0(VALU_DEP_2) | instskip(NEXT) | instid1(VALU_DEP_2)
	v_cmp_eq_u64_e64 s10, v[102:103], v[84:85]
	v_mov_b64_e32 v[84:85], v[82:83]
	s_and_saveexec_b32 s43, s10
; %bb.3263:                             ;   in Loop: Header=BB2_3151 Depth=2
	v_bfe_u32 v32, v82, 21, 1
	s_delay_alu instid0(VALU_DEP_1) | instskip(NEXT) | instid1(VALU_DEP_1)
	v_add_nc_u64_e32 v[84:85], v[82:83], v[32:33]
	v_add_nc_u64_e32 v[84:85], -1, v[84:85]
; %bb.3264:                             ;   in Loop: Header=BB2_3151 Depth=2
	s_or_b32 exec_lo, exec_lo, s43
	v_add_nc_u32_e32 v32, 0xffffff81, v86
	v_lshrrev_b32_e32 v83, 23, v82
	s_mov_b32 s10, exec_lo
	s_delay_alu instid0(VALU_DEP_2) | instskip(NEXT) | instid1(VALU_DEP_1)
	v_cndmask_b32_e64 v32, v32, 0xffffff82, vcc_lo
	v_add3_u32 v85, v100, v32, v83
	v_and_b32_e32 v32, 0x1fffff, v84
                                        ; implicit-def: $vgpr84
	s_delay_alu instid0(VALU_DEP_1) | instskip(NEXT) | instid1(VALU_DEP_1)
	v_dual_add_nc_u32 v86, 14, v85 :: v_dual_add_nc_u32 v32, v32, v82
                                        ; implicit-def: $vgpr82_vgpr83
	v_cmpx_ne_u32_e32 0, v86
	s_xor_b32 s10, exec_lo, s10
; %bb.3265:                             ;   in Loop: Header=BB2_3151 Depth=2
	s_delay_alu instid0(VALU_DEP_2) | instskip(SKIP_1) | instid1(VALU_DEP_1)
	v_cmp_lt_u64_e32 vcc_lo, 0xffffff, v[32:33]
	v_add_nc_u32_e32 v82, 15, v85
	v_cndmask_b32_e32 v84, v86, v82, vcc_lo
	v_cndmask_b32_e64 v82, 0, 1, vcc_lo
	s_delay_alu instid0(VALU_DEP_1)
	v_lshrrev_b64 v[82:83], v82, v[32:33]
; %bb.3266:                             ;   in Loop: Header=BB2_3151 Depth=2
	s_and_not1_saveexec_b32 s10, s10
; %bb.3267:                             ;   in Loop: Header=BB2_3151 Depth=2
	v_mov_b64_e32 v[82:83], v[32:33]
	v_bfe_u32 v84, v32, 23, 1
; %bb.3268:                             ;   in Loop: Header=BB2_3151 Depth=2
	s_or_b32 exec_lo, exec_lo, s10
	s_delay_alu instid0(VALU_DEP_2) | instskip(NEXT) | instid1(VALU_DEP_2)
	v_lshrrev_b64 v[82:83], 21, v[82:83]
	v_cmp_gt_i32_e32 vcc_lo, 32, v84
	v_min_i32_e32 v32, 31, v84
	v_cmp_eq_u32_e64 s10, 0, v84
	s_delay_alu instid0(VALU_DEP_2) | instskip(SKIP_1) | instid1(VALU_DEP_2)
	v_dual_cndmask_b32 v83, 0, v83 :: v_dual_lshlrev_b32 v32, 2, v32
	v_cndmask_b32_e32 v82, 3, v82, vcc_lo
	v_and_b32_e32 v32, 0xfc, v32
	s_delay_alu instid0(VALU_DEP_2) | instskip(NEXT) | instid1(VALU_DEP_2)
	v_cmp_eq_u64_e32 vcc_lo, 0, v[82:83]
	v_and_or_b32 v32, v82, 3, v32
	s_and_b32 s10, s10, vcc_lo
	s_delay_alu instid0(VALU_DEP_1) | instid1(SALU_CYCLE_1)
	v_cndmask_b32_e64 v32, v32, 0, s10
	s_delay_alu instid0(VALU_DEP_1)
	v_or_b32_e32 v112, v32, v30
.LBB2_3269:                             ;   in Loop: Header=BB2_3151 Depth=2
	s_or_b32 exec_lo, exec_lo, s42
                                        ; implicit-def: $vgpr30
.LBB2_3270:                             ;   in Loop: Header=BB2_3151 Depth=2
	s_and_not1_saveexec_b32 s10, s41
; %bb.3271:                             ;   in Loop: Header=BB2_3151 Depth=2
	v_or_b32_e32 v112, 0x7b, v30
; %bb.3272:                             ;   in Loop: Header=BB2_3151 Depth=2
	s_or_b32 exec_lo, exec_lo, s10
                                        ; implicit-def: $vgpr82
                                        ; implicit-def: $vgpr30
.LBB2_3273:                             ;   in Loop: Header=BB2_3151 Depth=2
	s_and_not1_saveexec_b32 s10, s40
	s_cbranch_execz .LBB2_3279
; %bb.3274:                             ;   in Loop: Header=BB2_3151 Depth=2
	s_mov_b32 s40, exec_lo
                                        ; implicit-def: $vgpr112
	v_cmpx_ne_u64_e32 0, v[32:33]
	s_xor_b32 s40, exec_lo, s40
; %bb.3275:                             ;   in Loop: Header=BB2_3151 Depth=2
	v_or_b32_e32 v112, 0x7f, v30
                                        ; implicit-def: $vgpr82
; %bb.3276:                             ;   in Loop: Header=BB2_3151 Depth=2
	s_and_not1_saveexec_b32 s40, s40
; %bb.3277:                             ;   in Loop: Header=BB2_3151 Depth=2
	v_cmp_lt_i32_e32 vcc_lo, -1, v82
	v_cndmask_b32_e32 v112, 0xfc, v46, vcc_lo
; %bb.3278:                             ;   in Loop: Header=BB2_3151 Depth=2
	s_or_b32 exec_lo, exec_lo, s40
.LBB2_3279:                             ;   in Loop: Header=BB2_3151 Depth=2
	s_delay_alu instid0(SALU_CYCLE_1) | instskip(SKIP_3) | instid1(VALU_DEP_2)
	s_or_b32 exec_lo, exec_lo, s10
	v_and_b32_e32 v82, 0xff, v11
	v_dual_mov_b32 v32, v11 :: v_dual_mov_b32 v30, 0
	s_mov_b32 s10, exec_lo
	v_cmpx_ne_u16_e32 0, v82
	s_cbranch_execz .LBB2_3289
; %bb.3280:                             ;   in Loop: Header=BB2_3151 Depth=2
	v_bfrev_b32_e32 v30, 1
	s_mov_b32 s40, exec_lo
	v_cmpx_ne_u16_e32 0x80, v82
	s_cbranch_execz .LBB2_3288
; %bb.3281:                             ;   in Loop: Header=BB2_3151 Depth=2
	v_and_b32_e32 v30, 0x7c, v11
	v_and_b32_e32 v82, 3, v11
	s_delay_alu instid0(VALU_DEP_2) | instskip(SKIP_1) | instid1(SALU_CYCLE_1)
	v_cmp_ne_u32_e32 vcc_lo, 0x7c, v30
                                        ; implicit-def: $vgpr30
	s_and_saveexec_b32 s41, vcc_lo
	s_xor_b32 s41, exec_lo, s41
	s_cbranch_execz .LBB2_3285
; %bb.3282:                             ;   in Loop: Header=BB2_3151 Depth=2
	v_bfe_u32 v30, v11, 2, 5
	s_mov_b32 s42, exec_lo
	s_delay_alu instid0(VALU_DEP_1)
	v_cmpx_eq_u32_e32 0, v30
; %bb.3283:                             ;   in Loop: Header=BB2_3151 Depth=2
	v_clz_i32_u32_e32 v30, v82
	s_delay_alu instid0(VALU_DEP_1) | instskip(NEXT) | instid1(VALU_DEP_1)
	v_min_u32_e32 v30, 32, v30
	v_subrev_nc_u32_e32 v82, 29, v30
	v_sub_nc_u32_e32 v30, 30, v30
	s_delay_alu instid0(VALU_DEP_2) | instskip(NEXT) | instid1(VALU_DEP_1)
	v_lshlrev_b64_e32 v[82:83], v82, v[32:33]
	v_and_b32_e32 v82, 3, v82
; %bb.3284:                             ;   in Loop: Header=BB2_3151 Depth=2
	s_or_b32 exec_lo, exec_lo, s42
	v_lshlrev_b32_e32 v83, 24, v11
	s_delay_alu instid0(VALU_DEP_1) | instskip(NEXT) | instid1(VALU_DEP_1)
	v_and_b32_e32 v83, 0x80000000, v83
	v_lshl_add_u32 v30, v30, 23, v83
	s_delay_alu instid0(VALU_DEP_1) | instskip(NEXT) | instid1(VALU_DEP_1)
	v_lshl_or_b32 v30, v82, 21, v30
                                        ; implicit-def: $vgpr82
	v_add_nc_u32_e32 v30, 0x38000000, v30
.LBB2_3285:                             ;   in Loop: Header=BB2_3151 Depth=2
	s_and_not1_saveexec_b32 s41, s41
; %bb.3286:                             ;   in Loop: Header=BB2_3151 Depth=2
	v_bfe_i32 v30, v11, 0, 8
	s_delay_alu instid0(VALU_DEP_1) | instskip(SKIP_2) | instid1(VALU_DEP_2)
	v_cmp_lt_i16_e32 vcc_lo, -1, v30
	v_cndmask_b32_e32 v30, 0xff800000, v45, vcc_lo
	v_cmp_eq_u32_e32 vcc_lo, 0, v82
	v_cndmask_b32_e32 v30, 0x7f800001, v30, vcc_lo
; %bb.3287:                             ;   in Loop: Header=BB2_3151 Depth=2
	s_or_b32 exec_lo, exec_lo, s41
.LBB2_3288:                             ;   in Loop: Header=BB2_3151 Depth=2
	s_delay_alu instid0(SALU_CYCLE_1)
	s_or_b32 exec_lo, exec_lo, s40
.LBB2_3289:                             ;   in Loop: Header=BB2_3151 Depth=2
	s_delay_alu instid0(SALU_CYCLE_1) | instskip(NEXT) | instid1(VALU_DEP_1)
	s_or_b32 exec_lo, exec_lo, s10
	v_dual_mul_f32 v84, s29, v30 :: v_dual_mov_b32 v103, v33
	v_mov_b32_e32 v83, v33
                                        ; implicit-def: $vgpr86
	s_mov_b32 s10, exec_lo
	s_delay_alu instid0(VALU_DEP_2) | instskip(SKIP_2) | instid1(VALU_DEP_3)
	v_and_b32_e32 v102, 0x7f800000, v84
	v_and_b32_e32 v82, 0x7fffff, v84
	v_lshrrev_b32_e32 v30, 24, v84
	v_cmpx_ne_u64_e32 0x7f800000, v[102:103]
	s_xor_b32 s40, exec_lo, s10
	s_cbranch_execz .LBB2_3303
; %bb.3290:                             ;   in Loop: Header=BB2_3151 Depth=2
	v_and_b32_e32 v102, 0x7fffffff, v84
	v_mov_b32_e32 v103, v33
	v_and_b32_e32 v30, 0x80, v30
                                        ; implicit-def: $vgpr86
	s_mov_b32 s10, exec_lo
	s_delay_alu instid0(VALU_DEP_2)
	v_cmpx_gt_u64_e32 0x47600001, v[102:103]
	s_xor_b32 s41, exec_lo, s10
	s_cbranch_execz .LBB2_3300
; %bb.3291:                             ;   in Loop: Header=BB2_3151 Depth=2
	v_mov_b32_e32 v86, 0
	s_mov_b32 s42, exec_lo
	v_cmpx_ne_u32_e32 0, v84
	s_cbranch_execz .LBB2_3299
; %bb.3292:                             ;   in Loop: Header=BB2_3151 Depth=2
	v_bfe_u32 v86, v84, 23, 8
	v_or_b32_e32 v102, 0x800000, v82
	s_delay_alu instid0(VALU_DEP_2) | instskip(SKIP_1) | instid1(VALU_DEP_2)
	v_sub_nc_u32_e32 v84, 0x71, v86
	v_cmp_gt_u32_e32 vcc_lo, 0x72, v86
	v_cndmask_b32_e32 v84, 0, v84, vcc_lo
	v_cmp_eq_u32_e32 vcc_lo, 0, v86
	v_cndmask_b32_e32 v82, v102, v82, vcc_lo
	s_delay_alu instid0(VALU_DEP_3) | instskip(NEXT) | instid1(VALU_DEP_1)
	v_cndmask_b32_e64 v100, v84, 0x70, vcc_lo
	v_dual_add_nc_u32 v84, 21, v100 :: v_dual_add_nc_u32 v103, 20, v100
	s_delay_alu instid0(VALU_DEP_1) | instskip(NEXT) | instid1(VALU_DEP_2)
	v_lshlrev_b64_e64 v[84:85], v84, -1
	v_lshlrev_b64_e64 v[102:103], v103, 1
	s_delay_alu instid0(VALU_DEP_2) | instskip(SKIP_1) | instid1(VALU_DEP_4)
	v_bfi_b32 v84, v84, 0, v82
	v_lshrrev_b64 v[82:83], v100, v[82:83]
	v_bfi_b32 v85, v85, 0, 0
	s_delay_alu instid0(VALU_DEP_1) | instskip(NEXT) | instid1(VALU_DEP_3)
	v_cmp_eq_u64_e64 s10, v[84:85], v[102:103]
	v_mov_b64_e32 v[84:85], v[82:83]
	s_and_saveexec_b32 s43, s10
; %bb.3293:                             ;   in Loop: Header=BB2_3151 Depth=2
	v_bfe_u32 v84, v82, 21, 1
	v_mov_b32_e32 v85, v33
	s_delay_alu instid0(VALU_DEP_1) | instskip(NEXT) | instid1(VALU_DEP_1)
	v_add_nc_u64_e32 v[84:85], v[82:83], v[84:85]
	v_add_nc_u64_e32 v[84:85], -1, v[84:85]
; %bb.3294:                             ;   in Loop: Header=BB2_3151 Depth=2
	s_or_b32 exec_lo, exec_lo, s43
	v_add_nc_u32_e32 v83, 0xffffff81, v86
	v_lshrrev_b32_e32 v85, 23, v82
	s_mov_b32 s10, exec_lo
	s_delay_alu instid0(VALU_DEP_2) | instskip(NEXT) | instid1(VALU_DEP_1)
	v_cndmask_b32_e64 v83, v83, 0xffffff82, vcc_lo
	v_add3_u32 v85, v100, v83, v85
	v_and_b32_e32 v83, 0x1fffff, v84
                                        ; implicit-def: $vgpr84
	s_delay_alu instid0(VALU_DEP_1) | instskip(SKIP_1) | instid1(VALU_DEP_2)
	v_dual_add_nc_u32 v86, 14, v85 :: v_dual_add_nc_u32 v82, v83, v82
	v_mov_b32_e32 v83, v33
	v_cmpx_ne_u32_e32 0, v86
	s_xor_b32 s10, exec_lo, s10
; %bb.3295:                             ;   in Loop: Header=BB2_3151 Depth=2
	s_delay_alu instid0(VALU_DEP_2) | instskip(SKIP_2) | instid1(VALU_DEP_2)
	v_cmp_lt_u64_e32 vcc_lo, 0xffffff, v[82:83]
	v_add_nc_u32_e32 v84, 15, v85
	v_cndmask_b32_e64 v85, 0, 1, vcc_lo
	v_cndmask_b32_e32 v84, v86, v84, vcc_lo
	s_delay_alu instid0(VALU_DEP_2)
	v_lshrrev_b64 v[82:83], v85, v[82:83]
; %bb.3296:                             ;   in Loop: Header=BB2_3151 Depth=2
	s_and_not1_saveexec_b32 s10, s10
; %bb.3297:                             ;   in Loop: Header=BB2_3151 Depth=2
	s_delay_alu instid0(VALU_DEP_1)
	v_bfe_u32 v84, v82, 23, 1
; %bb.3298:                             ;   in Loop: Header=BB2_3151 Depth=2
	s_or_b32 exec_lo, exec_lo, s10
	s_delay_alu instid0(VALU_DEP_2) | instskip(NEXT) | instid1(VALU_DEP_2)
	v_lshrrev_b64 v[82:83], 21, v[82:83]
	v_cmp_gt_i32_e32 vcc_lo, 32, v84
	v_min_i32_e32 v85, 31, v84
	v_cmp_eq_u32_e64 s10, 0, v84
	s_delay_alu instid0(VALU_DEP_2) | instskip(SKIP_1) | instid1(VALU_DEP_2)
	v_dual_cndmask_b32 v83, 0, v83, vcc_lo :: v_dual_lshlrev_b32 v85, 2, v85
	v_cndmask_b32_e32 v82, 3, v82, vcc_lo
	v_and_b32_e32 v85, 0xfc, v85
	s_delay_alu instid0(VALU_DEP_2) | instskip(NEXT) | instid1(VALU_DEP_2)
	v_cmp_eq_u64_e32 vcc_lo, 0, v[82:83]
	v_and_or_b32 v82, v82, 3, v85
	s_and_b32 s10, s10, vcc_lo
	s_delay_alu instid0(VALU_DEP_1) | instid1(SALU_CYCLE_1)
	v_cndmask_b32_e64 v82, v82, 0, s10
	s_delay_alu instid0(VALU_DEP_1)
	v_or_b32_e32 v86, v82, v30
.LBB2_3299:                             ;   in Loop: Header=BB2_3151 Depth=2
	s_or_b32 exec_lo, exec_lo, s42
                                        ; implicit-def: $vgpr30
.LBB2_3300:                             ;   in Loop: Header=BB2_3151 Depth=2
	s_and_not1_saveexec_b32 s10, s41
; %bb.3301:                             ;   in Loop: Header=BB2_3151 Depth=2
	v_or_b32_e32 v86, 0x7b, v30
; %bb.3302:                             ;   in Loop: Header=BB2_3151 Depth=2
	s_or_b32 exec_lo, exec_lo, s10
                                        ; implicit-def: $vgpr84
                                        ; implicit-def: $vgpr82_vgpr83
                                        ; implicit-def: $vgpr30
.LBB2_3303:                             ;   in Loop: Header=BB2_3151 Depth=2
	s_and_not1_saveexec_b32 s10, s40
	s_cbranch_execz .LBB2_3309
; %bb.3304:                             ;   in Loop: Header=BB2_3151 Depth=2
	s_mov_b32 s40, exec_lo
                                        ; implicit-def: $vgpr86
	v_cmpx_ne_u64_e32 0, v[82:83]
	s_xor_b32 s40, exec_lo, s40
; %bb.3305:                             ;   in Loop: Header=BB2_3151 Depth=2
	v_or_b32_e32 v86, 0x7f, v30
                                        ; implicit-def: $vgpr84
; %bb.3306:                             ;   in Loop: Header=BB2_3151 Depth=2
	s_and_not1_saveexec_b32 s40, s40
; %bb.3307:                             ;   in Loop: Header=BB2_3151 Depth=2
	v_cmp_lt_i32_e32 vcc_lo, -1, v84
	v_cndmask_b32_e32 v86, 0xfc, v46, vcc_lo
; %bb.3308:                             ;   in Loop: Header=BB2_3151 Depth=2
	s_or_b32 exec_lo, exec_lo, s40
.LBB2_3309:                             ;   in Loop: Header=BB2_3151 Depth=2
	s_delay_alu instid0(SALU_CYCLE_1) | instskip(SKIP_3) | instid1(VALU_DEP_2)
	s_or_b32 exec_lo, exec_lo, s10
	v_lshrrev_b16 v82, 8, v32
	v_mov_b32_e32 v83, 0
	s_mov_b32 s10, exec_lo
	v_cmpx_ne_u16_e32 0, v82
	s_cbranch_execz .LBB2_3319
; %bb.3310:                             ;   in Loop: Header=BB2_3151 Depth=2
	v_bfrev_b32_e32 v83, 1
	s_mov_b32 s40, exec_lo
	v_cmpx_ne_u16_e32 0x80, v82
	s_cbranch_execz .LBB2_3318
; %bb.3311:                             ;   in Loop: Header=BB2_3151 Depth=2
	v_and_b32_e32 v84, 0xffff, v82
	s_delay_alu instid0(VALU_DEP_1) | instskip(SKIP_1) | instid1(VALU_DEP_2)
	v_and_b32_e32 v83, 0x7c, v84
	v_and_b32_e32 v30, 3, v84
	v_cmp_ne_u32_e32 vcc_lo, 0x7c, v83
                                        ; implicit-def: $vgpr83
	s_and_saveexec_b32 s41, vcc_lo
	s_delay_alu instid0(SALU_CYCLE_1)
	s_xor_b32 s41, exec_lo, s41
	s_cbranch_execz .LBB2_3315
; %bb.3312:                             ;   in Loop: Header=BB2_3151 Depth=2
	v_bfe_u32 v83, v84, 2, 5
	s_mov_b32 s42, exec_lo
	s_delay_alu instid0(VALU_DEP_1)
	v_cmpx_eq_u32_e32 0, v83
	s_cbranch_execz .LBB2_3314
; %bb.3313:                             ;   in Loop: Header=BB2_3151 Depth=2
	v_clz_i32_u32_e32 v30, v30
	v_mov_b32_e32 v83, v33
	s_delay_alu instid0(VALU_DEP_2) | instskip(NEXT) | instid1(VALU_DEP_1)
	v_min_u32_e32 v30, 32, v30
	v_subrev_nc_u32_e32 v84, 29, v30
	s_delay_alu instid0(VALU_DEP_1) | instskip(SKIP_1) | instid1(VALU_DEP_2)
	v_lshlrev_b64_e32 v[82:83], v84, v[82:83]
	v_sub_nc_u32_e32 v83, 30, v30
	v_and_b32_e32 v30, 3, v82
.LBB2_3314:                             ;   in Loop: Header=BB2_3151 Depth=2
	s_or_b32 exec_lo, exec_lo, s42
	v_lshlrev_b32_e32 v32, 16, v32
	s_delay_alu instid0(VALU_DEP_1) | instskip(NEXT) | instid1(VALU_DEP_1)
	v_and_b32_e32 v32, 0x80000000, v32
	v_lshl_add_u32 v32, v83, 23, v32
	s_delay_alu instid0(VALU_DEP_1) | instskip(NEXT) | instid1(VALU_DEP_1)
	v_lshl_or_b32 v30, v30, 21, v32
	v_add_nc_u32_e32 v83, 0x38000000, v30
                                        ; implicit-def: $vgpr30
.LBB2_3315:                             ;   in Loop: Header=BB2_3151 Depth=2
	s_and_not1_saveexec_b32 s41, s41
; %bb.3316:                             ;   in Loop: Header=BB2_3151 Depth=2
	v_cmp_lt_i16_e32 vcc_lo, -1, v32
	v_cndmask_b32_e32 v32, 0xff800000, v45, vcc_lo
	v_cmp_eq_u32_e32 vcc_lo, 0, v30
	s_delay_alu instid0(VALU_DEP_2)
	v_cndmask_b32_e32 v83, 0x7f800001, v32, vcc_lo
; %bb.3317:                             ;   in Loop: Header=BB2_3151 Depth=2
	s_or_b32 exec_lo, exec_lo, s41
.LBB2_3318:                             ;   in Loop: Header=BB2_3151 Depth=2
	s_delay_alu instid0(SALU_CYCLE_1)
	s_or_b32 exec_lo, exec_lo, s40
.LBB2_3319:                             ;   in Loop: Header=BB2_3151 Depth=2
	s_delay_alu instid0(SALU_CYCLE_1) | instskip(NEXT) | instid1(VALU_DEP_1)
	s_or_b32 exec_lo, exec_lo, s10
	v_dual_mul_f32 v82, s29, v83 :: v_dual_mov_b32 v85, v33
                                        ; implicit-def: $vgpr118
	s_mov_b32 s10, exec_lo
	s_delay_alu instid0(VALU_DEP_1) | instskip(SKIP_2) | instid1(VALU_DEP_3)
	v_and_b32_e32 v84, 0x7f800000, v82
	v_and_b32_e32 v32, 0x7fffff, v82
	v_lshrrev_b32_e32 v30, 24, v82
	v_cmpx_ne_u64_e32 0x7f800000, v[84:85]
	s_xor_b32 s40, exec_lo, s10
	s_cbranch_execz .LBB2_3333
; %bb.3320:                             ;   in Loop: Header=BB2_3151 Depth=2
	v_and_b32_e32 v84, 0x7fffffff, v82
	v_mov_b32_e32 v85, v33
	v_and_b32_e32 v30, 0x80, v30
                                        ; implicit-def: $vgpr118
	s_mov_b32 s10, exec_lo
	s_delay_alu instid0(VALU_DEP_2)
	v_cmpx_gt_u64_e32 0x47600001, v[84:85]
	s_xor_b32 s41, exec_lo, s10
	s_cbranch_execz .LBB2_3330
; %bb.3321:                             ;   in Loop: Header=BB2_3151 Depth=2
	v_mov_b32_e32 v118, 0
	s_mov_b32 s42, exec_lo
	v_cmpx_ne_u32_e32 0, v82
	s_cbranch_execz .LBB2_3329
; %bb.3322:                             ;   in Loop: Header=BB2_3151 Depth=2
	v_bfe_u32 v100, v82, 23, 8
	v_or_b32_e32 v84, 0x800000, v32
	s_delay_alu instid0(VALU_DEP_2) | instskip(SKIP_1) | instid1(VALU_DEP_2)
	v_sub_nc_u32_e32 v82, 0x71, v100
	v_cmp_gt_u32_e32 vcc_lo, 0x72, v100
	v_cndmask_b32_e32 v82, 0, v82, vcc_lo
	v_cmp_eq_u32_e32 vcc_lo, 0, v100
	v_cndmask_b32_e32 v32, v84, v32, vcc_lo
	s_delay_alu instid0(VALU_DEP_3) | instskip(NEXT) | instid1(VALU_DEP_1)
	v_cndmask_b32_e64 v102, v82, 0x70, vcc_lo
	v_dual_add_nc_u32 v82, 21, v102 :: v_dual_add_nc_u32 v85, 20, v102
	s_delay_alu instid0(VALU_DEP_1) | instskip(NEXT) | instid1(VALU_DEP_2)
	v_lshlrev_b64_e64 v[82:83], v82, -1
	v_lshlrev_b64_e64 v[84:85], v85, 1
	s_delay_alu instid0(VALU_DEP_2) | instskip(NEXT) | instid1(VALU_DEP_3)
	v_bfi_b32 v115, v83, 0, 0
	v_bfi_b32 v114, v82, 0, v32
	v_lshrrev_b64 v[82:83], v102, v[32:33]
	s_delay_alu instid0(VALU_DEP_2) | instskip(NEXT) | instid1(VALU_DEP_2)
	v_cmp_eq_u64_e64 s10, v[114:115], v[84:85]
	v_mov_b64_e32 v[84:85], v[82:83]
	s_and_saveexec_b32 s43, s10
; %bb.3323:                             ;   in Loop: Header=BB2_3151 Depth=2
	v_bfe_u32 v32, v82, 21, 1
	s_delay_alu instid0(VALU_DEP_1) | instskip(NEXT) | instid1(VALU_DEP_1)
	v_add_nc_u64_e32 v[84:85], v[82:83], v[32:33]
	v_add_nc_u64_e32 v[84:85], -1, v[84:85]
; %bb.3324:                             ;   in Loop: Header=BB2_3151 Depth=2
	s_or_b32 exec_lo, exec_lo, s43
	v_add_nc_u32_e32 v32, 0xffffff81, v100
	v_lshrrev_b32_e32 v83, 23, v82
	s_mov_b32 s10, exec_lo
	s_delay_alu instid0(VALU_DEP_2) | instskip(NEXT) | instid1(VALU_DEP_1)
	v_cndmask_b32_e64 v32, v32, 0xffffff82, vcc_lo
	v_add3_u32 v85, v102, v32, v83
	v_and_b32_e32 v32, 0x1fffff, v84
                                        ; implicit-def: $vgpr84
	s_delay_alu instid0(VALU_DEP_1) | instskip(NEXT) | instid1(VALU_DEP_1)
	v_dual_add_nc_u32 v100, 14, v85 :: v_dual_add_nc_u32 v32, v32, v82
                                        ; implicit-def: $vgpr82_vgpr83
	v_cmpx_ne_u32_e32 0, v100
	s_xor_b32 s10, exec_lo, s10
; %bb.3325:                             ;   in Loop: Header=BB2_3151 Depth=2
	s_delay_alu instid0(VALU_DEP_2) | instskip(SKIP_1) | instid1(VALU_DEP_1)
	v_cmp_lt_u64_e32 vcc_lo, 0xffffff, v[32:33]
	v_add_nc_u32_e32 v82, 15, v85
	v_cndmask_b32_e32 v84, v100, v82, vcc_lo
	v_cndmask_b32_e64 v82, 0, 1, vcc_lo
	s_delay_alu instid0(VALU_DEP_1)
	v_lshrrev_b64 v[82:83], v82, v[32:33]
; %bb.3326:                             ;   in Loop: Header=BB2_3151 Depth=2
	s_and_not1_saveexec_b32 s10, s10
; %bb.3327:                             ;   in Loop: Header=BB2_3151 Depth=2
	v_mov_b64_e32 v[82:83], v[32:33]
	v_bfe_u32 v84, v32, 23, 1
; %bb.3328:                             ;   in Loop: Header=BB2_3151 Depth=2
	s_or_b32 exec_lo, exec_lo, s10
	s_delay_alu instid0(VALU_DEP_2) | instskip(NEXT) | instid1(VALU_DEP_2)
	v_lshrrev_b64 v[82:83], 21, v[82:83]
	v_cmp_gt_i32_e32 vcc_lo, 32, v84
	v_min_i32_e32 v32, 31, v84
	v_cmp_eq_u32_e64 s10, 0, v84
	s_delay_alu instid0(VALU_DEP_2) | instskip(SKIP_1) | instid1(VALU_DEP_2)
	v_dual_cndmask_b32 v83, 0, v83 :: v_dual_lshlrev_b32 v32, 2, v32
	v_cndmask_b32_e32 v82, 3, v82, vcc_lo
	v_and_b32_e32 v32, 0xfc, v32
	s_delay_alu instid0(VALU_DEP_2) | instskip(NEXT) | instid1(VALU_DEP_2)
	v_cmp_eq_u64_e32 vcc_lo, 0, v[82:83]
	v_and_or_b32 v32, v82, 3, v32
	s_and_b32 s10, s10, vcc_lo
	s_delay_alu instid0(VALU_DEP_1) | instid1(SALU_CYCLE_1)
	v_cndmask_b32_e64 v32, v32, 0, s10
	s_delay_alu instid0(VALU_DEP_1)
	v_or_b32_e32 v118, v32, v30
.LBB2_3329:                             ;   in Loop: Header=BB2_3151 Depth=2
	s_or_b32 exec_lo, exec_lo, s42
                                        ; implicit-def: $vgpr30
.LBB2_3330:                             ;   in Loop: Header=BB2_3151 Depth=2
	s_and_not1_saveexec_b32 s10, s41
; %bb.3331:                             ;   in Loop: Header=BB2_3151 Depth=2
	v_or_b32_e32 v118, 0x7b, v30
; %bb.3332:                             ;   in Loop: Header=BB2_3151 Depth=2
	s_or_b32 exec_lo, exec_lo, s10
                                        ; implicit-def: $vgpr82
                                        ; implicit-def: $vgpr30
.LBB2_3333:                             ;   in Loop: Header=BB2_3151 Depth=2
	s_and_not1_saveexec_b32 s10, s40
	s_cbranch_execz .LBB2_3339
; %bb.3334:                             ;   in Loop: Header=BB2_3151 Depth=2
	s_mov_b32 s40, exec_lo
                                        ; implicit-def: $vgpr118
	v_cmpx_ne_u64_e32 0, v[32:33]
	s_xor_b32 s40, exec_lo, s40
; %bb.3335:                             ;   in Loop: Header=BB2_3151 Depth=2
	v_or_b32_e32 v118, 0x7f, v30
                                        ; implicit-def: $vgpr82
; %bb.3336:                             ;   in Loop: Header=BB2_3151 Depth=2
	s_and_not1_saveexec_b32 s40, s40
; %bb.3337:                             ;   in Loop: Header=BB2_3151 Depth=2
	v_cmp_lt_i32_e32 vcc_lo, -1, v82
	v_cndmask_b32_e32 v118, 0xfc, v46, vcc_lo
; %bb.3338:                             ;   in Loop: Header=BB2_3151 Depth=2
	s_or_b32 exec_lo, exec_lo, s40
.LBB2_3339:                             ;   in Loop: Header=BB2_3151 Depth=2
	s_delay_alu instid0(SALU_CYCLE_1) | instskip(SKIP_2) | instid1(VALU_DEP_1)
	s_or_b32 exec_lo, exec_lo, s10
	v_dual_lshrrev_b32 v30, 16, v11 :: v_dual_mov_b32 v32, 0
	s_mov_b32 s10, exec_lo
	v_and_b32_e32 v82, 0xff, v30
	s_delay_alu instid0(VALU_DEP_1)
	v_cmpx_ne_u16_e32 0, v82
	s_cbranch_execz .LBB2_3349
; %bb.3340:                             ;   in Loop: Header=BB2_3151 Depth=2
	v_bfrev_b32_e32 v32, 1
	s_mov_b32 s40, exec_lo
	v_cmpx_ne_u16_e32 0x80, v82
	s_cbranch_execz .LBB2_3348
; %bb.3341:                             ;   in Loop: Header=BB2_3151 Depth=2
	v_and_b32_e32 v32, 0x7c0000, v11
	v_bfe_u32 v82, v11, 16, 2
	s_delay_alu instid0(VALU_DEP_2) | instskip(SKIP_1) | instid1(SALU_CYCLE_1)
	v_cmp_ne_u32_e32 vcc_lo, 0x7c0000, v32
                                        ; implicit-def: $vgpr32
	s_and_saveexec_b32 s41, vcc_lo
	s_xor_b32 s41, exec_lo, s41
	s_cbranch_execz .LBB2_3345
; %bb.3342:                             ;   in Loop: Header=BB2_3151 Depth=2
	v_bfe_u32 v32, v11, 18, 5
	s_mov_b32 s42, exec_lo
	s_delay_alu instid0(VALU_DEP_1)
	v_cmpx_eq_u32_e32 0, v32
; %bb.3343:                             ;   in Loop: Header=BB2_3151 Depth=2
	v_clz_i32_u32_e32 v32, v82
	s_delay_alu instid0(VALU_DEP_1) | instskip(NEXT) | instid1(VALU_DEP_1)
	v_min_u32_e32 v32, 32, v32
	v_subrev_nc_u32_e32 v82, 29, v32
	s_delay_alu instid0(VALU_DEP_1) | instskip(NEXT) | instid1(VALU_DEP_1)
	v_lshlrev_b64_e32 v[82:83], v82, v[30:31]
	v_dual_sub_nc_u32 v32, 30, v32 :: v_dual_bitop2_b32 v82, 3, v82 bitop3:0x40
; %bb.3344:                             ;   in Loop: Header=BB2_3151 Depth=2
	s_or_b32 exec_lo, exec_lo, s42
	v_lshlrev_b32_e32 v30, 24, v30
	s_delay_alu instid0(VALU_DEP_1) | instskip(NEXT) | instid1(VALU_DEP_1)
	v_and_b32_e32 v30, 0x80000000, v30
	v_lshl_add_u32 v30, v32, 23, v30
	s_delay_alu instid0(VALU_DEP_1) | instskip(NEXT) | instid1(VALU_DEP_1)
	v_lshl_or_b32 v30, v82, 21, v30
                                        ; implicit-def: $vgpr82
	v_add_nc_u32_e32 v32, 0x38000000, v30
                                        ; implicit-def: $vgpr30
.LBB2_3345:                             ;   in Loop: Header=BB2_3151 Depth=2
	s_and_not1_saveexec_b32 s41, s41
; %bb.3346:                             ;   in Loop: Header=BB2_3151 Depth=2
	v_bfe_i32 v30, v30, 0, 8
	s_delay_alu instid0(VALU_DEP_1) | instskip(SKIP_2) | instid1(VALU_DEP_2)
	v_cmp_lt_i16_e32 vcc_lo, -1, v30
	v_cndmask_b32_e32 v30, 0xff800000, v45, vcc_lo
	v_cmp_eq_u32_e32 vcc_lo, 0, v82
	v_cndmask_b32_e32 v32, 0x7f800001, v30, vcc_lo
; %bb.3347:                             ;   in Loop: Header=BB2_3151 Depth=2
	s_or_b32 exec_lo, exec_lo, s41
.LBB2_3348:                             ;   in Loop: Header=BB2_3151 Depth=2
	s_delay_alu instid0(SALU_CYCLE_1)
	s_or_b32 exec_lo, exec_lo, s40
.LBB2_3349:                             ;   in Loop: Header=BB2_3151 Depth=2
	s_delay_alu instid0(SALU_CYCLE_1) | instskip(NEXT) | instid1(VALU_DEP_1)
	s_or_b32 exec_lo, exec_lo, s10
	v_dual_mul_f32 v82, s29, v32 :: v_dual_mov_b32 v85, v33
                                        ; implicit-def: $vgpr40
	s_mov_b32 s10, exec_lo
	s_delay_alu instid0(VALU_DEP_1) | instskip(SKIP_2) | instid1(VALU_DEP_3)
	v_and_b32_e32 v84, 0x7f800000, v82
	v_and_b32_e32 v32, 0x7fffff, v82
	v_lshrrev_b32_e32 v30, 24, v82
	v_cmpx_ne_u64_e32 0x7f800000, v[84:85]
	s_xor_b32 s40, exec_lo, s10
	s_cbranch_execz .LBB2_3363
; %bb.3350:                             ;   in Loop: Header=BB2_3151 Depth=2
	v_and_b32_e32 v84, 0x7fffffff, v82
	v_mov_b32_e32 v85, v33
	v_and_b32_e32 v30, 0x80, v30
                                        ; implicit-def: $vgpr40
	s_mov_b32 s10, exec_lo
	s_delay_alu instid0(VALU_DEP_2)
	v_cmpx_gt_u64_e32 0x47600001, v[84:85]
	s_xor_b32 s41, exec_lo, s10
	s_cbranch_execz .LBB2_3360
; %bb.3351:                             ;   in Loop: Header=BB2_3151 Depth=2
	v_mov_b32_e32 v40, 0
	s_mov_b32 s42, exec_lo
	v_cmpx_ne_u32_e32 0, v82
	s_cbranch_execz .LBB2_3359
; %bb.3352:                             ;   in Loop: Header=BB2_3151 Depth=2
	v_bfe_u32 v100, v82, 23, 8
	v_or_b32_e32 v84, 0x800000, v32
	s_delay_alu instid0(VALU_DEP_2) | instskip(SKIP_1) | instid1(VALU_DEP_2)
	v_sub_nc_u32_e32 v82, 0x71, v100
	v_cmp_gt_u32_e32 vcc_lo, 0x72, v100
	v_cndmask_b32_e32 v82, 0, v82, vcc_lo
	v_cmp_eq_u32_e32 vcc_lo, 0, v100
	v_cndmask_b32_e32 v32, v84, v32, vcc_lo
	s_delay_alu instid0(VALU_DEP_3) | instskip(NEXT) | instid1(VALU_DEP_1)
	v_cndmask_b32_e64 v102, v82, 0x70, vcc_lo
	v_dual_add_nc_u32 v82, 21, v102 :: v_dual_add_nc_u32 v85, 20, v102
	s_delay_alu instid0(VALU_DEP_1) | instskip(NEXT) | instid1(VALU_DEP_2)
	v_lshlrev_b64_e64 v[82:83], v82, -1
	v_lshlrev_b64_e64 v[84:85], v85, 1
	s_delay_alu instid0(VALU_DEP_2) | instskip(NEXT) | instid1(VALU_DEP_3)
	v_bfi_b32 v115, v83, 0, 0
	v_bfi_b32 v114, v82, 0, v32
	v_lshrrev_b64 v[82:83], v102, v[32:33]
	s_delay_alu instid0(VALU_DEP_2) | instskip(NEXT) | instid1(VALU_DEP_2)
	v_cmp_eq_u64_e64 s10, v[114:115], v[84:85]
	v_mov_b64_e32 v[84:85], v[82:83]
	s_and_saveexec_b32 s43, s10
; %bb.3353:                             ;   in Loop: Header=BB2_3151 Depth=2
	v_bfe_u32 v32, v82, 21, 1
	s_delay_alu instid0(VALU_DEP_1) | instskip(NEXT) | instid1(VALU_DEP_1)
	v_add_nc_u64_e32 v[84:85], v[82:83], v[32:33]
	v_add_nc_u64_e32 v[84:85], -1, v[84:85]
; %bb.3354:                             ;   in Loop: Header=BB2_3151 Depth=2
	s_or_b32 exec_lo, exec_lo, s43
	v_add_nc_u32_e32 v32, 0xffffff81, v100
	v_lshrrev_b32_e32 v83, 23, v82
	s_mov_b32 s10, exec_lo
	s_delay_alu instid0(VALU_DEP_2) | instskip(NEXT) | instid1(VALU_DEP_1)
	v_cndmask_b32_e64 v32, v32, 0xffffff82, vcc_lo
	v_add3_u32 v85, v102, v32, v83
	v_and_b32_e32 v32, 0x1fffff, v84
                                        ; implicit-def: $vgpr84
	s_delay_alu instid0(VALU_DEP_1) | instskip(NEXT) | instid1(VALU_DEP_1)
	v_dual_add_nc_u32 v100, 14, v85 :: v_dual_add_nc_u32 v32, v32, v82
                                        ; implicit-def: $vgpr82_vgpr83
	v_cmpx_ne_u32_e32 0, v100
	s_xor_b32 s10, exec_lo, s10
; %bb.3355:                             ;   in Loop: Header=BB2_3151 Depth=2
	s_delay_alu instid0(VALU_DEP_2) | instskip(SKIP_1) | instid1(VALU_DEP_1)
	v_cmp_lt_u64_e32 vcc_lo, 0xffffff, v[32:33]
	v_add_nc_u32_e32 v82, 15, v85
	v_cndmask_b32_e32 v84, v100, v82, vcc_lo
	v_cndmask_b32_e64 v82, 0, 1, vcc_lo
	s_delay_alu instid0(VALU_DEP_1)
	v_lshrrev_b64 v[82:83], v82, v[32:33]
; %bb.3356:                             ;   in Loop: Header=BB2_3151 Depth=2
	s_and_not1_saveexec_b32 s10, s10
; %bb.3357:                             ;   in Loop: Header=BB2_3151 Depth=2
	v_mov_b64_e32 v[82:83], v[32:33]
	v_bfe_u32 v84, v32, 23, 1
; %bb.3358:                             ;   in Loop: Header=BB2_3151 Depth=2
	s_or_b32 exec_lo, exec_lo, s10
	s_delay_alu instid0(VALU_DEP_2) | instskip(NEXT) | instid1(VALU_DEP_2)
	v_lshrrev_b64 v[82:83], 21, v[82:83]
	v_cmp_gt_i32_e32 vcc_lo, 32, v84
	v_min_i32_e32 v32, 31, v84
	v_cmp_eq_u32_e64 s10, 0, v84
	s_delay_alu instid0(VALU_DEP_2) | instskip(SKIP_1) | instid1(VALU_DEP_2)
	v_dual_cndmask_b32 v83, 0, v83 :: v_dual_lshlrev_b32 v32, 2, v32
	v_cndmask_b32_e32 v82, 3, v82, vcc_lo
	v_and_b32_e32 v32, 0xfc, v32
	s_delay_alu instid0(VALU_DEP_2) | instskip(NEXT) | instid1(VALU_DEP_2)
	v_cmp_eq_u64_e32 vcc_lo, 0, v[82:83]
	v_and_or_b32 v32, v82, 3, v32
	s_and_b32 s10, s10, vcc_lo
	s_delay_alu instid0(VALU_DEP_1) | instid1(SALU_CYCLE_1)
	v_cndmask_b32_e64 v32, v32, 0, s10
	s_delay_alu instid0(VALU_DEP_1)
	v_or_b32_e32 v40, v32, v30
.LBB2_3359:                             ;   in Loop: Header=BB2_3151 Depth=2
	s_or_b32 exec_lo, exec_lo, s42
                                        ; implicit-def: $vgpr30
.LBB2_3360:                             ;   in Loop: Header=BB2_3151 Depth=2
	s_and_not1_saveexec_b32 s10, s41
; %bb.3361:                             ;   in Loop: Header=BB2_3151 Depth=2
	v_or_b32_e32 v40, 0x7b, v30
; %bb.3362:                             ;   in Loop: Header=BB2_3151 Depth=2
	s_or_b32 exec_lo, exec_lo, s10
                                        ; implicit-def: $vgpr82
                                        ; implicit-def: $vgpr30
.LBB2_3363:                             ;   in Loop: Header=BB2_3151 Depth=2
	s_and_not1_saveexec_b32 s10, s40
	s_cbranch_execz .LBB2_3369
; %bb.3364:                             ;   in Loop: Header=BB2_3151 Depth=2
	s_mov_b32 s40, exec_lo
                                        ; implicit-def: $vgpr40
	v_cmpx_ne_u64_e32 0, v[32:33]
	s_xor_b32 s40, exec_lo, s40
; %bb.3365:                             ;   in Loop: Header=BB2_3151 Depth=2
	v_or_b32_e32 v40, 0x7f, v30
                                        ; implicit-def: $vgpr82
; %bb.3366:                             ;   in Loop: Header=BB2_3151 Depth=2
	s_and_not1_saveexec_b32 s40, s40
; %bb.3367:                             ;   in Loop: Header=BB2_3151 Depth=2
	v_cmp_lt_i32_e32 vcc_lo, -1, v82
	v_cndmask_b32_e32 v40, 0xfc, v46, vcc_lo
; %bb.3368:                             ;   in Loop: Header=BB2_3151 Depth=2
	s_or_b32 exec_lo, exec_lo, s40
.LBB2_3369:                             ;   in Loop: Header=BB2_3151 Depth=2
	s_delay_alu instid0(SALU_CYCLE_1)
	s_or_b32 exec_lo, exec_lo, s10
	v_mov_b32_e32 v32, 0
	s_mov_b32 s10, exec_lo
	v_cmpx_lt_u64_e64 s[12:13], v[10:11]
	s_cbranch_execz .LBB2_3379
; %bb.3370:                             ;   in Loop: Header=BB2_3151 Depth=2
	v_lshrrev_b32_e32 v30, 24, v11
	v_bfrev_b32_e32 v32, 1
	s_mov_b32 s40, exec_lo
	s_delay_alu instid0(VALU_DEP_2)
	v_cmpx_ne_u32_e32 0x80, v30
	s_cbranch_execz .LBB2_3378
; %bb.3371:                             ;   in Loop: Header=BB2_3151 Depth=2
	v_and_b32_e32 v32, 0x7c000000, v11
	v_bfe_u32 v82, v11, 24, 2
	s_delay_alu instid0(VALU_DEP_2) | instskip(SKIP_1) | instid1(SALU_CYCLE_1)
	v_cmp_ne_u32_e32 vcc_lo, 0x7c000000, v32
                                        ; implicit-def: $vgpr32
	s_and_saveexec_b32 s41, vcc_lo
	s_xor_b32 s41, exec_lo, s41
	s_cbranch_execz .LBB2_3375
; %bb.3372:                             ;   in Loop: Header=BB2_3151 Depth=2
	v_bfe_u32 v32, v11, 26, 5
	s_mov_b32 s42, exec_lo
	s_delay_alu instid0(VALU_DEP_1)
	v_cmpx_eq_u32_e32 0, v32
; %bb.3373:                             ;   in Loop: Header=BB2_3151 Depth=2
	v_clz_i32_u32_e32 v32, v82
	s_delay_alu instid0(VALU_DEP_1) | instskip(NEXT) | instid1(VALU_DEP_1)
	v_min_u32_e32 v32, 32, v32
	v_subrev_nc_u32_e32 v82, 29, v32
	s_delay_alu instid0(VALU_DEP_1) | instskip(NEXT) | instid1(VALU_DEP_1)
	v_lshlrev_b64_e32 v[82:83], v82, v[30:31]
	v_dual_sub_nc_u32 v32, 30, v32 :: v_dual_bitop2_b32 v82, 3, v82 bitop3:0x40
; %bb.3374:                             ;   in Loop: Header=BB2_3151 Depth=2
	s_or_b32 exec_lo, exec_lo, s42
	v_and_b32_e32 v30, 0x80000000, v11
	s_delay_alu instid0(VALU_DEP_1) | instskip(NEXT) | instid1(VALU_DEP_1)
	v_lshl_add_u32 v30, v32, 23, v30
	v_lshl_or_b32 v30, v82, 21, v30
                                        ; implicit-def: $vgpr82
	s_delay_alu instid0(VALU_DEP_1)
	v_add_nc_u32_e32 v32, 0x38000000, v30
.LBB2_3375:                             ;   in Loop: Header=BB2_3151 Depth=2
	s_and_not1_saveexec_b32 s41, s41
; %bb.3376:                             ;   in Loop: Header=BB2_3151 Depth=2
	v_cmp_lt_i64_e32 vcc_lo, -1, v[10:11]
	v_cndmask_b32_e32 v10, 0xff800000, v45, vcc_lo
	v_cmp_eq_u32_e32 vcc_lo, 0, v82
	s_delay_alu instid0(VALU_DEP_2)
	v_cndmask_b32_e32 v32, 0x7f800001, v10, vcc_lo
; %bb.3377:                             ;   in Loop: Header=BB2_3151 Depth=2
	s_or_b32 exec_lo, exec_lo, s41
.LBB2_3378:                             ;   in Loop: Header=BB2_3151 Depth=2
	s_delay_alu instid0(SALU_CYCLE_1)
	s_or_b32 exec_lo, exec_lo, s40
.LBB2_3379:                             ;   in Loop: Header=BB2_3151 Depth=2
	s_delay_alu instid0(SALU_CYCLE_1) | instskip(NEXT) | instid1(VALU_DEP_1)
	s_or_b32 exec_lo, exec_lo, s10
	v_dual_mul_f32 v10, s29, v32 :: v_dual_mov_b32 v83, v33
                                        ; implicit-def: $vgpr41
	s_mov_b32 s10, exec_lo
	s_delay_alu instid0(VALU_DEP_1) | instskip(SKIP_2) | instid1(VALU_DEP_3)
	v_and_b32_e32 v82, 0x7f800000, v10
	v_and_b32_e32 v32, 0x7fffff, v10
	v_lshrrev_b32_e32 v11, 24, v10
	v_cmpx_ne_u64_e32 0x7f800000, v[82:83]
	s_xor_b32 s40, exec_lo, s10
	s_cbranch_execz .LBB2_3393
; %bb.3380:                             ;   in Loop: Header=BB2_3151 Depth=2
	v_and_b32_e32 v82, 0x7fffffff, v10
	v_mov_b32_e32 v83, v33
	v_and_b32_e32 v30, 0x80, v11
                                        ; implicit-def: $vgpr41
	s_mov_b32 s10, exec_lo
	s_delay_alu instid0(VALU_DEP_2)
	v_cmpx_gt_u64_e32 0x47600001, v[82:83]
	s_xor_b32 s41, exec_lo, s10
	s_cbranch_execz .LBB2_3390
; %bb.3381:                             ;   in Loop: Header=BB2_3151 Depth=2
	v_mov_b32_e32 v41, 0
	s_mov_b32 s42, exec_lo
	v_cmpx_ne_u32_e32 0, v10
	s_cbranch_execz .LBB2_3389
; %bb.3382:                             ;   in Loop: Header=BB2_3151 Depth=2
	v_bfe_u32 v84, v10, 23, 8
	v_or_b32_e32 v82, 0x800000, v32
	s_delay_alu instid0(VALU_DEP_2) | instskip(SKIP_1) | instid1(VALU_DEP_2)
	v_sub_nc_u32_e32 v10, 0x71, v84
	v_cmp_gt_u32_e32 vcc_lo, 0x72, v84
	v_cndmask_b32_e32 v10, 0, v10, vcc_lo
	v_cmp_eq_u32_e32 vcc_lo, 0, v84
	s_delay_alu instid0(VALU_DEP_2) | instskip(NEXT) | instid1(VALU_DEP_1)
	v_cndmask_b32_e64 v85, v10, 0x70, vcc_lo
	v_dual_cndmask_b32 v32, v82, v32, vcc_lo :: v_dual_add_nc_u32 v10, 21, v85
	v_add_nc_u32_e32 v83, 20, v85
	s_delay_alu instid0(VALU_DEP_2) | instskip(NEXT) | instid1(VALU_DEP_2)
	v_lshlrev_b64_e64 v[10:11], v10, -1
	v_lshlrev_b64_e64 v[82:83], v83, 1
	s_delay_alu instid0(VALU_DEP_2) | instskip(NEXT) | instid1(VALU_DEP_3)
	v_bfi_b32 v103, v11, 0, 0
	v_bfi_b32 v102, v10, 0, v32
	v_lshrrev_b64 v[10:11], v85, v[32:33]
	s_delay_alu instid0(VALU_DEP_2) | instskip(NEXT) | instid1(VALU_DEP_2)
	v_cmp_eq_u64_e64 s10, v[102:103], v[82:83]
	v_mov_b64_e32 v[82:83], v[10:11]
	s_and_saveexec_b32 s43, s10
; %bb.3383:                             ;   in Loop: Header=BB2_3151 Depth=2
	v_bfe_u32 v32, v10, 21, 1
	s_delay_alu instid0(VALU_DEP_1) | instskip(NEXT) | instid1(VALU_DEP_1)
	v_add_nc_u64_e32 v[82:83], v[10:11], v[32:33]
	v_add_nc_u64_e32 v[82:83], -1, v[82:83]
; %bb.3384:                             ;   in Loop: Header=BB2_3151 Depth=2
	s_or_b32 exec_lo, exec_lo, s43
	v_add_nc_u32_e32 v11, 0xffffff81, v84
	v_lshrrev_b32_e32 v32, 23, v10
	s_mov_b32 s10, exec_lo
	s_delay_alu instid0(VALU_DEP_2) | instskip(NEXT) | instid1(VALU_DEP_1)
	v_cndmask_b32_e64 v11, v11, 0xffffff82, vcc_lo
	v_add3_u32 v83, v85, v11, v32
	v_and_b32_e32 v11, 0x1fffff, v82
                                        ; implicit-def: $vgpr82
	s_delay_alu instid0(VALU_DEP_1) | instskip(NEXT) | instid1(VALU_DEP_1)
	v_dual_add_nc_u32 v84, 14, v83 :: v_dual_add_nc_u32 v32, v11, v10
                                        ; implicit-def: $vgpr10_vgpr11
	v_cmpx_ne_u32_e32 0, v84
	s_xor_b32 s10, exec_lo, s10
; %bb.3385:                             ;   in Loop: Header=BB2_3151 Depth=2
	s_delay_alu instid0(VALU_DEP_2) | instskip(SKIP_1) | instid1(VALU_DEP_1)
	v_cmp_lt_u64_e32 vcc_lo, 0xffffff, v[32:33]
	v_add_nc_u32_e32 v10, 15, v83
	v_cndmask_b32_e32 v82, v84, v10, vcc_lo
	v_cndmask_b32_e64 v10, 0, 1, vcc_lo
	s_delay_alu instid0(VALU_DEP_1)
	v_lshrrev_b64 v[10:11], v10, v[32:33]
; %bb.3386:                             ;   in Loop: Header=BB2_3151 Depth=2
	s_and_not1_saveexec_b32 s10, s10
; %bb.3387:                             ;   in Loop: Header=BB2_3151 Depth=2
	v_mov_b64_e32 v[10:11], v[32:33]
	v_bfe_u32 v82, v32, 23, 1
; %bb.3388:                             ;   in Loop: Header=BB2_3151 Depth=2
	s_or_b32 exec_lo, exec_lo, s10
	s_delay_alu instid0(VALU_DEP_2) | instskip(NEXT) | instid1(VALU_DEP_2)
	v_lshrrev_b64 v[10:11], 21, v[10:11]
	v_cmp_gt_i32_e32 vcc_lo, 32, v82
	v_min_i32_e32 v32, 31, v82
	v_cmp_eq_u32_e64 s10, 0, v82
	s_delay_alu instid0(VALU_DEP_2) | instskip(SKIP_1) | instid1(VALU_DEP_2)
	v_dual_cndmask_b32 v11, 0, v11 :: v_dual_lshlrev_b32 v32, 2, v32
	v_cndmask_b32_e32 v10, 3, v10, vcc_lo
	v_and_b32_e32 v32, 0xfc, v32
	s_delay_alu instid0(VALU_DEP_2) | instskip(NEXT) | instid1(VALU_DEP_2)
	v_cmp_eq_u64_e32 vcc_lo, 0, v[10:11]
	v_and_or_b32 v10, v10, 3, v32
	s_and_b32 s10, s10, vcc_lo
	s_delay_alu instid0(VALU_DEP_1) | instid1(SALU_CYCLE_1)
	v_cndmask_b32_e64 v10, v10, 0, s10
	s_delay_alu instid0(VALU_DEP_1)
	v_or_b32_e32 v41, v10, v30
.LBB2_3389:                             ;   in Loop: Header=BB2_3151 Depth=2
	s_or_b32 exec_lo, exec_lo, s42
                                        ; implicit-def: $vgpr30
.LBB2_3390:                             ;   in Loop: Header=BB2_3151 Depth=2
	s_and_not1_saveexec_b32 s10, s41
; %bb.3391:                             ;   in Loop: Header=BB2_3151 Depth=2
	v_or_b32_e32 v41, 0x7b, v30
; %bb.3392:                             ;   in Loop: Header=BB2_3151 Depth=2
	s_or_b32 exec_lo, exec_lo, s10
                                        ; implicit-def: $vgpr10
                                        ; implicit-def: $vgpr11
.LBB2_3393:                             ;   in Loop: Header=BB2_3151 Depth=2
	s_and_not1_saveexec_b32 s10, s40
	s_cbranch_execz .LBB2_3399
; %bb.3394:                             ;   in Loop: Header=BB2_3151 Depth=2
	s_mov_b32 s40, exec_lo
                                        ; implicit-def: $vgpr41
	v_cmpx_ne_u64_e32 0, v[32:33]
	s_xor_b32 s40, exec_lo, s40
; %bb.3395:                             ;   in Loop: Header=BB2_3151 Depth=2
	v_or_b32_e32 v41, 0x7f, v11
                                        ; implicit-def: $vgpr10
; %bb.3396:                             ;   in Loop: Header=BB2_3151 Depth=2
	s_and_not1_saveexec_b32 s40, s40
; %bb.3397:                             ;   in Loop: Header=BB2_3151 Depth=2
	v_cmp_lt_i32_e32 vcc_lo, -1, v10
	v_cndmask_b32_e32 v41, 0xfc, v46, vcc_lo
; %bb.3398:                             ;   in Loop: Header=BB2_3151 Depth=2
	s_or_b32 exec_lo, exec_lo, s40
.LBB2_3399:                             ;   in Loop: Header=BB2_3151 Depth=2
	s_delay_alu instid0(SALU_CYCLE_1) | instskip(SKIP_1) | instid1(VALU_DEP_1)
	s_or_b32 exec_lo, exec_lo, s10
	v_and_b32_e32 v10, 0xff, v12
	v_cmp_ne_u16_e32 vcc_lo, 0, v10
	v_mov_b32_e32 v10, 0
	s_and_saveexec_b32 s10, vcc_lo
	s_cbranch_execz .LBB2_3409
; %bb.3400:                             ;   in Loop: Header=BB2_3151 Depth=2
	v_bfe_i32 v30, v12, 0, 8
	v_bfrev_b32_e32 v10, 1
	s_mov_b32 s40, exec_lo
	s_delay_alu instid0(VALU_DEP_2)
	v_cmpx_ne_u16_e32 0xff80, v30
	s_cbranch_execz .LBB2_3408
; %bb.3401:                             ;   in Loop: Header=BB2_3151 Depth=2
	v_and_b32_e32 v10, 0x7c, v12
	v_and_b32_e32 v11, 3, v12
	s_delay_alu instid0(VALU_DEP_2) | instskip(SKIP_1) | instid1(SALU_CYCLE_1)
	v_cmp_ne_u32_e32 vcc_lo, 0x7c, v10
                                        ; implicit-def: $vgpr10
	s_and_saveexec_b32 s41, vcc_lo
	s_xor_b32 s41, exec_lo, s41
	s_cbranch_execz .LBB2_3405
; %bb.3402:                             ;   in Loop: Header=BB2_3151 Depth=2
	v_bfe_u32 v10, v12, 2, 5
	s_mov_b32 s42, exec_lo
	s_delay_alu instid0(VALU_DEP_1)
	v_cmpx_eq_u32_e32 0, v10
; %bb.3403:                             ;   in Loop: Header=BB2_3151 Depth=2
	v_clz_i32_u32_e32 v10, v11
	s_delay_alu instid0(VALU_DEP_1) | instskip(NEXT) | instid1(VALU_DEP_1)
	v_min_u32_e32 v10, 32, v10
	v_subrev_nc_u32_e32 v11, 29, v10
	v_sub_nc_u32_e32 v10, 30, v10
	s_delay_alu instid0(VALU_DEP_2) | instskip(NEXT) | instid1(VALU_DEP_1)
	v_lshlrev_b64_e32 v[82:83], v11, v[12:13]
	v_and_b32_e32 v11, 3, v82
; %bb.3404:                             ;   in Loop: Header=BB2_3151 Depth=2
	s_or_b32 exec_lo, exec_lo, s42
	v_lshlrev_b32_e32 v30, 24, v12
	s_delay_alu instid0(VALU_DEP_1) | instskip(NEXT) | instid1(VALU_DEP_1)
	v_and_b32_e32 v30, 0x80000000, v30
	v_lshl_add_u32 v10, v10, 23, v30
                                        ; implicit-def: $vgpr30
	s_delay_alu instid0(VALU_DEP_1) | instskip(NEXT) | instid1(VALU_DEP_1)
	v_lshl_or_b32 v10, v11, 21, v10
                                        ; implicit-def: $vgpr11
	v_add_nc_u32_e32 v10, 0x38000000, v10
.LBB2_3405:                             ;   in Loop: Header=BB2_3151 Depth=2
	s_and_not1_saveexec_b32 s41, s41
; %bb.3406:                             ;   in Loop: Header=BB2_3151 Depth=2
	v_cmp_lt_i16_e32 vcc_lo, -1, v30
	v_cndmask_b32_e32 v10, 0xff800000, v45, vcc_lo
	v_cmp_eq_u32_e32 vcc_lo, 0, v11
	s_delay_alu instid0(VALU_DEP_2)
	v_cndmask_b32_e32 v10, 0x7f800001, v10, vcc_lo
; %bb.3407:                             ;   in Loop: Header=BB2_3151 Depth=2
	s_or_b32 exec_lo, exec_lo, s41
.LBB2_3408:                             ;   in Loop: Header=BB2_3151 Depth=2
	s_delay_alu instid0(SALU_CYCLE_1)
	s_or_b32 exec_lo, exec_lo, s40
.LBB2_3409:                             ;   in Loop: Header=BB2_3151 Depth=2
	s_delay_alu instid0(SALU_CYCLE_1) | instskip(NEXT) | instid1(VALU_DEP_1)
	s_or_b32 exec_lo, exec_lo, s10
	v_dual_mul_f32 v10, s29, v10 :: v_dual_mov_b32 v83, v33
                                        ; implicit-def: $vgpr102
	s_mov_b32 s10, exec_lo
	s_delay_alu instid0(VALU_DEP_1) | instskip(SKIP_2) | instid1(VALU_DEP_3)
	v_and_b32_e32 v82, 0x7f800000, v10
	v_and_b32_e32 v32, 0x7fffff, v10
	v_lshrrev_b32_e32 v11, 24, v10
	v_cmpx_ne_u64_e32 0x7f800000, v[82:83]
	s_xor_b32 s40, exec_lo, s10
	s_cbranch_execz .LBB2_3423
; %bb.3410:                             ;   in Loop: Header=BB2_3151 Depth=2
	v_and_b32_e32 v82, 0x7fffffff, v10
	v_mov_b32_e32 v83, v33
	v_and_b32_e32 v30, 0x80, v11
                                        ; implicit-def: $vgpr102
	s_mov_b32 s10, exec_lo
	s_delay_alu instid0(VALU_DEP_2)
	v_cmpx_gt_u64_e32 0x47600001, v[82:83]
	s_xor_b32 s41, exec_lo, s10
	s_cbranch_execz .LBB2_3420
; %bb.3411:                             ;   in Loop: Header=BB2_3151 Depth=2
	v_mov_b32_e32 v102, 0
	s_mov_b32 s42, exec_lo
	v_cmpx_ne_u32_e32 0, v10
	s_cbranch_execz .LBB2_3419
; %bb.3412:                             ;   in Loop: Header=BB2_3151 Depth=2
	v_bfe_u32 v84, v10, 23, 8
	v_or_b32_e32 v82, 0x800000, v32
	s_delay_alu instid0(VALU_DEP_2) | instskip(SKIP_1) | instid1(VALU_DEP_2)
	v_sub_nc_u32_e32 v10, 0x71, v84
	v_cmp_gt_u32_e32 vcc_lo, 0x72, v84
	v_cndmask_b32_e32 v10, 0, v10, vcc_lo
	v_cmp_eq_u32_e32 vcc_lo, 0, v84
	s_delay_alu instid0(VALU_DEP_2) | instskip(NEXT) | instid1(VALU_DEP_1)
	v_cndmask_b32_e64 v85, v10, 0x70, vcc_lo
	v_dual_cndmask_b32 v32, v82, v32, vcc_lo :: v_dual_add_nc_u32 v10, 21, v85
	v_add_nc_u32_e32 v83, 20, v85
	s_delay_alu instid0(VALU_DEP_2) | instskip(NEXT) | instid1(VALU_DEP_2)
	v_lshlrev_b64_e64 v[10:11], v10, -1
	v_lshlrev_b64_e64 v[82:83], v83, 1
	s_delay_alu instid0(VALU_DEP_2) | instskip(NEXT) | instid1(VALU_DEP_3)
	v_bfi_b32 v103, v11, 0, 0
	v_bfi_b32 v102, v10, 0, v32
	v_lshrrev_b64 v[10:11], v85, v[32:33]
	s_delay_alu instid0(VALU_DEP_2) | instskip(NEXT) | instid1(VALU_DEP_2)
	v_cmp_eq_u64_e64 s10, v[102:103], v[82:83]
	v_mov_b64_e32 v[82:83], v[10:11]
	s_and_saveexec_b32 s43, s10
; %bb.3413:                             ;   in Loop: Header=BB2_3151 Depth=2
	v_bfe_u32 v32, v10, 21, 1
	s_delay_alu instid0(VALU_DEP_1) | instskip(NEXT) | instid1(VALU_DEP_1)
	v_add_nc_u64_e32 v[82:83], v[10:11], v[32:33]
	v_add_nc_u64_e32 v[82:83], -1, v[82:83]
; %bb.3414:                             ;   in Loop: Header=BB2_3151 Depth=2
	s_or_b32 exec_lo, exec_lo, s43
	v_add_nc_u32_e32 v11, 0xffffff81, v84
	v_lshrrev_b32_e32 v32, 23, v10
	s_mov_b32 s10, exec_lo
	s_delay_alu instid0(VALU_DEP_2) | instskip(NEXT) | instid1(VALU_DEP_1)
	v_cndmask_b32_e64 v11, v11, 0xffffff82, vcc_lo
	v_add3_u32 v83, v85, v11, v32
	v_and_b32_e32 v11, 0x1fffff, v82
                                        ; implicit-def: $vgpr82
	s_delay_alu instid0(VALU_DEP_1) | instskip(NEXT) | instid1(VALU_DEP_1)
	v_dual_add_nc_u32 v84, 14, v83 :: v_dual_add_nc_u32 v32, v11, v10
                                        ; implicit-def: $vgpr10_vgpr11
	v_cmpx_ne_u32_e32 0, v84
	s_xor_b32 s10, exec_lo, s10
; %bb.3415:                             ;   in Loop: Header=BB2_3151 Depth=2
	s_delay_alu instid0(VALU_DEP_2) | instskip(SKIP_1) | instid1(VALU_DEP_1)
	v_cmp_lt_u64_e32 vcc_lo, 0xffffff, v[32:33]
	v_add_nc_u32_e32 v10, 15, v83
	v_cndmask_b32_e32 v82, v84, v10, vcc_lo
	v_cndmask_b32_e64 v10, 0, 1, vcc_lo
	s_delay_alu instid0(VALU_DEP_1)
	v_lshrrev_b64 v[10:11], v10, v[32:33]
; %bb.3416:                             ;   in Loop: Header=BB2_3151 Depth=2
	s_and_not1_saveexec_b32 s10, s10
; %bb.3417:                             ;   in Loop: Header=BB2_3151 Depth=2
	v_mov_b64_e32 v[10:11], v[32:33]
	v_bfe_u32 v82, v32, 23, 1
; %bb.3418:                             ;   in Loop: Header=BB2_3151 Depth=2
	s_or_b32 exec_lo, exec_lo, s10
	s_delay_alu instid0(VALU_DEP_2) | instskip(NEXT) | instid1(VALU_DEP_2)
	v_lshrrev_b64 v[10:11], 21, v[10:11]
	v_cmp_gt_i32_e32 vcc_lo, 32, v82
	v_min_i32_e32 v32, 31, v82
	v_cmp_eq_u32_e64 s10, 0, v82
	s_delay_alu instid0(VALU_DEP_2) | instskip(SKIP_1) | instid1(VALU_DEP_2)
	v_dual_cndmask_b32 v11, 0, v11 :: v_dual_lshlrev_b32 v32, 2, v32
	v_cndmask_b32_e32 v10, 3, v10, vcc_lo
	v_and_b32_e32 v32, 0xfc, v32
	s_delay_alu instid0(VALU_DEP_2) | instskip(NEXT) | instid1(VALU_DEP_2)
	v_cmp_eq_u64_e32 vcc_lo, 0, v[10:11]
	v_and_or_b32 v10, v10, 3, v32
	s_and_b32 s10, s10, vcc_lo
	s_delay_alu instid0(VALU_DEP_1) | instid1(SALU_CYCLE_1)
	v_cndmask_b32_e64 v10, v10, 0, s10
	s_delay_alu instid0(VALU_DEP_1)
	v_or_b32_e32 v102, v10, v30
.LBB2_3419:                             ;   in Loop: Header=BB2_3151 Depth=2
	s_or_b32 exec_lo, exec_lo, s42
                                        ; implicit-def: $vgpr30
.LBB2_3420:                             ;   in Loop: Header=BB2_3151 Depth=2
	s_and_not1_saveexec_b32 s10, s41
; %bb.3421:                             ;   in Loop: Header=BB2_3151 Depth=2
	v_or_b32_e32 v102, 0x7b, v30
; %bb.3422:                             ;   in Loop: Header=BB2_3151 Depth=2
	s_or_b32 exec_lo, exec_lo, s10
                                        ; implicit-def: $vgpr10
                                        ; implicit-def: $vgpr11
.LBB2_3423:                             ;   in Loop: Header=BB2_3151 Depth=2
	s_and_not1_saveexec_b32 s10, s40
	s_cbranch_execz .LBB2_3429
; %bb.3424:                             ;   in Loop: Header=BB2_3151 Depth=2
	s_mov_b32 s40, exec_lo
                                        ; implicit-def: $vgpr102
	v_cmpx_ne_u64_e32 0, v[32:33]
	s_xor_b32 s40, exec_lo, s40
; %bb.3425:                             ;   in Loop: Header=BB2_3151 Depth=2
	v_or_b32_e32 v102, 0x7f, v11
                                        ; implicit-def: $vgpr10
; %bb.3426:                             ;   in Loop: Header=BB2_3151 Depth=2
	s_and_not1_saveexec_b32 s40, s40
; %bb.3427:                             ;   in Loop: Header=BB2_3151 Depth=2
	v_cmp_lt_i32_e32 vcc_lo, -1, v10
	v_cndmask_b32_e32 v102, 0xfc, v46, vcc_lo
; %bb.3428:                             ;   in Loop: Header=BB2_3151 Depth=2
	s_or_b32 exec_lo, exec_lo, s40
.LBB2_3429:                             ;   in Loop: Header=BB2_3151 Depth=2
	s_delay_alu instid0(SALU_CYCLE_1) | instskip(SKIP_3) | instid1(VALU_DEP_2)
	s_or_b32 exec_lo, exec_lo, s10
	v_lshrrev_b16 v32, 8, v12
	v_mov_b32_e32 v11, 0
	s_mov_b32 s10, exec_lo
	v_cmpx_ne_u16_e32 0, v32
	s_cbranch_execz .LBB2_3439
; %bb.3430:                             ;   in Loop: Header=BB2_3151 Depth=2
	v_bfrev_b32_e32 v11, 1
	s_mov_b32 s40, exec_lo
	v_cmpx_ne_u16_e32 0x80, v32
	s_cbranch_execz .LBB2_3438
; %bb.3431:                             ;   in Loop: Header=BB2_3151 Depth=2
	v_and_b32_e32 v30, 0xffff, v32
	s_delay_alu instid0(VALU_DEP_1) | instskip(SKIP_1) | instid1(VALU_DEP_2)
	v_and_b32_e32 v11, 0x7c, v30
	v_and_b32_e32 v10, 3, v30
	v_cmp_ne_u32_e32 vcc_lo, 0x7c, v11
                                        ; implicit-def: $vgpr11
	s_and_saveexec_b32 s41, vcc_lo
	s_delay_alu instid0(SALU_CYCLE_1)
	s_xor_b32 s41, exec_lo, s41
	s_cbranch_execz .LBB2_3435
; %bb.3432:                             ;   in Loop: Header=BB2_3151 Depth=2
	v_bfe_u32 v11, v30, 2, 5
	s_mov_b32 s42, exec_lo
	s_delay_alu instid0(VALU_DEP_1)
	v_cmpx_eq_u32_e32 0, v11
; %bb.3433:                             ;   in Loop: Header=BB2_3151 Depth=2
	v_clz_i32_u32_e32 v10, v10
	s_delay_alu instid0(VALU_DEP_1) | instskip(NEXT) | instid1(VALU_DEP_1)
	v_min_u32_e32 v30, 32, v10
	v_subrev_nc_u32_e32 v10, 29, v30
	s_delay_alu instid0(VALU_DEP_1) | instskip(SKIP_1) | instid1(VALU_DEP_2)
	v_lshlrev_b64_e32 v[10:11], v10, v[32:33]
	v_sub_nc_u32_e32 v11, 30, v30
	v_and_b32_e32 v10, 3, v10
; %bb.3434:                             ;   in Loop: Header=BB2_3151 Depth=2
	s_or_b32 exec_lo, exec_lo, s42
	v_lshlrev_b32_e32 v30, 16, v12
	s_delay_alu instid0(VALU_DEP_1) | instskip(NEXT) | instid1(VALU_DEP_1)
	v_and_b32_e32 v30, 0x80000000, v30
	v_lshl_add_u32 v11, v11, 23, v30
	s_delay_alu instid0(VALU_DEP_1) | instskip(NEXT) | instid1(VALU_DEP_1)
	v_lshl_or_b32 v10, v10, 21, v11
	v_add_nc_u32_e32 v11, 0x38000000, v10
                                        ; implicit-def: $vgpr10
.LBB2_3435:                             ;   in Loop: Header=BB2_3151 Depth=2
	s_and_not1_saveexec_b32 s41, s41
; %bb.3436:                             ;   in Loop: Header=BB2_3151 Depth=2
	v_cmp_lt_i16_e32 vcc_lo, -1, v12
	v_cndmask_b32_e32 v11, 0xff800000, v45, vcc_lo
	v_cmp_eq_u32_e32 vcc_lo, 0, v10
	s_delay_alu instid0(VALU_DEP_2)
	v_cndmask_b32_e32 v11, 0x7f800001, v11, vcc_lo
; %bb.3437:                             ;   in Loop: Header=BB2_3151 Depth=2
	s_or_b32 exec_lo, exec_lo, s41
.LBB2_3438:                             ;   in Loop: Header=BB2_3151 Depth=2
	s_delay_alu instid0(SALU_CYCLE_1)
	s_or_b32 exec_lo, exec_lo, s40
.LBB2_3439:                             ;   in Loop: Header=BB2_3151 Depth=2
	s_delay_alu instid0(SALU_CYCLE_1) | instskip(NEXT) | instid1(VALU_DEP_1)
	s_or_b32 exec_lo, exec_lo, s10
	v_dual_mul_f32 v10, s29, v11 :: v_dual_mov_b32 v83, v33
                                        ; implicit-def: $vgpr114
	s_mov_b32 s10, exec_lo
	s_delay_alu instid0(VALU_DEP_1) | instskip(SKIP_2) | instid1(VALU_DEP_3)
	v_and_b32_e32 v82, 0x7f800000, v10
	v_and_b32_e32 v32, 0x7fffff, v10
	v_lshrrev_b32_e32 v11, 24, v10
	v_cmpx_ne_u64_e32 0x7f800000, v[82:83]
	s_xor_b32 s40, exec_lo, s10
	s_cbranch_execz .LBB2_3453
; %bb.3440:                             ;   in Loop: Header=BB2_3151 Depth=2
	v_and_b32_e32 v82, 0x7fffffff, v10
	v_mov_b32_e32 v83, v33
	v_and_b32_e32 v30, 0x80, v11
                                        ; implicit-def: $vgpr114
	s_mov_b32 s10, exec_lo
	s_delay_alu instid0(VALU_DEP_2)
	v_cmpx_gt_u64_e32 0x47600001, v[82:83]
	s_xor_b32 s41, exec_lo, s10
	s_cbranch_execz .LBB2_3450
; %bb.3441:                             ;   in Loop: Header=BB2_3151 Depth=2
	v_mov_b32_e32 v114, 0
	s_mov_b32 s42, exec_lo
	v_cmpx_ne_u32_e32 0, v10
	s_cbranch_execz .LBB2_3449
; %bb.3442:                             ;   in Loop: Header=BB2_3151 Depth=2
	v_bfe_u32 v84, v10, 23, 8
	v_or_b32_e32 v82, 0x800000, v32
	s_delay_alu instid0(VALU_DEP_2) | instskip(SKIP_1) | instid1(VALU_DEP_2)
	v_sub_nc_u32_e32 v10, 0x71, v84
	v_cmp_gt_u32_e32 vcc_lo, 0x72, v84
	v_cndmask_b32_e32 v10, 0, v10, vcc_lo
	v_cmp_eq_u32_e32 vcc_lo, 0, v84
	s_delay_alu instid0(VALU_DEP_2) | instskip(NEXT) | instid1(VALU_DEP_1)
	v_cndmask_b32_e64 v85, v10, 0x70, vcc_lo
	v_dual_cndmask_b32 v32, v82, v32, vcc_lo :: v_dual_add_nc_u32 v10, 21, v85
	v_add_nc_u32_e32 v83, 20, v85
	s_delay_alu instid0(VALU_DEP_2) | instskip(NEXT) | instid1(VALU_DEP_2)
	v_lshlrev_b64_e64 v[10:11], v10, -1
	v_lshlrev_b64_e64 v[82:83], v83, 1
	s_delay_alu instid0(VALU_DEP_2) | instskip(NEXT) | instid1(VALU_DEP_3)
	v_bfi_b32 v115, v11, 0, 0
	v_bfi_b32 v114, v10, 0, v32
	v_lshrrev_b64 v[10:11], v85, v[32:33]
	s_delay_alu instid0(VALU_DEP_2) | instskip(NEXT) | instid1(VALU_DEP_2)
	v_cmp_eq_u64_e64 s10, v[114:115], v[82:83]
	v_mov_b64_e32 v[82:83], v[10:11]
	s_and_saveexec_b32 s43, s10
; %bb.3443:                             ;   in Loop: Header=BB2_3151 Depth=2
	v_bfe_u32 v32, v10, 21, 1
	s_delay_alu instid0(VALU_DEP_1) | instskip(NEXT) | instid1(VALU_DEP_1)
	v_add_nc_u64_e32 v[82:83], v[10:11], v[32:33]
	v_add_nc_u64_e32 v[82:83], -1, v[82:83]
; %bb.3444:                             ;   in Loop: Header=BB2_3151 Depth=2
	s_or_b32 exec_lo, exec_lo, s43
	v_add_nc_u32_e32 v11, 0xffffff81, v84
	v_lshrrev_b32_e32 v32, 23, v10
	s_mov_b32 s10, exec_lo
	s_delay_alu instid0(VALU_DEP_2) | instskip(NEXT) | instid1(VALU_DEP_1)
	v_cndmask_b32_e64 v11, v11, 0xffffff82, vcc_lo
	v_add3_u32 v83, v85, v11, v32
	v_and_b32_e32 v11, 0x1fffff, v82
                                        ; implicit-def: $vgpr82
	s_delay_alu instid0(VALU_DEP_1) | instskip(NEXT) | instid1(VALU_DEP_1)
	v_dual_add_nc_u32 v84, 14, v83 :: v_dual_add_nc_u32 v32, v11, v10
                                        ; implicit-def: $vgpr10_vgpr11
	v_cmpx_ne_u32_e32 0, v84
	s_xor_b32 s10, exec_lo, s10
; %bb.3445:                             ;   in Loop: Header=BB2_3151 Depth=2
	s_delay_alu instid0(VALU_DEP_2) | instskip(SKIP_1) | instid1(VALU_DEP_1)
	v_cmp_lt_u64_e32 vcc_lo, 0xffffff, v[32:33]
	v_add_nc_u32_e32 v10, 15, v83
	v_cndmask_b32_e32 v82, v84, v10, vcc_lo
	v_cndmask_b32_e64 v10, 0, 1, vcc_lo
	s_delay_alu instid0(VALU_DEP_1)
	v_lshrrev_b64 v[10:11], v10, v[32:33]
; %bb.3446:                             ;   in Loop: Header=BB2_3151 Depth=2
	s_and_not1_saveexec_b32 s10, s10
; %bb.3447:                             ;   in Loop: Header=BB2_3151 Depth=2
	v_mov_b64_e32 v[10:11], v[32:33]
	v_bfe_u32 v82, v32, 23, 1
; %bb.3448:                             ;   in Loop: Header=BB2_3151 Depth=2
	s_or_b32 exec_lo, exec_lo, s10
	s_delay_alu instid0(VALU_DEP_2) | instskip(NEXT) | instid1(VALU_DEP_2)
	v_lshrrev_b64 v[10:11], 21, v[10:11]
	v_cmp_gt_i32_e32 vcc_lo, 32, v82
	v_min_i32_e32 v32, 31, v82
	v_cmp_eq_u32_e64 s10, 0, v82
	s_delay_alu instid0(VALU_DEP_2) | instskip(SKIP_1) | instid1(VALU_DEP_2)
	v_dual_cndmask_b32 v11, 0, v11 :: v_dual_lshlrev_b32 v32, 2, v32
	v_cndmask_b32_e32 v10, 3, v10, vcc_lo
	v_and_b32_e32 v32, 0xfc, v32
	s_delay_alu instid0(VALU_DEP_2) | instskip(NEXT) | instid1(VALU_DEP_2)
	v_cmp_eq_u64_e32 vcc_lo, 0, v[10:11]
	v_and_or_b32 v10, v10, 3, v32
	s_and_b32 s10, s10, vcc_lo
	s_delay_alu instid0(VALU_DEP_1) | instid1(SALU_CYCLE_1)
	v_cndmask_b32_e64 v10, v10, 0, s10
	s_delay_alu instid0(VALU_DEP_1)
	v_or_b32_e32 v114, v10, v30
.LBB2_3449:                             ;   in Loop: Header=BB2_3151 Depth=2
	s_or_b32 exec_lo, exec_lo, s42
                                        ; implicit-def: $vgpr30
.LBB2_3450:                             ;   in Loop: Header=BB2_3151 Depth=2
	s_and_not1_saveexec_b32 s10, s41
; %bb.3451:                             ;   in Loop: Header=BB2_3151 Depth=2
	v_or_b32_e32 v114, 0x7b, v30
; %bb.3452:                             ;   in Loop: Header=BB2_3151 Depth=2
	s_or_b32 exec_lo, exec_lo, s10
                                        ; implicit-def: $vgpr10
                                        ; implicit-def: $vgpr11
.LBB2_3453:                             ;   in Loop: Header=BB2_3151 Depth=2
	s_and_not1_saveexec_b32 s10, s40
	s_cbranch_execz .LBB2_3459
; %bb.3454:                             ;   in Loop: Header=BB2_3151 Depth=2
	s_mov_b32 s40, exec_lo
                                        ; implicit-def: $vgpr114
	v_cmpx_ne_u64_e32 0, v[32:33]
	s_xor_b32 s40, exec_lo, s40
; %bb.3455:                             ;   in Loop: Header=BB2_3151 Depth=2
	v_or_b32_e32 v114, 0x7f, v11
                                        ; implicit-def: $vgpr10
; %bb.3456:                             ;   in Loop: Header=BB2_3151 Depth=2
	s_and_not1_saveexec_b32 s40, s40
; %bb.3457:                             ;   in Loop: Header=BB2_3151 Depth=2
	v_cmp_lt_i32_e32 vcc_lo, -1, v10
	v_cndmask_b32_e32 v114, 0xfc, v46, vcc_lo
; %bb.3458:                             ;   in Loop: Header=BB2_3151 Depth=2
	s_or_b32 exec_lo, exec_lo, s40
.LBB2_3459:                             ;   in Loop: Header=BB2_3151 Depth=2
	s_delay_alu instid0(SALU_CYCLE_1) | instskip(SKIP_2) | instid1(VALU_DEP_1)
	s_or_b32 exec_lo, exec_lo, s10
	v_dual_mov_b32 v11, 0 :: v_dual_lshrrev_b32 v10, 16, v12
	s_mov_b32 s10, exec_lo
	v_and_b32_e32 v30, 0xff, v10
	s_delay_alu instid0(VALU_DEP_1)
	v_cmpx_ne_u16_e32 0, v30
	s_cbranch_execz .LBB2_3469
; %bb.3460:                             ;   in Loop: Header=BB2_3151 Depth=2
	v_bfrev_b32_e32 v11, 1
	s_mov_b32 s40, exec_lo
	v_cmpx_ne_u16_e32 0x80, v30
	s_cbranch_execz .LBB2_3468
; %bb.3461:                             ;   in Loop: Header=BB2_3151 Depth=2
	v_and_b32_e32 v11, 0x7c0000, v12
	v_bfe_u32 v30, v12, 16, 2
	s_delay_alu instid0(VALU_DEP_2) | instskip(SKIP_1) | instid1(SALU_CYCLE_1)
	v_cmp_ne_u32_e32 vcc_lo, 0x7c0000, v11
                                        ; implicit-def: $vgpr11
	s_and_saveexec_b32 s41, vcc_lo
	s_xor_b32 s41, exec_lo, s41
	s_cbranch_execz .LBB2_3465
; %bb.3462:                             ;   in Loop: Header=BB2_3151 Depth=2
	v_bfe_u32 v11, v12, 18, 5
	s_mov_b32 s42, exec_lo
	s_delay_alu instid0(VALU_DEP_1)
	v_cmpx_eq_u32_e32 0, v11
; %bb.3463:                             ;   in Loop: Header=BB2_3151 Depth=2
	v_clz_i32_u32_e32 v11, v30
	s_delay_alu instid0(VALU_DEP_1) | instskip(NEXT) | instid1(VALU_DEP_1)
	v_min_u32_e32 v11, 32, v11
	v_subrev_nc_u32_e32 v30, 29, v11
	s_delay_alu instid0(VALU_DEP_1) | instskip(NEXT) | instid1(VALU_DEP_1)
	v_lshlrev_b64_e32 v[82:83], v30, v[10:11]
	v_dual_sub_nc_u32 v11, 30, v11 :: v_dual_bitop2_b32 v30, 3, v82 bitop3:0x40
; %bb.3464:                             ;   in Loop: Header=BB2_3151 Depth=2
	s_or_b32 exec_lo, exec_lo, s42
	v_lshlrev_b32_e32 v10, 24, v10
	s_delay_alu instid0(VALU_DEP_1) | instskip(NEXT) | instid1(VALU_DEP_1)
	v_and_b32_e32 v10, 0x80000000, v10
	v_lshl_add_u32 v10, v11, 23, v10
	s_delay_alu instid0(VALU_DEP_1) | instskip(NEXT) | instid1(VALU_DEP_1)
	v_lshl_or_b32 v10, v30, 21, v10
                                        ; implicit-def: $vgpr30
	v_add_nc_u32_e32 v11, 0x38000000, v10
                                        ; implicit-def: $vgpr10
.LBB2_3465:                             ;   in Loop: Header=BB2_3151 Depth=2
	s_and_not1_saveexec_b32 s41, s41
; %bb.3466:                             ;   in Loop: Header=BB2_3151 Depth=2
	v_bfe_i32 v10, v10, 0, 8
	s_delay_alu instid0(VALU_DEP_1) | instskip(SKIP_2) | instid1(VALU_DEP_2)
	v_cmp_lt_i16_e32 vcc_lo, -1, v10
	v_cndmask_b32_e32 v10, 0xff800000, v45, vcc_lo
	v_cmp_eq_u32_e32 vcc_lo, 0, v30
	v_cndmask_b32_e32 v11, 0x7f800001, v10, vcc_lo
; %bb.3467:                             ;   in Loop: Header=BB2_3151 Depth=2
	s_or_b32 exec_lo, exec_lo, s41
.LBB2_3468:                             ;   in Loop: Header=BB2_3151 Depth=2
	s_delay_alu instid0(SALU_CYCLE_1)
	s_or_b32 exec_lo, exec_lo, s40
.LBB2_3469:                             ;   in Loop: Header=BB2_3151 Depth=2
	s_delay_alu instid0(SALU_CYCLE_1) | instskip(NEXT) | instid1(VALU_DEP_1)
	s_or_b32 exec_lo, exec_lo, s10
	v_dual_mul_f32 v10, s29, v11 :: v_dual_mov_b32 v83, v33
                                        ; implicit-def: $vgpr117
	s_mov_b32 s10, exec_lo
	s_delay_alu instid0(VALU_DEP_1) | instskip(SKIP_2) | instid1(VALU_DEP_3)
	v_and_b32_e32 v82, 0x7f800000, v10
	v_and_b32_e32 v32, 0x7fffff, v10
	v_lshrrev_b32_e32 v11, 24, v10
	v_cmpx_ne_u64_e32 0x7f800000, v[82:83]
	s_xor_b32 s40, exec_lo, s10
	s_cbranch_execz .LBB2_3483
; %bb.3470:                             ;   in Loop: Header=BB2_3151 Depth=2
	v_and_b32_e32 v82, 0x7fffffff, v10
	v_mov_b32_e32 v83, v33
	v_and_b32_e32 v30, 0x80, v11
                                        ; implicit-def: $vgpr117
	s_mov_b32 s10, exec_lo
	s_delay_alu instid0(VALU_DEP_2)
	v_cmpx_gt_u64_e32 0x47600001, v[82:83]
	s_xor_b32 s41, exec_lo, s10
	s_cbranch_execz .LBB2_3480
; %bb.3471:                             ;   in Loop: Header=BB2_3151 Depth=2
	v_mov_b32_e32 v117, 0
	s_mov_b32 s42, exec_lo
	v_cmpx_ne_u32_e32 0, v10
	s_cbranch_execz .LBB2_3479
; %bb.3472:                             ;   in Loop: Header=BB2_3151 Depth=2
	v_bfe_u32 v84, v10, 23, 8
	v_or_b32_e32 v82, 0x800000, v32
	s_delay_alu instid0(VALU_DEP_2) | instskip(SKIP_1) | instid1(VALU_DEP_2)
	v_sub_nc_u32_e32 v10, 0x71, v84
	v_cmp_gt_u32_e32 vcc_lo, 0x72, v84
	v_cndmask_b32_e32 v10, 0, v10, vcc_lo
	v_cmp_eq_u32_e32 vcc_lo, 0, v84
	s_delay_alu instid0(VALU_DEP_2) | instskip(NEXT) | instid1(VALU_DEP_1)
	v_cndmask_b32_e64 v85, v10, 0x70, vcc_lo
	v_dual_cndmask_b32 v32, v82, v32, vcc_lo :: v_dual_add_nc_u32 v10, 21, v85
	v_add_nc_u32_e32 v83, 20, v85
	s_delay_alu instid0(VALU_DEP_2) | instskip(NEXT) | instid1(VALU_DEP_2)
	v_lshlrev_b64_e64 v[10:11], v10, -1
	v_lshlrev_b64_e64 v[82:83], v83, 1
	s_delay_alu instid0(VALU_DEP_2) | instskip(NEXT) | instid1(VALU_DEP_3)
	v_bfi_b32 v117, v11, 0, 0
	v_bfi_b32 v116, v10, 0, v32
	v_lshrrev_b64 v[10:11], v85, v[32:33]
	s_delay_alu instid0(VALU_DEP_2) | instskip(NEXT) | instid1(VALU_DEP_2)
	v_cmp_eq_u64_e64 s10, v[116:117], v[82:83]
	v_mov_b64_e32 v[82:83], v[10:11]
	s_and_saveexec_b32 s43, s10
; %bb.3473:                             ;   in Loop: Header=BB2_3151 Depth=2
	v_bfe_u32 v32, v10, 21, 1
	s_delay_alu instid0(VALU_DEP_1) | instskip(NEXT) | instid1(VALU_DEP_1)
	v_add_nc_u64_e32 v[82:83], v[10:11], v[32:33]
	v_add_nc_u64_e32 v[82:83], -1, v[82:83]
; %bb.3474:                             ;   in Loop: Header=BB2_3151 Depth=2
	s_or_b32 exec_lo, exec_lo, s43
	v_add_nc_u32_e32 v11, 0xffffff81, v84
	v_lshrrev_b32_e32 v32, 23, v10
	s_mov_b32 s10, exec_lo
	s_delay_alu instid0(VALU_DEP_2) | instskip(NEXT) | instid1(VALU_DEP_1)
	v_cndmask_b32_e64 v11, v11, 0xffffff82, vcc_lo
	v_add3_u32 v83, v85, v11, v32
	v_and_b32_e32 v11, 0x1fffff, v82
                                        ; implicit-def: $vgpr82
	s_delay_alu instid0(VALU_DEP_1) | instskip(NEXT) | instid1(VALU_DEP_1)
	v_dual_add_nc_u32 v84, 14, v83 :: v_dual_add_nc_u32 v32, v11, v10
                                        ; implicit-def: $vgpr10_vgpr11
	v_cmpx_ne_u32_e32 0, v84
	s_xor_b32 s10, exec_lo, s10
; %bb.3475:                             ;   in Loop: Header=BB2_3151 Depth=2
	s_delay_alu instid0(VALU_DEP_2) | instskip(SKIP_1) | instid1(VALU_DEP_1)
	v_cmp_lt_u64_e32 vcc_lo, 0xffffff, v[32:33]
	v_add_nc_u32_e32 v10, 15, v83
	v_cndmask_b32_e32 v82, v84, v10, vcc_lo
	v_cndmask_b32_e64 v10, 0, 1, vcc_lo
	s_delay_alu instid0(VALU_DEP_1)
	v_lshrrev_b64 v[10:11], v10, v[32:33]
; %bb.3476:                             ;   in Loop: Header=BB2_3151 Depth=2
	s_and_not1_saveexec_b32 s10, s10
; %bb.3477:                             ;   in Loop: Header=BB2_3151 Depth=2
	v_mov_b64_e32 v[10:11], v[32:33]
	v_bfe_u32 v82, v32, 23, 1
; %bb.3478:                             ;   in Loop: Header=BB2_3151 Depth=2
	s_or_b32 exec_lo, exec_lo, s10
	s_delay_alu instid0(VALU_DEP_2) | instskip(NEXT) | instid1(VALU_DEP_2)
	v_lshrrev_b64 v[10:11], 21, v[10:11]
	v_cmp_gt_i32_e32 vcc_lo, 32, v82
	v_min_i32_e32 v32, 31, v82
	v_cmp_eq_u32_e64 s10, 0, v82
	s_delay_alu instid0(VALU_DEP_2) | instskip(SKIP_1) | instid1(VALU_DEP_2)
	v_dual_cndmask_b32 v11, 0, v11 :: v_dual_lshlrev_b32 v32, 2, v32
	v_cndmask_b32_e32 v10, 3, v10, vcc_lo
	v_and_b32_e32 v32, 0xfc, v32
	s_delay_alu instid0(VALU_DEP_2) | instskip(NEXT) | instid1(VALU_DEP_2)
	v_cmp_eq_u64_e32 vcc_lo, 0, v[10:11]
	v_and_or_b32 v10, v10, 3, v32
	s_and_b32 s10, s10, vcc_lo
	s_delay_alu instid0(VALU_DEP_1) | instid1(SALU_CYCLE_1)
	v_cndmask_b32_e64 v10, v10, 0, s10
	s_delay_alu instid0(VALU_DEP_1)
	v_or_b32_e32 v117, v10, v30
.LBB2_3479:                             ;   in Loop: Header=BB2_3151 Depth=2
	s_or_b32 exec_lo, exec_lo, s42
                                        ; implicit-def: $vgpr30
.LBB2_3480:                             ;   in Loop: Header=BB2_3151 Depth=2
	s_and_not1_saveexec_b32 s10, s41
; %bb.3481:                             ;   in Loop: Header=BB2_3151 Depth=2
	v_or_b32_e32 v117, 0x7b, v30
; %bb.3482:                             ;   in Loop: Header=BB2_3151 Depth=2
	s_or_b32 exec_lo, exec_lo, s10
                                        ; implicit-def: $vgpr10
                                        ; implicit-def: $vgpr11
.LBB2_3483:                             ;   in Loop: Header=BB2_3151 Depth=2
	s_and_not1_saveexec_b32 s10, s40
	s_cbranch_execz .LBB2_3489
; %bb.3484:                             ;   in Loop: Header=BB2_3151 Depth=2
	s_mov_b32 s40, exec_lo
                                        ; implicit-def: $vgpr117
	v_cmpx_ne_u64_e32 0, v[32:33]
	s_xor_b32 s40, exec_lo, s40
; %bb.3485:                             ;   in Loop: Header=BB2_3151 Depth=2
	v_or_b32_e32 v117, 0x7f, v11
                                        ; implicit-def: $vgpr10
; %bb.3486:                             ;   in Loop: Header=BB2_3151 Depth=2
	s_and_not1_saveexec_b32 s40, s40
; %bb.3487:                             ;   in Loop: Header=BB2_3151 Depth=2
	v_cmp_lt_i32_e32 vcc_lo, -1, v10
	v_cndmask_b32_e32 v117, 0xfc, v46, vcc_lo
; %bb.3488:                             ;   in Loop: Header=BB2_3151 Depth=2
	s_or_b32 exec_lo, exec_lo, s40
.LBB2_3489:                             ;   in Loop: Header=BB2_3151 Depth=2
	s_delay_alu instid0(SALU_CYCLE_1)
	s_or_b32 exec_lo, exec_lo, s10
	v_mov_b32_e32 v11, 0
	s_mov_b32 s10, exec_lo
	v_cmpx_lt_u32_e32 0xffffff, v12
	s_cbranch_execz .LBB2_3499
; %bb.3490:                             ;   in Loop: Header=BB2_3151 Depth=2
	v_lshrrev_b32_e32 v10, 24, v12
	v_bfrev_b32_e32 v11, 1
	s_mov_b32 s40, exec_lo
	s_delay_alu instid0(VALU_DEP_2)
	v_cmpx_ne_u32_e32 0x80, v10
	s_cbranch_execz .LBB2_3498
; %bb.3491:                             ;   in Loop: Header=BB2_3151 Depth=2
	v_and_b32_e32 v11, 0x7c000000, v12
	v_bfe_u32 v30, v12, 24, 2
	s_delay_alu instid0(VALU_DEP_2) | instskip(SKIP_1) | instid1(SALU_CYCLE_1)
	v_cmp_ne_u32_e32 vcc_lo, 0x7c000000, v11
                                        ; implicit-def: $vgpr11
	s_and_saveexec_b32 s41, vcc_lo
	s_xor_b32 s41, exec_lo, s41
	s_cbranch_execz .LBB2_3495
; %bb.3492:                             ;   in Loop: Header=BB2_3151 Depth=2
	v_bfe_u32 v11, v12, 26, 5
	s_mov_b32 s42, exec_lo
	s_delay_alu instid0(VALU_DEP_1)
	v_cmpx_eq_u32_e32 0, v11
; %bb.3493:                             ;   in Loop: Header=BB2_3151 Depth=2
	v_clz_i32_u32_e32 v11, v30
	s_delay_alu instid0(VALU_DEP_1) | instskip(NEXT) | instid1(VALU_DEP_1)
	v_min_u32_e32 v30, 32, v11
	v_subrev_nc_u32_e32 v11, 29, v30
	s_delay_alu instid0(VALU_DEP_1) | instskip(SKIP_1) | instid1(VALU_DEP_2)
	v_lshlrev_b64_e32 v[10:11], v11, v[10:11]
	v_sub_nc_u32_e32 v11, 30, v30
	v_and_b32_e32 v30, 3, v10
; %bb.3494:                             ;   in Loop: Header=BB2_3151 Depth=2
	s_or_b32 exec_lo, exec_lo, s42
	v_and_b32_e32 v10, 0x80000000, v12
	s_delay_alu instid0(VALU_DEP_1) | instskip(NEXT) | instid1(VALU_DEP_1)
	v_lshl_add_u32 v10, v11, 23, v10
	v_lshl_or_b32 v10, v30, 21, v10
                                        ; implicit-def: $vgpr30
	s_delay_alu instid0(VALU_DEP_1)
	v_add_nc_u32_e32 v11, 0x38000000, v10
.LBB2_3495:                             ;   in Loop: Header=BB2_3151 Depth=2
	s_and_not1_saveexec_b32 s41, s41
; %bb.3496:                             ;   in Loop: Header=BB2_3151 Depth=2
	v_cmp_lt_i32_e32 vcc_lo, -1, v12
	v_cndmask_b32_e32 v10, 0xff800000, v45, vcc_lo
	v_cmp_eq_u32_e32 vcc_lo, 0, v30
	s_delay_alu instid0(VALU_DEP_2)
	v_cndmask_b32_e32 v11, 0x7f800001, v10, vcc_lo
; %bb.3497:                             ;   in Loop: Header=BB2_3151 Depth=2
	s_or_b32 exec_lo, exec_lo, s41
.LBB2_3498:                             ;   in Loop: Header=BB2_3151 Depth=2
	s_delay_alu instid0(SALU_CYCLE_1)
	s_or_b32 exec_lo, exec_lo, s40
.LBB2_3499:                             ;   in Loop: Header=BB2_3151 Depth=2
	s_delay_alu instid0(SALU_CYCLE_1) | instskip(NEXT) | instid1(VALU_DEP_1)
	s_or_b32 exec_lo, exec_lo, s10
	v_dual_mul_f32 v10, s29, v11 :: v_dual_mov_b32 v83, v33
                                        ; implicit-def: $vgpr119
	s_mov_b32 s10, exec_lo
	s_delay_alu instid0(VALU_DEP_1) | instskip(SKIP_2) | instid1(VALU_DEP_3)
	v_and_b32_e32 v82, 0x7f800000, v10
	v_and_b32_e32 v32, 0x7fffff, v10
	v_lshrrev_b32_e32 v11, 24, v10
	v_cmpx_ne_u64_e32 0x7f800000, v[82:83]
	s_xor_b32 s40, exec_lo, s10
	s_cbranch_execz .LBB2_3513
; %bb.3500:                             ;   in Loop: Header=BB2_3151 Depth=2
	v_and_b32_e32 v82, 0x7fffffff, v10
	v_mov_b32_e32 v83, v33
	v_and_b32_e32 v30, 0x80, v11
                                        ; implicit-def: $vgpr119
	s_mov_b32 s10, exec_lo
	s_delay_alu instid0(VALU_DEP_2)
	v_cmpx_gt_u64_e32 0x47600001, v[82:83]
	s_xor_b32 s41, exec_lo, s10
	s_cbranch_execz .LBB2_3510
; %bb.3501:                             ;   in Loop: Header=BB2_3151 Depth=2
	v_mov_b32_e32 v119, 0
	s_mov_b32 s42, exec_lo
	v_cmpx_ne_u32_e32 0, v10
	s_cbranch_execz .LBB2_3509
; %bb.3502:                             ;   in Loop: Header=BB2_3151 Depth=2
	v_bfe_u32 v84, v10, 23, 8
	v_or_b32_e32 v82, 0x800000, v32
	s_delay_alu instid0(VALU_DEP_2) | instskip(SKIP_1) | instid1(VALU_DEP_2)
	v_sub_nc_u32_e32 v10, 0x71, v84
	v_cmp_gt_u32_e32 vcc_lo, 0x72, v84
	v_cndmask_b32_e32 v10, 0, v10, vcc_lo
	v_cmp_eq_u32_e32 vcc_lo, 0, v84
	s_delay_alu instid0(VALU_DEP_2) | instskip(NEXT) | instid1(VALU_DEP_1)
	v_cndmask_b32_e64 v85, v10, 0x70, vcc_lo
	v_dual_cndmask_b32 v32, v82, v32, vcc_lo :: v_dual_add_nc_u32 v10, 21, v85
	v_add_nc_u32_e32 v83, 20, v85
	s_delay_alu instid0(VALU_DEP_2) | instskip(NEXT) | instid1(VALU_DEP_2)
	v_lshlrev_b64_e64 v[10:11], v10, -1
	v_lshlrev_b64_e64 v[82:83], v83, 1
	s_delay_alu instid0(VALU_DEP_2) | instskip(NEXT) | instid1(VALU_DEP_3)
	v_bfi_b32 v59, v11, 0, 0
	v_bfi_b32 v58, v10, 0, v32
	v_lshrrev_b64 v[10:11], v85, v[32:33]
	s_delay_alu instid0(VALU_DEP_2) | instskip(NEXT) | instid1(VALU_DEP_2)
	v_cmp_eq_u64_e64 s10, v[58:59], v[82:83]
	v_mov_b64_e32 v[82:83], v[10:11]
	s_and_saveexec_b32 s43, s10
; %bb.3503:                             ;   in Loop: Header=BB2_3151 Depth=2
	v_bfe_u32 v32, v10, 21, 1
	s_delay_alu instid0(VALU_DEP_1) | instskip(NEXT) | instid1(VALU_DEP_1)
	v_add_nc_u64_e32 v[82:83], v[10:11], v[32:33]
	v_add_nc_u64_e32 v[82:83], -1, v[82:83]
; %bb.3504:                             ;   in Loop: Header=BB2_3151 Depth=2
	s_or_b32 exec_lo, exec_lo, s43
	v_add_nc_u32_e32 v11, 0xffffff81, v84
	v_lshrrev_b32_e32 v32, 23, v10
	s_mov_b32 s10, exec_lo
	s_delay_alu instid0(VALU_DEP_2) | instskip(NEXT) | instid1(VALU_DEP_1)
	v_cndmask_b32_e64 v11, v11, 0xffffff82, vcc_lo
	v_add3_u32 v83, v85, v11, v32
	v_and_b32_e32 v11, 0x1fffff, v82
                                        ; implicit-def: $vgpr82
	s_delay_alu instid0(VALU_DEP_1) | instskip(NEXT) | instid1(VALU_DEP_1)
	v_dual_add_nc_u32 v84, 14, v83 :: v_dual_add_nc_u32 v32, v11, v10
                                        ; implicit-def: $vgpr10_vgpr11
	v_cmpx_ne_u32_e32 0, v84
	s_xor_b32 s10, exec_lo, s10
; %bb.3505:                             ;   in Loop: Header=BB2_3151 Depth=2
	s_delay_alu instid0(VALU_DEP_2) | instskip(SKIP_1) | instid1(VALU_DEP_1)
	v_cmp_lt_u64_e32 vcc_lo, 0xffffff, v[32:33]
	v_add_nc_u32_e32 v10, 15, v83
	v_cndmask_b32_e32 v82, v84, v10, vcc_lo
	v_cndmask_b32_e64 v10, 0, 1, vcc_lo
	s_delay_alu instid0(VALU_DEP_1)
	v_lshrrev_b64 v[10:11], v10, v[32:33]
; %bb.3506:                             ;   in Loop: Header=BB2_3151 Depth=2
	s_and_not1_saveexec_b32 s10, s10
; %bb.3507:                             ;   in Loop: Header=BB2_3151 Depth=2
	v_mov_b64_e32 v[10:11], v[32:33]
	v_bfe_u32 v82, v32, 23, 1
; %bb.3508:                             ;   in Loop: Header=BB2_3151 Depth=2
	s_or_b32 exec_lo, exec_lo, s10
	s_delay_alu instid0(VALU_DEP_2) | instskip(NEXT) | instid1(VALU_DEP_2)
	v_lshrrev_b64 v[10:11], 21, v[10:11]
	v_cmp_gt_i32_e32 vcc_lo, 32, v82
	v_min_i32_e32 v32, 31, v82
	v_cmp_eq_u32_e64 s10, 0, v82
	s_delay_alu instid0(VALU_DEP_2) | instskip(SKIP_1) | instid1(VALU_DEP_2)
	v_dual_cndmask_b32 v11, 0, v11 :: v_dual_lshlrev_b32 v32, 2, v32
	v_cndmask_b32_e32 v10, 3, v10, vcc_lo
	v_and_b32_e32 v32, 0xfc, v32
	s_delay_alu instid0(VALU_DEP_2) | instskip(NEXT) | instid1(VALU_DEP_2)
	v_cmp_eq_u64_e32 vcc_lo, 0, v[10:11]
	v_and_or_b32 v10, v10, 3, v32
	s_and_b32 s10, s10, vcc_lo
	s_delay_alu instid0(VALU_DEP_1) | instid1(SALU_CYCLE_1)
	v_cndmask_b32_e64 v10, v10, 0, s10
	s_delay_alu instid0(VALU_DEP_1)
	v_or_b32_e32 v119, v10, v30
.LBB2_3509:                             ;   in Loop: Header=BB2_3151 Depth=2
	s_or_b32 exec_lo, exec_lo, s42
                                        ; implicit-def: $vgpr30
.LBB2_3510:                             ;   in Loop: Header=BB2_3151 Depth=2
	s_and_not1_saveexec_b32 s10, s41
; %bb.3511:                             ;   in Loop: Header=BB2_3151 Depth=2
	v_or_b32_e32 v119, 0x7b, v30
; %bb.3512:                             ;   in Loop: Header=BB2_3151 Depth=2
	s_or_b32 exec_lo, exec_lo, s10
                                        ; implicit-def: $vgpr10
                                        ; implicit-def: $vgpr11
.LBB2_3513:                             ;   in Loop: Header=BB2_3151 Depth=2
	s_and_not1_saveexec_b32 s10, s40
	s_cbranch_execz .LBB2_3519
; %bb.3514:                             ;   in Loop: Header=BB2_3151 Depth=2
	s_mov_b32 s40, exec_lo
                                        ; implicit-def: $vgpr119
	v_cmpx_ne_u64_e32 0, v[32:33]
	s_xor_b32 s40, exec_lo, s40
; %bb.3515:                             ;   in Loop: Header=BB2_3151 Depth=2
	v_or_b32_e32 v119, 0x7f, v11
                                        ; implicit-def: $vgpr10
; %bb.3516:                             ;   in Loop: Header=BB2_3151 Depth=2
	s_and_not1_saveexec_b32 s40, s40
; %bb.3517:                             ;   in Loop: Header=BB2_3151 Depth=2
	v_cmp_lt_i32_e32 vcc_lo, -1, v10
	v_cndmask_b32_e32 v119, 0xfc, v46, vcc_lo
; %bb.3518:                             ;   in Loop: Header=BB2_3151 Depth=2
	s_or_b32 exec_lo, exec_lo, s40
.LBB2_3519:                             ;   in Loop: Header=BB2_3151 Depth=2
	s_delay_alu instid0(SALU_CYCLE_1) | instskip(SKIP_3) | instid1(VALU_DEP_2)
	s_or_b32 exec_lo, exec_lo, s10
	v_and_b32_e32 v11, 0xff, v13
	v_dual_mov_b32 v32, v13 :: v_dual_mov_b32 v10, 0
	s_mov_b32 s10, exec_lo
	v_cmpx_ne_u16_e32 0, v11
	s_cbranch_execz .LBB2_3529
; %bb.3520:                             ;   in Loop: Header=BB2_3151 Depth=2
	v_bfrev_b32_e32 v10, 1
	s_mov_b32 s40, exec_lo
	v_cmpx_ne_u16_e32 0x80, v11
	s_cbranch_execz .LBB2_3528
; %bb.3521:                             ;   in Loop: Header=BB2_3151 Depth=2
	v_and_b32_e32 v10, 0x7c, v13
	v_and_b32_e32 v11, 3, v13
	s_delay_alu instid0(VALU_DEP_2) | instskip(SKIP_1) | instid1(SALU_CYCLE_1)
	v_cmp_ne_u32_e32 vcc_lo, 0x7c, v10
                                        ; implicit-def: $vgpr10
	s_and_saveexec_b32 s41, vcc_lo
	s_xor_b32 s41, exec_lo, s41
	s_cbranch_execz .LBB2_3525
; %bb.3522:                             ;   in Loop: Header=BB2_3151 Depth=2
	v_bfe_u32 v10, v13, 2, 5
	s_mov_b32 s42, exec_lo
	s_delay_alu instid0(VALU_DEP_1)
	v_cmpx_eq_u32_e32 0, v10
; %bb.3523:                             ;   in Loop: Header=BB2_3151 Depth=2
	v_clz_i32_u32_e32 v10, v11
	s_delay_alu instid0(VALU_DEP_1) | instskip(NEXT) | instid1(VALU_DEP_1)
	v_min_u32_e32 v10, 32, v10
	v_subrev_nc_u32_e32 v11, 29, v10
	v_sub_nc_u32_e32 v10, 30, v10
	s_delay_alu instid0(VALU_DEP_2) | instskip(NEXT) | instid1(VALU_DEP_1)
	v_lshlrev_b64_e32 v[82:83], v11, v[32:33]
	v_and_b32_e32 v11, 3, v82
; %bb.3524:                             ;   in Loop: Header=BB2_3151 Depth=2
	s_or_b32 exec_lo, exec_lo, s42
	v_lshlrev_b32_e32 v30, 24, v13
	s_delay_alu instid0(VALU_DEP_1) | instskip(NEXT) | instid1(VALU_DEP_1)
	v_and_b32_e32 v30, 0x80000000, v30
	v_lshl_add_u32 v10, v10, 23, v30
	s_delay_alu instid0(VALU_DEP_1) | instskip(NEXT) | instid1(VALU_DEP_1)
	v_lshl_or_b32 v10, v11, 21, v10
                                        ; implicit-def: $vgpr11
	v_add_nc_u32_e32 v10, 0x38000000, v10
.LBB2_3525:                             ;   in Loop: Header=BB2_3151 Depth=2
	s_and_not1_saveexec_b32 s41, s41
; %bb.3526:                             ;   in Loop: Header=BB2_3151 Depth=2
	v_bfe_i32 v10, v13, 0, 8
	s_delay_alu instid0(VALU_DEP_1) | instskip(SKIP_2) | instid1(VALU_DEP_2)
	v_cmp_lt_i16_e32 vcc_lo, -1, v10
	v_cndmask_b32_e32 v10, 0xff800000, v45, vcc_lo
	v_cmp_eq_u32_e32 vcc_lo, 0, v11
	v_cndmask_b32_e32 v10, 0x7f800001, v10, vcc_lo
; %bb.3527:                             ;   in Loop: Header=BB2_3151 Depth=2
	s_or_b32 exec_lo, exec_lo, s41
.LBB2_3528:                             ;   in Loop: Header=BB2_3151 Depth=2
	s_delay_alu instid0(SALU_CYCLE_1)
	s_or_b32 exec_lo, exec_lo, s40
.LBB2_3529:                             ;   in Loop: Header=BB2_3151 Depth=2
	s_delay_alu instid0(SALU_CYCLE_1) | instskip(NEXT) | instid1(VALU_DEP_1)
	s_or_b32 exec_lo, exec_lo, s10
	v_dual_mul_f32 v82, s29, v10 :: v_dual_mov_b32 v85, v33
	v_mov_b32_e32 v11, v33
                                        ; implicit-def: $vgpr100
	s_mov_b32 s10, exec_lo
	s_delay_alu instid0(VALU_DEP_2) | instskip(SKIP_2) | instid1(VALU_DEP_3)
	v_and_b32_e32 v84, 0x7f800000, v82
	v_and_b32_e32 v10, 0x7fffff, v82
	v_lshrrev_b32_e32 v30, 24, v82
	v_cmpx_ne_u64_e32 0x7f800000, v[84:85]
	s_xor_b32 s40, exec_lo, s10
	s_cbranch_execz .LBB2_3543
; %bb.3530:                             ;   in Loop: Header=BB2_3151 Depth=2
	v_and_b32_e32 v84, 0x7fffffff, v82
	v_mov_b32_e32 v85, v33
	v_and_b32_e32 v30, 0x80, v30
                                        ; implicit-def: $vgpr100
	s_mov_b32 s10, exec_lo
	s_delay_alu instid0(VALU_DEP_2)
	v_cmpx_gt_u64_e32 0x47600001, v[84:85]
	s_xor_b32 s41, exec_lo, s10
	s_cbranch_execz .LBB2_3540
; %bb.3531:                             ;   in Loop: Header=BB2_3151 Depth=2
	v_mov_b32_e32 v100, 0
	s_mov_b32 s42, exec_lo
	v_cmpx_ne_u32_e32 0, v82
	s_cbranch_execz .LBB2_3539
; %bb.3532:                             ;   in Loop: Header=BB2_3151 Depth=2
	v_bfe_u32 v84, v82, 23, 8
	v_or_b32_e32 v100, 0x800000, v10
	s_delay_alu instid0(VALU_DEP_2) | instskip(SKIP_1) | instid1(VALU_DEP_2)
	v_sub_nc_u32_e32 v82, 0x71, v84
	v_cmp_gt_u32_e32 vcc_lo, 0x72, v84
	v_cndmask_b32_e32 v82, 0, v82, vcc_lo
	v_cmp_eq_u32_e32 vcc_lo, 0, v84
	s_delay_alu instid0(VALU_DEP_2) | instskip(NEXT) | instid1(VALU_DEP_1)
	v_cndmask_b32_e64 v85, v82, 0x70, vcc_lo
	v_dual_cndmask_b32 v10, v100, v10, vcc_lo :: v_dual_add_nc_u32 v82, 21, v85
	v_add_nc_u32_e32 v103, 20, v85
	s_delay_alu instid0(VALU_DEP_2) | instskip(NEXT) | instid1(VALU_DEP_2)
	v_lshlrev_b64_e64 v[82:83], v82, -1
	v_lshlrev_b64_e64 v[58:59], v103, 1
	s_delay_alu instid0(VALU_DEP_2) | instskip(SKIP_1) | instid1(VALU_DEP_4)
	v_bfi_b32 v82, v82, 0, v10
	v_lshrrev_b64 v[10:11], v85, v[10:11]
	v_bfi_b32 v83, v83, 0, 0
	s_delay_alu instid0(VALU_DEP_1) | instskip(NEXT) | instid1(VALU_DEP_3)
	v_cmp_eq_u64_e64 s10, v[82:83], v[58:59]
	v_mov_b64_e32 v[82:83], v[10:11]
	s_and_saveexec_b32 s43, s10
; %bb.3533:                             ;   in Loop: Header=BB2_3151 Depth=2
	v_bfe_u32 v82, v10, 21, 1
	v_mov_b32_e32 v83, v33
	s_delay_alu instid0(VALU_DEP_1) | instskip(NEXT) | instid1(VALU_DEP_1)
	v_add_nc_u64_e32 v[82:83], v[10:11], v[82:83]
	v_add_nc_u64_e32 v[82:83], -1, v[82:83]
; %bb.3534:                             ;   in Loop: Header=BB2_3151 Depth=2
	s_or_b32 exec_lo, exec_lo, s43
	v_add_nc_u32_e32 v11, 0xffffff81, v84
	v_lshrrev_b32_e32 v83, 23, v10
	s_mov_b32 s10, exec_lo
	s_delay_alu instid0(VALU_DEP_2) | instskip(NEXT) | instid1(VALU_DEP_1)
	v_cndmask_b32_e64 v11, v11, 0xffffff82, vcc_lo
	v_add3_u32 v83, v85, v11, v83
	v_and_b32_e32 v11, 0x1fffff, v82
                                        ; implicit-def: $vgpr82
	s_delay_alu instid0(VALU_DEP_1) | instskip(SKIP_1) | instid1(VALU_DEP_2)
	v_dual_add_nc_u32 v84, 14, v83 :: v_dual_add_nc_u32 v10, v11, v10
	v_mov_b32_e32 v11, v33
	v_cmpx_ne_u32_e32 0, v84
	s_xor_b32 s10, exec_lo, s10
; %bb.3535:                             ;   in Loop: Header=BB2_3151 Depth=2
	s_delay_alu instid0(VALU_DEP_2) | instskip(SKIP_2) | instid1(VALU_DEP_2)
	v_cmp_lt_u64_e32 vcc_lo, 0xffffff, v[10:11]
	v_add_nc_u32_e32 v82, 15, v83
	v_cndmask_b32_e64 v83, 0, 1, vcc_lo
	v_cndmask_b32_e32 v82, v84, v82, vcc_lo
	s_delay_alu instid0(VALU_DEP_2)
	v_lshrrev_b64 v[10:11], v83, v[10:11]
; %bb.3536:                             ;   in Loop: Header=BB2_3151 Depth=2
	s_and_not1_saveexec_b32 s10, s10
; %bb.3537:                             ;   in Loop: Header=BB2_3151 Depth=2
	s_delay_alu instid0(VALU_DEP_1)
	v_bfe_u32 v82, v10, 23, 1
; %bb.3538:                             ;   in Loop: Header=BB2_3151 Depth=2
	s_or_b32 exec_lo, exec_lo, s10
	s_delay_alu instid0(VALU_DEP_2) | instskip(NEXT) | instid1(VALU_DEP_2)
	v_lshrrev_b64 v[10:11], 21, v[10:11]
	v_cmp_gt_i32_e32 vcc_lo, 32, v82
	v_min_i32_e32 v83, 31, v82
	v_cmp_eq_u32_e64 s10, 0, v82
	s_delay_alu instid0(VALU_DEP_4) | instskip(NEXT) | instid1(VALU_DEP_3)
	v_cndmask_b32_e32 v11, 0, v11, vcc_lo
	v_dual_cndmask_b32 v10, 3, v10 :: v_dual_lshlrev_b32 v83, 2, v83
	s_delay_alu instid0(VALU_DEP_1) | instskip(NEXT) | instid1(VALU_DEP_2)
	v_and_b32_e32 v83, 0xfc, v83
	v_cmp_eq_u64_e32 vcc_lo, 0, v[10:11]
	s_delay_alu instid0(VALU_DEP_2)
	v_and_or_b32 v10, v10, 3, v83
	s_and_b32 s10, s10, vcc_lo
	s_delay_alu instid0(VALU_DEP_1) | instid1(SALU_CYCLE_1)
	v_cndmask_b32_e64 v10, v10, 0, s10
	s_delay_alu instid0(VALU_DEP_1)
	v_or_b32_e32 v100, v10, v30
.LBB2_3539:                             ;   in Loop: Header=BB2_3151 Depth=2
	s_or_b32 exec_lo, exec_lo, s42
                                        ; implicit-def: $vgpr30
.LBB2_3540:                             ;   in Loop: Header=BB2_3151 Depth=2
	s_and_not1_saveexec_b32 s10, s41
; %bb.3541:                             ;   in Loop: Header=BB2_3151 Depth=2
	v_or_b32_e32 v100, 0x7b, v30
; %bb.3542:                             ;   in Loop: Header=BB2_3151 Depth=2
	s_or_b32 exec_lo, exec_lo, s10
                                        ; implicit-def: $vgpr82
                                        ; implicit-def: $vgpr10_vgpr11
                                        ; implicit-def: $vgpr30
.LBB2_3543:                             ;   in Loop: Header=BB2_3151 Depth=2
	s_and_not1_saveexec_b32 s10, s40
	s_cbranch_execz .LBB2_3549
; %bb.3544:                             ;   in Loop: Header=BB2_3151 Depth=2
	s_mov_b32 s40, exec_lo
                                        ; implicit-def: $vgpr100
	v_cmpx_ne_u64_e32 0, v[10:11]
	s_xor_b32 s40, exec_lo, s40
; %bb.3545:                             ;   in Loop: Header=BB2_3151 Depth=2
	v_or_b32_e32 v100, 0x7f, v30
                                        ; implicit-def: $vgpr82
; %bb.3546:                             ;   in Loop: Header=BB2_3151 Depth=2
	s_and_not1_saveexec_b32 s40, s40
; %bb.3547:                             ;   in Loop: Header=BB2_3151 Depth=2
	v_cmp_lt_i32_e32 vcc_lo, -1, v82
	v_cndmask_b32_e32 v100, 0xfc, v46, vcc_lo
; %bb.3548:                             ;   in Loop: Header=BB2_3151 Depth=2
	s_or_b32 exec_lo, exec_lo, s40
.LBB2_3549:                             ;   in Loop: Header=BB2_3151 Depth=2
	s_delay_alu instid0(SALU_CYCLE_1) | instskip(SKIP_3) | instid1(VALU_DEP_2)
	s_or_b32 exec_lo, exec_lo, s10
	v_lshrrev_b16 v10, 8, v32
	v_mov_b32_e32 v30, 0
	s_mov_b32 s10, exec_lo
	v_cmpx_ne_u16_e32 0, v10
	s_cbranch_execz .LBB2_3559
; %bb.3550:                             ;   in Loop: Header=BB2_3151 Depth=2
	v_bfrev_b32_e32 v30, 1
	s_mov_b32 s40, exec_lo
	v_cmpx_ne_u16_e32 0x80, v10
	s_cbranch_execz .LBB2_3558
; %bb.3551:                             ;   in Loop: Header=BB2_3151 Depth=2
	v_and_b32_e32 v82, 0xffff, v10
	s_delay_alu instid0(VALU_DEP_1) | instskip(SKIP_1) | instid1(VALU_DEP_2)
	v_and_b32_e32 v30, 0x7c, v82
	v_and_b32_e32 v11, 3, v82
	v_cmp_ne_u32_e32 vcc_lo, 0x7c, v30
                                        ; implicit-def: $vgpr30
	s_and_saveexec_b32 s41, vcc_lo
	s_delay_alu instid0(SALU_CYCLE_1)
	s_xor_b32 s41, exec_lo, s41
	s_cbranch_execz .LBB2_3555
; %bb.3552:                             ;   in Loop: Header=BB2_3151 Depth=2
	v_bfe_u32 v30, v82, 2, 5
	s_mov_b32 s42, exec_lo
	s_delay_alu instid0(VALU_DEP_1)
	v_cmpx_eq_u32_e32 0, v30
	s_cbranch_execz .LBB2_3554
; %bb.3553:                             ;   in Loop: Header=BB2_3151 Depth=2
	v_clz_i32_u32_e32 v11, v11
	s_delay_alu instid0(VALU_DEP_1) | instskip(SKIP_1) | instid1(VALU_DEP_2)
	v_min_u32_e32 v30, 32, v11
	v_mov_b32_e32 v11, v33
	v_subrev_nc_u32_e32 v82, 29, v30
	v_sub_nc_u32_e32 v30, 30, v30
	s_delay_alu instid0(VALU_DEP_2) | instskip(NEXT) | instid1(VALU_DEP_1)
	v_lshlrev_b64_e32 v[10:11], v82, v[10:11]
	v_and_b32_e32 v11, 3, v10
.LBB2_3554:                             ;   in Loop: Header=BB2_3151 Depth=2
	s_or_b32 exec_lo, exec_lo, s42
	v_lshlrev_b32_e32 v10, 16, v32
	s_delay_alu instid0(VALU_DEP_1) | instskip(NEXT) | instid1(VALU_DEP_1)
	v_and_b32_e32 v10, 0x80000000, v10
	v_lshl_add_u32 v10, v30, 23, v10
	s_delay_alu instid0(VALU_DEP_1) | instskip(NEXT) | instid1(VALU_DEP_1)
	v_lshl_or_b32 v10, v11, 21, v10
                                        ; implicit-def: $vgpr11
	v_add_nc_u32_e32 v30, 0x38000000, v10
.LBB2_3555:                             ;   in Loop: Header=BB2_3151 Depth=2
	s_and_not1_saveexec_b32 s41, s41
; %bb.3556:                             ;   in Loop: Header=BB2_3151 Depth=2
	v_cmp_lt_i16_e32 vcc_lo, -1, v32
	v_cndmask_b32_e32 v10, 0xff800000, v45, vcc_lo
	v_cmp_eq_u32_e32 vcc_lo, 0, v11
	s_delay_alu instid0(VALU_DEP_2)
	v_cndmask_b32_e32 v30, 0x7f800001, v10, vcc_lo
; %bb.3557:                             ;   in Loop: Header=BB2_3151 Depth=2
	s_or_b32 exec_lo, exec_lo, s41
.LBB2_3558:                             ;   in Loop: Header=BB2_3151 Depth=2
	s_delay_alu instid0(SALU_CYCLE_1)
	s_or_b32 exec_lo, exec_lo, s40
.LBB2_3559:                             ;   in Loop: Header=BB2_3151 Depth=2
	s_delay_alu instid0(SALU_CYCLE_1) | instskip(NEXT) | instid1(VALU_DEP_1)
	s_or_b32 exec_lo, exec_lo, s10
	v_dual_mul_f32 v10, s29, v30 :: v_dual_mov_b32 v83, v33
                                        ; implicit-def: $vgpr103
	s_mov_b32 s10, exec_lo
	s_delay_alu instid0(VALU_DEP_1) | instskip(SKIP_2) | instid1(VALU_DEP_3)
	v_and_b32_e32 v82, 0x7f800000, v10
	v_and_b32_e32 v32, 0x7fffff, v10
	v_lshrrev_b32_e32 v11, 24, v10
	v_cmpx_ne_u64_e32 0x7f800000, v[82:83]
	s_xor_b32 s40, exec_lo, s10
	s_cbranch_execz .LBB2_3573
; %bb.3560:                             ;   in Loop: Header=BB2_3151 Depth=2
	v_and_b32_e32 v82, 0x7fffffff, v10
	v_mov_b32_e32 v83, v33
	v_and_b32_e32 v30, 0x80, v11
                                        ; implicit-def: $vgpr103
	s_mov_b32 s10, exec_lo
	s_delay_alu instid0(VALU_DEP_2)
	v_cmpx_gt_u64_e32 0x47600001, v[82:83]
	s_xor_b32 s41, exec_lo, s10
	s_cbranch_execz .LBB2_3570
; %bb.3561:                             ;   in Loop: Header=BB2_3151 Depth=2
	v_mov_b32_e32 v103, 0
	s_mov_b32 s42, exec_lo
	v_cmpx_ne_u32_e32 0, v10
	s_cbranch_execz .LBB2_3569
; %bb.3562:                             ;   in Loop: Header=BB2_3151 Depth=2
	v_bfe_u32 v84, v10, 23, 8
	v_or_b32_e32 v82, 0x800000, v32
	s_delay_alu instid0(VALU_DEP_2) | instskip(SKIP_1) | instid1(VALU_DEP_2)
	v_sub_nc_u32_e32 v10, 0x71, v84
	v_cmp_gt_u32_e32 vcc_lo, 0x72, v84
	v_cndmask_b32_e32 v10, 0, v10, vcc_lo
	v_cmp_eq_u32_e32 vcc_lo, 0, v84
	s_delay_alu instid0(VALU_DEP_2) | instskip(NEXT) | instid1(VALU_DEP_1)
	v_cndmask_b32_e64 v85, v10, 0x70, vcc_lo
	v_dual_cndmask_b32 v32, v82, v32, vcc_lo :: v_dual_add_nc_u32 v10, 21, v85
	v_add_nc_u32_e32 v83, 20, v85
	s_delay_alu instid0(VALU_DEP_2) | instskip(NEXT) | instid1(VALU_DEP_2)
	v_lshlrev_b64_e64 v[10:11], v10, -1
	v_lshlrev_b64_e64 v[82:83], v83, 1
	s_delay_alu instid0(VALU_DEP_2) | instskip(NEXT) | instid1(VALU_DEP_3)
	v_bfi_b32 v59, v11, 0, 0
	v_bfi_b32 v58, v10, 0, v32
	v_lshrrev_b64 v[10:11], v85, v[32:33]
	s_delay_alu instid0(VALU_DEP_2) | instskip(NEXT) | instid1(VALU_DEP_2)
	v_cmp_eq_u64_e64 s10, v[58:59], v[82:83]
	v_mov_b64_e32 v[82:83], v[10:11]
	s_and_saveexec_b32 s43, s10
; %bb.3563:                             ;   in Loop: Header=BB2_3151 Depth=2
	v_bfe_u32 v32, v10, 21, 1
	s_delay_alu instid0(VALU_DEP_1) | instskip(NEXT) | instid1(VALU_DEP_1)
	v_add_nc_u64_e32 v[82:83], v[10:11], v[32:33]
	v_add_nc_u64_e32 v[82:83], -1, v[82:83]
; %bb.3564:                             ;   in Loop: Header=BB2_3151 Depth=2
	s_or_b32 exec_lo, exec_lo, s43
	v_add_nc_u32_e32 v11, 0xffffff81, v84
	v_lshrrev_b32_e32 v32, 23, v10
	s_mov_b32 s10, exec_lo
	s_delay_alu instid0(VALU_DEP_2) | instskip(NEXT) | instid1(VALU_DEP_1)
	v_cndmask_b32_e64 v11, v11, 0xffffff82, vcc_lo
	v_add3_u32 v83, v85, v11, v32
	v_and_b32_e32 v11, 0x1fffff, v82
                                        ; implicit-def: $vgpr82
	s_delay_alu instid0(VALU_DEP_1) | instskip(NEXT) | instid1(VALU_DEP_1)
	v_dual_add_nc_u32 v84, 14, v83 :: v_dual_add_nc_u32 v32, v11, v10
                                        ; implicit-def: $vgpr10_vgpr11
	v_cmpx_ne_u32_e32 0, v84
	s_xor_b32 s10, exec_lo, s10
; %bb.3565:                             ;   in Loop: Header=BB2_3151 Depth=2
	s_delay_alu instid0(VALU_DEP_2) | instskip(SKIP_1) | instid1(VALU_DEP_1)
	v_cmp_lt_u64_e32 vcc_lo, 0xffffff, v[32:33]
	v_add_nc_u32_e32 v10, 15, v83
	v_cndmask_b32_e32 v82, v84, v10, vcc_lo
	v_cndmask_b32_e64 v10, 0, 1, vcc_lo
	s_delay_alu instid0(VALU_DEP_1)
	v_lshrrev_b64 v[10:11], v10, v[32:33]
; %bb.3566:                             ;   in Loop: Header=BB2_3151 Depth=2
	s_and_not1_saveexec_b32 s10, s10
; %bb.3567:                             ;   in Loop: Header=BB2_3151 Depth=2
	v_mov_b64_e32 v[10:11], v[32:33]
	v_bfe_u32 v82, v32, 23, 1
; %bb.3568:                             ;   in Loop: Header=BB2_3151 Depth=2
	s_or_b32 exec_lo, exec_lo, s10
	s_delay_alu instid0(VALU_DEP_2) | instskip(NEXT) | instid1(VALU_DEP_2)
	v_lshrrev_b64 v[10:11], 21, v[10:11]
	v_cmp_gt_i32_e32 vcc_lo, 32, v82
	v_min_i32_e32 v32, 31, v82
	v_cmp_eq_u32_e64 s10, 0, v82
	s_delay_alu instid0(VALU_DEP_2) | instskip(SKIP_1) | instid1(VALU_DEP_2)
	v_dual_cndmask_b32 v11, 0, v11 :: v_dual_lshlrev_b32 v32, 2, v32
	v_cndmask_b32_e32 v10, 3, v10, vcc_lo
	v_and_b32_e32 v32, 0xfc, v32
	s_delay_alu instid0(VALU_DEP_2) | instskip(NEXT) | instid1(VALU_DEP_2)
	v_cmp_eq_u64_e32 vcc_lo, 0, v[10:11]
	v_and_or_b32 v10, v10, 3, v32
	s_and_b32 s10, s10, vcc_lo
	s_delay_alu instid0(VALU_DEP_1) | instid1(SALU_CYCLE_1)
	v_cndmask_b32_e64 v10, v10, 0, s10
	s_delay_alu instid0(VALU_DEP_1)
	v_or_b32_e32 v103, v10, v30
.LBB2_3569:                             ;   in Loop: Header=BB2_3151 Depth=2
	s_or_b32 exec_lo, exec_lo, s42
                                        ; implicit-def: $vgpr30
.LBB2_3570:                             ;   in Loop: Header=BB2_3151 Depth=2
	s_and_not1_saveexec_b32 s10, s41
; %bb.3571:                             ;   in Loop: Header=BB2_3151 Depth=2
	v_or_b32_e32 v103, 0x7b, v30
; %bb.3572:                             ;   in Loop: Header=BB2_3151 Depth=2
	s_or_b32 exec_lo, exec_lo, s10
                                        ; implicit-def: $vgpr10
                                        ; implicit-def: $vgpr11
.LBB2_3573:                             ;   in Loop: Header=BB2_3151 Depth=2
	s_and_not1_saveexec_b32 s10, s40
	s_cbranch_execz .LBB2_3579
; %bb.3574:                             ;   in Loop: Header=BB2_3151 Depth=2
	s_mov_b32 s40, exec_lo
                                        ; implicit-def: $vgpr103
	v_cmpx_ne_u64_e32 0, v[32:33]
	s_xor_b32 s40, exec_lo, s40
; %bb.3575:                             ;   in Loop: Header=BB2_3151 Depth=2
	v_or_b32_e32 v103, 0x7f, v11
                                        ; implicit-def: $vgpr10
; %bb.3576:                             ;   in Loop: Header=BB2_3151 Depth=2
	s_and_not1_saveexec_b32 s40, s40
; %bb.3577:                             ;   in Loop: Header=BB2_3151 Depth=2
	v_cmp_lt_i32_e32 vcc_lo, -1, v10
	v_cndmask_b32_e32 v103, 0xfc, v46, vcc_lo
; %bb.3578:                             ;   in Loop: Header=BB2_3151 Depth=2
	s_or_b32 exec_lo, exec_lo, s40
.LBB2_3579:                             ;   in Loop: Header=BB2_3151 Depth=2
	s_delay_alu instid0(SALU_CYCLE_1) | instskip(SKIP_2) | instid1(VALU_DEP_1)
	s_or_b32 exec_lo, exec_lo, s10
	v_dual_mov_b32 v11, 0 :: v_dual_lshrrev_b32 v10, 16, v13
	s_mov_b32 s10, exec_lo
	v_and_b32_e32 v30, 0xff, v10
	s_delay_alu instid0(VALU_DEP_1)
	v_cmpx_ne_u16_e32 0, v30
	s_cbranch_execz .LBB2_3589
; %bb.3580:                             ;   in Loop: Header=BB2_3151 Depth=2
	v_bfrev_b32_e32 v11, 1
	s_mov_b32 s40, exec_lo
	v_cmpx_ne_u16_e32 0x80, v30
	s_cbranch_execz .LBB2_3588
; %bb.3581:                             ;   in Loop: Header=BB2_3151 Depth=2
	v_and_b32_e32 v11, 0x7c0000, v13
	v_bfe_u32 v30, v13, 16, 2
	s_delay_alu instid0(VALU_DEP_2) | instskip(SKIP_1) | instid1(SALU_CYCLE_1)
	v_cmp_ne_u32_e32 vcc_lo, 0x7c0000, v11
                                        ; implicit-def: $vgpr11
	s_and_saveexec_b32 s41, vcc_lo
	s_xor_b32 s41, exec_lo, s41
	s_cbranch_execz .LBB2_3585
; %bb.3582:                             ;   in Loop: Header=BB2_3151 Depth=2
	v_bfe_u32 v11, v13, 18, 5
	s_mov_b32 s42, exec_lo
	s_delay_alu instid0(VALU_DEP_1)
	v_cmpx_eq_u32_e32 0, v11
; %bb.3583:                             ;   in Loop: Header=BB2_3151 Depth=2
	v_clz_i32_u32_e32 v11, v30
	s_delay_alu instid0(VALU_DEP_1) | instskip(NEXT) | instid1(VALU_DEP_1)
	v_min_u32_e32 v11, 32, v11
	v_subrev_nc_u32_e32 v30, 29, v11
	s_delay_alu instid0(VALU_DEP_1) | instskip(NEXT) | instid1(VALU_DEP_1)
	v_lshlrev_b64_e32 v[82:83], v30, v[10:11]
	v_dual_sub_nc_u32 v11, 30, v11 :: v_dual_bitop2_b32 v30, 3, v82 bitop3:0x40
; %bb.3584:                             ;   in Loop: Header=BB2_3151 Depth=2
	s_or_b32 exec_lo, exec_lo, s42
	v_lshlrev_b32_e32 v10, 24, v10
	s_delay_alu instid0(VALU_DEP_1) | instskip(NEXT) | instid1(VALU_DEP_1)
	v_and_b32_e32 v10, 0x80000000, v10
	v_lshl_add_u32 v10, v11, 23, v10
	s_delay_alu instid0(VALU_DEP_1) | instskip(NEXT) | instid1(VALU_DEP_1)
	v_lshl_or_b32 v10, v30, 21, v10
                                        ; implicit-def: $vgpr30
	v_add_nc_u32_e32 v11, 0x38000000, v10
                                        ; implicit-def: $vgpr10
.LBB2_3585:                             ;   in Loop: Header=BB2_3151 Depth=2
	s_and_not1_saveexec_b32 s41, s41
; %bb.3586:                             ;   in Loop: Header=BB2_3151 Depth=2
	v_bfe_i32 v10, v10, 0, 8
	s_delay_alu instid0(VALU_DEP_1) | instskip(SKIP_2) | instid1(VALU_DEP_2)
	v_cmp_lt_i16_e32 vcc_lo, -1, v10
	v_cndmask_b32_e32 v10, 0xff800000, v45, vcc_lo
	v_cmp_eq_u32_e32 vcc_lo, 0, v30
	v_cndmask_b32_e32 v11, 0x7f800001, v10, vcc_lo
; %bb.3587:                             ;   in Loop: Header=BB2_3151 Depth=2
	s_or_b32 exec_lo, exec_lo, s41
.LBB2_3588:                             ;   in Loop: Header=BB2_3151 Depth=2
	s_delay_alu instid0(SALU_CYCLE_1)
	s_or_b32 exec_lo, exec_lo, s40
.LBB2_3589:                             ;   in Loop: Header=BB2_3151 Depth=2
	s_delay_alu instid0(SALU_CYCLE_1) | instskip(NEXT) | instid1(VALU_DEP_1)
	s_or_b32 exec_lo, exec_lo, s10
	v_dual_mul_f32 v10, s29, v11 :: v_dual_mov_b32 v83, v33
                                        ; implicit-def: $vgpr113
	s_mov_b32 s10, exec_lo
	s_delay_alu instid0(VALU_DEP_1) | instskip(SKIP_2) | instid1(VALU_DEP_3)
	v_and_b32_e32 v82, 0x7f800000, v10
	v_and_b32_e32 v32, 0x7fffff, v10
	v_lshrrev_b32_e32 v11, 24, v10
	v_cmpx_ne_u64_e32 0x7f800000, v[82:83]
	s_xor_b32 s40, exec_lo, s10
	s_cbranch_execz .LBB2_3603
; %bb.3590:                             ;   in Loop: Header=BB2_3151 Depth=2
	v_and_b32_e32 v82, 0x7fffffff, v10
	v_mov_b32_e32 v83, v33
	v_and_b32_e32 v30, 0x80, v11
                                        ; implicit-def: $vgpr113
	s_mov_b32 s10, exec_lo
	s_delay_alu instid0(VALU_DEP_2)
	v_cmpx_gt_u64_e32 0x47600001, v[82:83]
	s_xor_b32 s41, exec_lo, s10
	s_cbranch_execz .LBB2_3600
; %bb.3591:                             ;   in Loop: Header=BB2_3151 Depth=2
	v_mov_b32_e32 v113, 0
	s_mov_b32 s42, exec_lo
	v_cmpx_ne_u32_e32 0, v10
	s_cbranch_execz .LBB2_3599
; %bb.3592:                             ;   in Loop: Header=BB2_3151 Depth=2
	v_bfe_u32 v84, v10, 23, 8
	v_or_b32_e32 v82, 0x800000, v32
	s_delay_alu instid0(VALU_DEP_2) | instskip(SKIP_1) | instid1(VALU_DEP_2)
	v_sub_nc_u32_e32 v10, 0x71, v84
	v_cmp_gt_u32_e32 vcc_lo, 0x72, v84
	v_cndmask_b32_e32 v10, 0, v10, vcc_lo
	v_cmp_eq_u32_e32 vcc_lo, 0, v84
	s_delay_alu instid0(VALU_DEP_2) | instskip(NEXT) | instid1(VALU_DEP_1)
	v_cndmask_b32_e64 v85, v10, 0x70, vcc_lo
	v_dual_cndmask_b32 v32, v82, v32, vcc_lo :: v_dual_add_nc_u32 v10, 21, v85
	v_add_nc_u32_e32 v83, 20, v85
	s_delay_alu instid0(VALU_DEP_2) | instskip(NEXT) | instid1(VALU_DEP_2)
	v_lshlrev_b64_e64 v[10:11], v10, -1
	v_lshlrev_b64_e64 v[82:83], v83, 1
	s_delay_alu instid0(VALU_DEP_2) | instskip(NEXT) | instid1(VALU_DEP_3)
	v_bfi_b32 v59, v11, 0, 0
	v_bfi_b32 v58, v10, 0, v32
	v_lshrrev_b64 v[10:11], v85, v[32:33]
	s_delay_alu instid0(VALU_DEP_2) | instskip(NEXT) | instid1(VALU_DEP_2)
	v_cmp_eq_u64_e64 s10, v[58:59], v[82:83]
	v_mov_b64_e32 v[82:83], v[10:11]
	s_and_saveexec_b32 s43, s10
; %bb.3593:                             ;   in Loop: Header=BB2_3151 Depth=2
	v_bfe_u32 v32, v10, 21, 1
	s_delay_alu instid0(VALU_DEP_1) | instskip(NEXT) | instid1(VALU_DEP_1)
	v_add_nc_u64_e32 v[82:83], v[10:11], v[32:33]
	v_add_nc_u64_e32 v[82:83], -1, v[82:83]
; %bb.3594:                             ;   in Loop: Header=BB2_3151 Depth=2
	s_or_b32 exec_lo, exec_lo, s43
	v_add_nc_u32_e32 v11, 0xffffff81, v84
	v_lshrrev_b32_e32 v32, 23, v10
	s_mov_b32 s10, exec_lo
	s_delay_alu instid0(VALU_DEP_2) | instskip(NEXT) | instid1(VALU_DEP_1)
	v_cndmask_b32_e64 v11, v11, 0xffffff82, vcc_lo
	v_add3_u32 v83, v85, v11, v32
	v_and_b32_e32 v11, 0x1fffff, v82
                                        ; implicit-def: $vgpr82
	s_delay_alu instid0(VALU_DEP_1) | instskip(NEXT) | instid1(VALU_DEP_1)
	v_dual_add_nc_u32 v84, 14, v83 :: v_dual_add_nc_u32 v32, v11, v10
                                        ; implicit-def: $vgpr10_vgpr11
	v_cmpx_ne_u32_e32 0, v84
	s_xor_b32 s10, exec_lo, s10
; %bb.3595:                             ;   in Loop: Header=BB2_3151 Depth=2
	s_delay_alu instid0(VALU_DEP_2) | instskip(SKIP_1) | instid1(VALU_DEP_1)
	v_cmp_lt_u64_e32 vcc_lo, 0xffffff, v[32:33]
	v_add_nc_u32_e32 v10, 15, v83
	v_cndmask_b32_e32 v82, v84, v10, vcc_lo
	v_cndmask_b32_e64 v10, 0, 1, vcc_lo
	s_delay_alu instid0(VALU_DEP_1)
	v_lshrrev_b64 v[10:11], v10, v[32:33]
; %bb.3596:                             ;   in Loop: Header=BB2_3151 Depth=2
	s_and_not1_saveexec_b32 s10, s10
; %bb.3597:                             ;   in Loop: Header=BB2_3151 Depth=2
	v_mov_b64_e32 v[10:11], v[32:33]
	v_bfe_u32 v82, v32, 23, 1
; %bb.3598:                             ;   in Loop: Header=BB2_3151 Depth=2
	s_or_b32 exec_lo, exec_lo, s10
	s_delay_alu instid0(VALU_DEP_2) | instskip(NEXT) | instid1(VALU_DEP_2)
	v_lshrrev_b64 v[10:11], 21, v[10:11]
	v_cmp_gt_i32_e32 vcc_lo, 32, v82
	v_min_i32_e32 v32, 31, v82
	v_cmp_eq_u32_e64 s10, 0, v82
	s_delay_alu instid0(VALU_DEP_2) | instskip(SKIP_1) | instid1(VALU_DEP_2)
	v_dual_cndmask_b32 v11, 0, v11 :: v_dual_lshlrev_b32 v32, 2, v32
	v_cndmask_b32_e32 v10, 3, v10, vcc_lo
	v_and_b32_e32 v32, 0xfc, v32
	s_delay_alu instid0(VALU_DEP_2) | instskip(NEXT) | instid1(VALU_DEP_2)
	v_cmp_eq_u64_e32 vcc_lo, 0, v[10:11]
	v_and_or_b32 v10, v10, 3, v32
	s_and_b32 s10, s10, vcc_lo
	s_delay_alu instid0(VALU_DEP_1) | instid1(SALU_CYCLE_1)
	v_cndmask_b32_e64 v10, v10, 0, s10
	s_delay_alu instid0(VALU_DEP_1)
	v_or_b32_e32 v113, v10, v30
.LBB2_3599:                             ;   in Loop: Header=BB2_3151 Depth=2
	s_or_b32 exec_lo, exec_lo, s42
                                        ; implicit-def: $vgpr30
.LBB2_3600:                             ;   in Loop: Header=BB2_3151 Depth=2
	s_and_not1_saveexec_b32 s10, s41
; %bb.3601:                             ;   in Loop: Header=BB2_3151 Depth=2
	v_or_b32_e32 v113, 0x7b, v30
; %bb.3602:                             ;   in Loop: Header=BB2_3151 Depth=2
	s_or_b32 exec_lo, exec_lo, s10
                                        ; implicit-def: $vgpr10
                                        ; implicit-def: $vgpr11
.LBB2_3603:                             ;   in Loop: Header=BB2_3151 Depth=2
	s_and_not1_saveexec_b32 s10, s40
	s_cbranch_execz .LBB2_3609
; %bb.3604:                             ;   in Loop: Header=BB2_3151 Depth=2
	s_mov_b32 s40, exec_lo
                                        ; implicit-def: $vgpr113
	v_cmpx_ne_u64_e32 0, v[32:33]
	s_xor_b32 s40, exec_lo, s40
; %bb.3605:                             ;   in Loop: Header=BB2_3151 Depth=2
	v_or_b32_e32 v113, 0x7f, v11
                                        ; implicit-def: $vgpr10
; %bb.3606:                             ;   in Loop: Header=BB2_3151 Depth=2
	s_and_not1_saveexec_b32 s40, s40
; %bb.3607:                             ;   in Loop: Header=BB2_3151 Depth=2
	v_cmp_lt_i32_e32 vcc_lo, -1, v10
	v_cndmask_b32_e32 v113, 0xfc, v46, vcc_lo
; %bb.3608:                             ;   in Loop: Header=BB2_3151 Depth=2
	s_or_b32 exec_lo, exec_lo, s40
.LBB2_3609:                             ;   in Loop: Header=BB2_3151 Depth=2
	s_delay_alu instid0(SALU_CYCLE_1)
	s_or_b32 exec_lo, exec_lo, s10
	v_mov_b32_e32 v11, 0
	s_mov_b32 s10, exec_lo
	v_cmpx_lt_u64_e64 s[12:13], v[12:13]
	s_cbranch_execz .LBB2_3619
; %bb.3610:                             ;   in Loop: Header=BB2_3151 Depth=2
	v_lshrrev_b32_e32 v10, 24, v13
	v_bfrev_b32_e32 v11, 1
	s_mov_b32 s40, exec_lo
	s_delay_alu instid0(VALU_DEP_2)
	v_cmpx_ne_u32_e32 0x80, v10
	s_cbranch_execz .LBB2_3618
; %bb.3611:                             ;   in Loop: Header=BB2_3151 Depth=2
	v_and_b32_e32 v11, 0x7c000000, v13
	v_bfe_u32 v30, v13, 24, 2
	s_delay_alu instid0(VALU_DEP_2) | instskip(SKIP_1) | instid1(SALU_CYCLE_1)
	v_cmp_ne_u32_e32 vcc_lo, 0x7c000000, v11
                                        ; implicit-def: $vgpr11
	s_and_saveexec_b32 s41, vcc_lo
	s_xor_b32 s41, exec_lo, s41
	s_cbranch_execz .LBB2_3615
; %bb.3612:                             ;   in Loop: Header=BB2_3151 Depth=2
	v_bfe_u32 v11, v13, 26, 5
	s_mov_b32 s42, exec_lo
	s_delay_alu instid0(VALU_DEP_1)
	v_cmpx_eq_u32_e32 0, v11
; %bb.3613:                             ;   in Loop: Header=BB2_3151 Depth=2
	v_clz_i32_u32_e32 v11, v30
	s_delay_alu instid0(VALU_DEP_1) | instskip(NEXT) | instid1(VALU_DEP_1)
	v_min_u32_e32 v12, 32, v11
	v_subrev_nc_u32_e32 v11, 29, v12
	s_delay_alu instid0(VALU_DEP_1) | instskip(NEXT) | instid1(VALU_DEP_1)
	v_lshlrev_b64_e32 v[10:11], v11, v[10:11]
	v_dual_sub_nc_u32 v11, 30, v12 :: v_dual_bitop2_b32 v30, 3, v10 bitop3:0x40
; %bb.3614:                             ;   in Loop: Header=BB2_3151 Depth=2
	s_or_b32 exec_lo, exec_lo, s42
	v_and_b32_e32 v10, 0x80000000, v13
                                        ; implicit-def: $vgpr12_vgpr13
	s_delay_alu instid0(VALU_DEP_1) | instskip(NEXT) | instid1(VALU_DEP_1)
	v_lshl_add_u32 v10, v11, 23, v10
	v_lshl_or_b32 v10, v30, 21, v10
                                        ; implicit-def: $vgpr30
	s_delay_alu instid0(VALU_DEP_1)
	v_add_nc_u32_e32 v11, 0x38000000, v10
.LBB2_3615:                             ;   in Loop: Header=BB2_3151 Depth=2
	s_and_not1_saveexec_b32 s41, s41
; %bb.3616:                             ;   in Loop: Header=BB2_3151 Depth=2
	v_cmp_lt_i64_e32 vcc_lo, -1, v[12:13]
	v_cndmask_b32_e32 v10, 0xff800000, v45, vcc_lo
	v_cmp_eq_u32_e32 vcc_lo, 0, v30
	s_delay_alu instid0(VALU_DEP_2)
	v_cndmask_b32_e32 v11, 0x7f800001, v10, vcc_lo
; %bb.3617:                             ;   in Loop: Header=BB2_3151 Depth=2
	s_or_b32 exec_lo, exec_lo, s41
.LBB2_3618:                             ;   in Loop: Header=BB2_3151 Depth=2
	s_delay_alu instid0(SALU_CYCLE_1)
	s_or_b32 exec_lo, exec_lo, s40
.LBB2_3619:                             ;   in Loop: Header=BB2_3151 Depth=2
	s_delay_alu instid0(SALU_CYCLE_1) | instskip(NEXT) | instid1(VALU_DEP_1)
	s_or_b32 exec_lo, exec_lo, s10
	v_dual_mul_f32 v10, s29, v11 :: v_dual_mov_b32 v13, v33
                                        ; implicit-def: $vgpr116
	s_mov_b32 s10, exec_lo
	s_delay_alu instid0(VALU_DEP_1) | instskip(SKIP_2) | instid1(VALU_DEP_3)
	v_and_b32_e32 v12, 0x7f800000, v10
	v_and_b32_e32 v32, 0x7fffff, v10
	v_lshrrev_b32_e32 v11, 24, v10
	v_cmpx_ne_u64_e32 0x7f800000, v[12:13]
	s_xor_b32 s29, exec_lo, s10
	s_cbranch_execz .LBB2_3633
; %bb.3620:                             ;   in Loop: Header=BB2_3151 Depth=2
	v_and_b32_e32 v12, 0x7fffffff, v10
	v_mov_b32_e32 v13, v33
	v_and_b32_e32 v30, 0x80, v11
                                        ; implicit-def: $vgpr116
	s_mov_b32 s10, exec_lo
	s_delay_alu instid0(VALU_DEP_2)
	v_cmpx_gt_u64_e32 0x47600001, v[12:13]
	s_xor_b32 s40, exec_lo, s10
	s_cbranch_execz .LBB2_3630
; %bb.3621:                             ;   in Loop: Header=BB2_3151 Depth=2
	v_mov_b32_e32 v116, 0
	s_mov_b32 s41, exec_lo
	v_cmpx_ne_u32_e32 0, v10
	s_cbranch_execz .LBB2_3629
; %bb.3622:                             ;   in Loop: Header=BB2_3151 Depth=2
	v_bfe_u32 v82, v10, 23, 8
	v_or_b32_e32 v12, 0x800000, v32
	s_delay_alu instid0(VALU_DEP_2) | instskip(SKIP_1) | instid1(VALU_DEP_2)
	v_sub_nc_u32_e32 v10, 0x71, v82
	v_cmp_gt_u32_e32 vcc_lo, 0x72, v82
	v_cndmask_b32_e32 v10, 0, v10, vcc_lo
	v_cmp_eq_u32_e32 vcc_lo, 0, v82
	s_delay_alu instid0(VALU_DEP_2) | instskip(NEXT) | instid1(VALU_DEP_1)
	v_cndmask_b32_e64 v83, v10, 0x70, vcc_lo
	v_dual_cndmask_b32 v32, v12, v32, vcc_lo :: v_dual_add_nc_u32 v10, 21, v83
	v_add_nc_u32_e32 v13, 20, v83
	s_delay_alu instid0(VALU_DEP_2) | instskip(NEXT) | instid1(VALU_DEP_2)
	v_lshlrev_b64_e64 v[10:11], v10, -1
	v_lshlrev_b64_e64 v[12:13], v13, 1
	s_delay_alu instid0(VALU_DEP_2) | instskip(NEXT) | instid1(VALU_DEP_3)
	v_bfi_b32 v85, v11, 0, 0
	v_bfi_b32 v84, v10, 0, v32
	v_lshrrev_b64 v[10:11], v83, v[32:33]
	s_delay_alu instid0(VALU_DEP_2) | instskip(NEXT) | instid1(VALU_DEP_2)
	v_cmp_eq_u64_e64 s10, v[84:85], v[12:13]
	v_mov_b64_e32 v[12:13], v[10:11]
	s_and_saveexec_b32 s42, s10
; %bb.3623:                             ;   in Loop: Header=BB2_3151 Depth=2
	v_bfe_u32 v32, v10, 21, 1
	s_delay_alu instid0(VALU_DEP_1) | instskip(NEXT) | instid1(VALU_DEP_1)
	v_add_nc_u64_e32 v[12:13], v[10:11], v[32:33]
	v_add_nc_u64_e32 v[12:13], -1, v[12:13]
; %bb.3624:                             ;   in Loop: Header=BB2_3151 Depth=2
	s_or_b32 exec_lo, exec_lo, s42
	v_add_nc_u32_e32 v11, 0xffffff81, v82
	v_lshrrev_b32_e32 v13, 23, v10
	s_mov_b32 s10, exec_lo
	s_delay_alu instid0(VALU_DEP_2) | instskip(NEXT) | instid1(VALU_DEP_1)
	v_cndmask_b32_e64 v11, v11, 0xffffff82, vcc_lo
	v_add3_u32 v13, v83, v11, v13
	v_and_b32_e32 v11, 0x1fffff, v12
                                        ; implicit-def: $vgpr12
	s_delay_alu instid0(VALU_DEP_1) | instskip(NEXT) | instid1(VALU_DEP_1)
	v_dual_add_nc_u32 v82, 14, v13 :: v_dual_add_nc_u32 v32, v11, v10
                                        ; implicit-def: $vgpr10_vgpr11
	v_cmpx_ne_u32_e32 0, v82
	s_xor_b32 s10, exec_lo, s10
; %bb.3625:                             ;   in Loop: Header=BB2_3151 Depth=2
	s_delay_alu instid0(VALU_DEP_2) | instskip(SKIP_1) | instid1(VALU_DEP_1)
	v_cmp_lt_u64_e32 vcc_lo, 0xffffff, v[32:33]
	v_add_nc_u32_e32 v10, 15, v13
	v_cndmask_b32_e32 v12, v82, v10, vcc_lo
	v_cndmask_b32_e64 v10, 0, 1, vcc_lo
	s_delay_alu instid0(VALU_DEP_1)
	v_lshrrev_b64 v[10:11], v10, v[32:33]
; %bb.3626:                             ;   in Loop: Header=BB2_3151 Depth=2
	s_and_not1_saveexec_b32 s10, s10
; %bb.3627:                             ;   in Loop: Header=BB2_3151 Depth=2
	v_mov_b64_e32 v[10:11], v[32:33]
	v_bfe_u32 v12, v32, 23, 1
; %bb.3628:                             ;   in Loop: Header=BB2_3151 Depth=2
	s_or_b32 exec_lo, exec_lo, s10
	s_delay_alu instid0(VALU_DEP_2) | instskip(NEXT) | instid1(VALU_DEP_2)
	v_lshrrev_b64 v[10:11], 21, v[10:11]
	v_cmp_gt_i32_e32 vcc_lo, 32, v12
	v_min_i32_e32 v13, 31, v12
	v_cmp_eq_u32_e64 s10, 0, v12
	s_delay_alu instid0(VALU_DEP_2) | instskip(SKIP_1) | instid1(VALU_DEP_2)
	v_dual_cndmask_b32 v11, 0, v11, vcc_lo :: v_dual_lshlrev_b32 v13, 2, v13
	v_cndmask_b32_e32 v10, 3, v10, vcc_lo
	v_and_b32_e32 v13, 0xfc, v13
	s_delay_alu instid0(VALU_DEP_2) | instskip(NEXT) | instid1(VALU_DEP_2)
	v_cmp_eq_u64_e32 vcc_lo, 0, v[10:11]
	v_and_or_b32 v10, v10, 3, v13
	s_and_b32 s10, s10, vcc_lo
	s_delay_alu instid0(VALU_DEP_1) | instid1(SALU_CYCLE_1)
	v_cndmask_b32_e64 v10, v10, 0, s10
	s_delay_alu instid0(VALU_DEP_1)
	v_or_b32_e32 v116, v10, v30
.LBB2_3629:                             ;   in Loop: Header=BB2_3151 Depth=2
	s_or_b32 exec_lo, exec_lo, s41
                                        ; implicit-def: $vgpr30
.LBB2_3630:                             ;   in Loop: Header=BB2_3151 Depth=2
	s_and_not1_saveexec_b32 s10, s40
; %bb.3631:                             ;   in Loop: Header=BB2_3151 Depth=2
	v_or_b32_e32 v116, 0x7b, v30
; %bb.3632:                             ;   in Loop: Header=BB2_3151 Depth=2
	s_or_b32 exec_lo, exec_lo, s10
                                        ; implicit-def: $vgpr10
                                        ; implicit-def: $vgpr11
.LBB2_3633:                             ;   in Loop: Header=BB2_3151 Depth=2
	s_and_not1_saveexec_b32 s10, s29
	s_cbranch_execz .LBB2_3639
; %bb.3634:                             ;   in Loop: Header=BB2_3151 Depth=2
	s_mov_b32 s29, exec_lo
                                        ; implicit-def: $vgpr116
	v_cmpx_ne_u64_e32 0, v[32:33]
	s_xor_b32 s29, exec_lo, s29
; %bb.3635:                             ;   in Loop: Header=BB2_3151 Depth=2
	v_or_b32_e32 v116, 0x7f, v11
                                        ; implicit-def: $vgpr10
; %bb.3636:                             ;   in Loop: Header=BB2_3151 Depth=2
	s_and_not1_saveexec_b32 s29, s29
; %bb.3637:                             ;   in Loop: Header=BB2_3151 Depth=2
	v_cmp_lt_i32_e32 vcc_lo, -1, v10
	v_cndmask_b32_e32 v116, 0xfc, v46, vcc_lo
; %bb.3638:                             ;   in Loop: Header=BB2_3151 Depth=2
	s_or_b32 exec_lo, exec_lo, s29
.LBB2_3639:                             ;   in Loop: Header=BB2_3151 Depth=2
	s_delay_alu instid0(SALU_CYCLE_1) | instskip(SKIP_4) | instid1(VALU_DEP_1)
	s_or_b32 exec_lo, exec_lo, s10
	global_load_b128 v[10:13], v[80:81], off th:TH_LOAD_NT
	v_lshl_or_b32 v30, v99, 8, v87
	v_dual_lshlrev_b32 v32, 16, v101 :: v_dual_lshlrev_b32 v82, 24, v112
	s_mov_b32 s10, exec_lo
	v_or3_b32 v32, v32, v82, v30
	v_mov_b32_e32 v82, 0
	s_wait_xcnt 0x0
	v_cmpx_ne_u32_e32 0, v87
	s_cbranch_execz .LBB2_3649
; %bb.3640:                             ;   in Loop: Header=BB2_3151 Depth=2
	v_bfrev_b32_e32 v82, 1
	s_mov_b32 s29, exec_lo
	v_cmpx_ne_u32_e32 0x80, v87
	s_cbranch_execz .LBB2_3648
; %bb.3641:                             ;   in Loop: Header=BB2_3151 Depth=2
	v_and_b32_e32 v82, 0x7c, v87
	v_and_b32_e32 v83, 3, v87
	s_delay_alu instid0(VALU_DEP_2) | instskip(SKIP_1) | instid1(SALU_CYCLE_1)
	v_cmp_ne_u32_e32 vcc_lo, 0x7c, v82
                                        ; implicit-def: $vgpr82
	s_and_saveexec_b32 s40, vcc_lo
	s_xor_b32 s40, exec_lo, s40
	s_cbranch_execz .LBB2_3645
; %bb.3642:                             ;   in Loop: Header=BB2_3151 Depth=2
	v_bfe_u32 v82, v87, 2, 5
	s_mov_b32 s41, exec_lo
	s_delay_alu instid0(VALU_DEP_1)
	v_cmpx_eq_u32_e32 0, v82
; %bb.3643:                             ;   in Loop: Header=BB2_3151 Depth=2
	v_clz_i32_u32_e32 v82, v83
	s_delay_alu instid0(VALU_DEP_1) | instskip(NEXT) | instid1(VALU_DEP_1)
	v_min_u32_e32 v82, 32, v82
	v_subrev_nc_u32_e32 v83, 29, v82
	s_delay_alu instid0(VALU_DEP_1) | instskip(NEXT) | instid1(VALU_DEP_1)
	v_lshlrev_b64_e32 v[84:85], v83, v[32:33]
	v_dual_sub_nc_u32 v82, 30, v82 :: v_dual_bitop2_b32 v83, 3, v84 bitop3:0x40
; %bb.3644:                             ;   in Loop: Header=BB2_3151 Depth=2
	s_or_b32 exec_lo, exec_lo, s41
	v_lshlrev_b32_e32 v84, 24, v87
                                        ; implicit-def: $vgpr87
	s_delay_alu instid0(VALU_DEP_1) | instskip(NEXT) | instid1(VALU_DEP_1)
	v_and_b32_e32 v84, 0x80000000, v84
	v_lshl_add_u32 v82, v82, 23, v84
	s_delay_alu instid0(VALU_DEP_1) | instskip(NEXT) | instid1(VALU_DEP_1)
	v_lshl_or_b32 v82, v83, 21, v82
                                        ; implicit-def: $vgpr83
	v_add_nc_u32_e32 v82, 0x38000000, v82
.LBB2_3645:                             ;   in Loop: Header=BB2_3151 Depth=2
	s_and_not1_saveexec_b32 s40, s40
; %bb.3646:                             ;   in Loop: Header=BB2_3151 Depth=2
	v_and_b32_e32 v82, 0x80, v87
	s_delay_alu instid0(VALU_DEP_1) | instskip(SKIP_2) | instid1(VALU_DEP_2)
	v_cmp_eq_u32_e32 vcc_lo, 0, v82
	v_cndmask_b32_e32 v82, 0xff800000, v45, vcc_lo
	v_cmp_eq_u32_e32 vcc_lo, 0, v83
	v_cndmask_b32_e32 v82, 0x7f800001, v82, vcc_lo
; %bb.3647:                             ;   in Loop: Header=BB2_3151 Depth=2
	s_or_b32 exec_lo, exec_lo, s40
.LBB2_3648:                             ;   in Loop: Header=BB2_3151 Depth=2
	s_delay_alu instid0(SALU_CYCLE_1)
	s_or_b32 exec_lo, exec_lo, s29
.LBB2_3649:                             ;   in Loop: Header=BB2_3151 Depth=2
	s_delay_alu instid0(SALU_CYCLE_1) | instskip(SKIP_4) | instid1(VALU_DEP_1)
	s_or_b32 exec_lo, exec_lo, s10
	s_wait_loadcnt 0x0
	v_and_b32_e32 v84, 0xff, v10
	s_mov_b32 s29, 0
	s_mov_b32 s10, exec_lo
	v_cmpx_lt_i16_e32 0x7f, v84
	s_xor_b32 s10, exec_lo, s10
	s_cbranch_execnz .LBB2_4166
; %bb.3650:                             ;   in Loop: Header=BB2_3151 Depth=2
	s_or_saveexec_b32 s10, s10
	v_bfrev_b32_e32 v83, 1
	s_xor_b32 exec_lo, exec_lo, s10
	s_cbranch_execnz .LBB2_4169
.LBB2_3651:                             ;   in Loop: Header=BB2_3151 Depth=2
	s_or_b32 exec_lo, exec_lo, s10
	s_and_saveexec_b32 s10, s29
	s_cbranch_execz .LBB2_3653
.LBB2_3652:                             ;   in Loop: Header=BB2_3151 Depth=2
	v_and_b32_e32 v83, 3, v10
	v_bfe_u32 v99, v10, 2, 5
	s_delay_alu instid0(VALU_DEP_2) | instskip(NEXT) | instid1(VALU_DEP_2)
	v_clz_i32_u32_e32 v84, v83
	v_cmp_eq_u32_e32 vcc_lo, 0, v99
	s_delay_alu instid0(VALU_DEP_2) | instskip(NEXT) | instid1(VALU_DEP_1)
	v_min_u32_e32 v87, 32, v84
	v_subrev_nc_u32_e32 v84, 29, v87
	s_delay_alu instid0(VALU_DEP_1) | instskip(SKIP_1) | instid1(VALU_DEP_1)
	v_lshlrev_b64_e32 v[84:85], v84, v[10:11]
	v_dual_lshlrev_b32 v85, 24, v10 :: v_dual_sub_nc_u32 v87, 30, v87
	v_and_b32_e32 v85, 0x80000000, v85
	s_delay_alu instid0(VALU_DEP_2) | instskip(SKIP_1) | instid1(VALU_DEP_2)
	v_dual_cndmask_b32 v87, v99, v87, vcc_lo :: v_dual_bitop2_b32 v84, 3, v84 bitop3:0x40
	v_bfe_i32 v99, v10, 0, 8
	v_cndmask_b32_e32 v84, v83, v84, vcc_lo
	s_delay_alu instid0(VALU_DEP_3) | instskip(NEXT) | instid1(VALU_DEP_3)
	v_lshl_add_u32 v85, v87, 23, v85
	v_cmp_lt_i16_e32 vcc_lo, -1, v99
	s_delay_alu instid0(VALU_DEP_2) | instskip(SKIP_3) | instid1(VALU_DEP_4)
	v_lshl_or_b32 v84, v84, 21, v85
	v_cndmask_b32_e32 v87, 0xff800000, v45, vcc_lo
	v_and_b32_e32 v85, 0x7c, v10
	v_cmp_eq_u32_e32 vcc_lo, 0, v83
	v_add_nc_u32_e32 v84, 0x38000000, v84
	s_delay_alu instid0(VALU_DEP_4) | instskip(NEXT) | instid1(VALU_DEP_4)
	v_cndmask_b32_e32 v83, 0x7f800001, v87, vcc_lo
	v_cmp_eq_u32_e32 vcc_lo, 0x7c, v85
	s_delay_alu instid0(VALU_DEP_2)
	v_cndmask_b32_e32 v83, v84, v83, vcc_lo
.LBB2_3653:                             ;   in Loop: Header=BB2_3151 Depth=2
	s_or_b32 exec_lo, exec_lo, s10
	s_delay_alu instid0(VALU_DEP_1) | instskip(SKIP_2) | instid1(VALU_DEP_2)
	v_dual_add_f32 v84, v82, v83 :: v_dual_mov_b32 v59, v33
	v_mov_b32_e32 v83, v33
                                        ; implicit-def: $vgpr99
	s_mov_b32 s10, exec_lo
	v_and_b32_e32 v58, 0x7f800000, v84
	v_and_b32_e32 v82, 0x7fffff, v84
	v_lshrrev_b32_e32 v85, 24, v84
	s_delay_alu instid0(VALU_DEP_3)
	v_cmpx_ne_u64_e32 0x7f800000, v[58:59]
	s_xor_b32 s29, exec_lo, s10
	s_cbranch_execz .LBB2_3667
; %bb.3654:                             ;   in Loop: Header=BB2_3151 Depth=2
	v_and_b32_e32 v58, 0x7fffffff, v84
	v_mov_b32_e32 v59, v33
	v_and_b32_e32 v87, 0x80, v85
                                        ; implicit-def: $vgpr99
	s_mov_b32 s10, exec_lo
	s_delay_alu instid0(VALU_DEP_2)
	v_cmpx_gt_u64_e32 0x47600001, v[58:59]
	s_xor_b32 s40, exec_lo, s10
	s_cbranch_execz .LBB2_3664
; %bb.3655:                             ;   in Loop: Header=BB2_3151 Depth=2
	v_mov_b32_e32 v99, 0
	s_mov_b32 s41, exec_lo
	v_cmpx_ne_u32_e32 0, v84
	s_cbranch_execz .LBB2_3663
; %bb.3656:                             ;   in Loop: Header=BB2_3151 Depth=2
	v_bfe_u32 v99, v84, 23, 8
	v_or_b32_e32 v112, 0x800000, v82
	s_delay_alu instid0(VALU_DEP_2) | instskip(SKIP_1) | instid1(VALU_DEP_2)
	v_sub_nc_u32_e32 v84, 0x71, v99
	v_cmp_gt_u32_e32 vcc_lo, 0x72, v99
	v_cndmask_b32_e32 v84, 0, v84, vcc_lo
	v_cmp_eq_u32_e32 vcc_lo, 0, v99
	s_delay_alu instid0(VALU_DEP_2) | instskip(NEXT) | instid1(VALU_DEP_1)
	v_cndmask_b32_e64 v101, v84, 0x70, vcc_lo
	v_dual_cndmask_b32 v82, v112, v82, vcc_lo :: v_dual_add_nc_u32 v84, 21, v101
	v_add_nc_u32_e32 v115, 20, v101
	s_delay_alu instid0(VALU_DEP_2) | instskip(NEXT) | instid1(VALU_DEP_2)
	v_lshlrev_b64_e64 v[84:85], v84, -1
	v_lshlrev_b64_e64 v[58:59], v115, 1
	s_delay_alu instid0(VALU_DEP_2) | instskip(SKIP_1) | instid1(VALU_DEP_4)
	v_bfi_b32 v84, v84, 0, v82
	v_lshrrev_b64 v[82:83], v101, v[82:83]
	v_bfi_b32 v85, v85, 0, 0
	s_delay_alu instid0(VALU_DEP_1) | instskip(NEXT) | instid1(VALU_DEP_3)
	v_cmp_eq_u64_e64 s10, v[84:85], v[58:59]
	v_mov_b64_e32 v[84:85], v[82:83]
	s_and_saveexec_b32 s42, s10
; %bb.3657:                             ;   in Loop: Header=BB2_3151 Depth=2
	v_bfe_u32 v84, v82, 21, 1
	v_mov_b32_e32 v85, v33
	s_delay_alu instid0(VALU_DEP_1) | instskip(NEXT) | instid1(VALU_DEP_1)
	v_add_nc_u64_e32 v[84:85], v[82:83], v[84:85]
	v_add_nc_u64_e32 v[84:85], -1, v[84:85]
; %bb.3658:                             ;   in Loop: Header=BB2_3151 Depth=2
	s_or_b32 exec_lo, exec_lo, s42
	v_add_nc_u32_e32 v83, 0xffffff81, v99
	v_lshrrev_b32_e32 v85, 23, v82
	s_mov_b32 s10, exec_lo
	s_delay_alu instid0(VALU_DEP_2) | instskip(NEXT) | instid1(VALU_DEP_1)
	v_cndmask_b32_e64 v83, v83, 0xffffff82, vcc_lo
	v_add3_u32 v85, v101, v83, v85
	v_and_b32_e32 v83, 0x1fffff, v84
                                        ; implicit-def: $vgpr84
	s_delay_alu instid0(VALU_DEP_1) | instskip(SKIP_1) | instid1(VALU_DEP_2)
	v_dual_add_nc_u32 v99, 14, v85 :: v_dual_add_nc_u32 v82, v83, v82
	v_mov_b32_e32 v83, v33
	v_cmpx_ne_u32_e32 0, v99
	s_xor_b32 s10, exec_lo, s10
; %bb.3659:                             ;   in Loop: Header=BB2_3151 Depth=2
	s_delay_alu instid0(VALU_DEP_2) | instskip(SKIP_2) | instid1(VALU_DEP_2)
	v_cmp_lt_u64_e32 vcc_lo, 0xffffff, v[82:83]
	v_add_nc_u32_e32 v84, 15, v85
	v_cndmask_b32_e64 v85, 0, 1, vcc_lo
	v_cndmask_b32_e32 v84, v99, v84, vcc_lo
	s_delay_alu instid0(VALU_DEP_2)
	v_lshrrev_b64 v[82:83], v85, v[82:83]
; %bb.3660:                             ;   in Loop: Header=BB2_3151 Depth=2
	s_and_not1_saveexec_b32 s10, s10
; %bb.3661:                             ;   in Loop: Header=BB2_3151 Depth=2
	s_delay_alu instid0(VALU_DEP_1)
	v_bfe_u32 v84, v82, 23, 1
; %bb.3662:                             ;   in Loop: Header=BB2_3151 Depth=2
	s_or_b32 exec_lo, exec_lo, s10
	s_delay_alu instid0(VALU_DEP_2) | instskip(NEXT) | instid1(VALU_DEP_2)
	v_lshrrev_b64 v[82:83], 21, v[82:83]
	v_cmp_gt_i32_e32 vcc_lo, 32, v84
	v_min_i32_e32 v85, 31, v84
	v_cmp_eq_u32_e64 s10, 0, v84
	s_delay_alu instid0(VALU_DEP_2) | instskip(SKIP_1) | instid1(VALU_DEP_2)
	v_dual_cndmask_b32 v83, 0, v83, vcc_lo :: v_dual_lshlrev_b32 v85, 2, v85
	v_cndmask_b32_e32 v82, 3, v82, vcc_lo
	v_and_b32_e32 v85, 0xfc, v85
	s_delay_alu instid0(VALU_DEP_2) | instskip(NEXT) | instid1(VALU_DEP_2)
	v_cmp_eq_u64_e32 vcc_lo, 0, v[82:83]
	v_and_or_b32 v82, v82, 3, v85
	s_and_b32 s10, s10, vcc_lo
	s_delay_alu instid0(VALU_DEP_1) | instid1(SALU_CYCLE_1)
	v_cndmask_b32_e64 v82, v82, 0, s10
	s_delay_alu instid0(VALU_DEP_1)
	v_or_b32_e32 v99, v82, v87
.LBB2_3663:                             ;   in Loop: Header=BB2_3151 Depth=2
	s_or_b32 exec_lo, exec_lo, s41
                                        ; implicit-def: $vgpr87
.LBB2_3664:                             ;   in Loop: Header=BB2_3151 Depth=2
	s_and_not1_saveexec_b32 s10, s40
; %bb.3665:                             ;   in Loop: Header=BB2_3151 Depth=2
	v_or_b32_e32 v99, 0x7b, v87
; %bb.3666:                             ;   in Loop: Header=BB2_3151 Depth=2
	s_or_b32 exec_lo, exec_lo, s10
                                        ; implicit-def: $vgpr84
                                        ; implicit-def: $vgpr82_vgpr83
                                        ; implicit-def: $vgpr85
.LBB2_3667:                             ;   in Loop: Header=BB2_3151 Depth=2
	s_and_not1_saveexec_b32 s10, s29
	s_cbranch_execz .LBB2_3673
; %bb.3668:                             ;   in Loop: Header=BB2_3151 Depth=2
	s_mov_b32 s29, exec_lo
                                        ; implicit-def: $vgpr99
	v_cmpx_ne_u64_e32 0, v[82:83]
	s_xor_b32 s29, exec_lo, s29
; %bb.3669:                             ;   in Loop: Header=BB2_3151 Depth=2
	v_or_b32_e32 v99, 0x7f, v85
                                        ; implicit-def: $vgpr84
; %bb.3670:                             ;   in Loop: Header=BB2_3151 Depth=2
	s_and_not1_saveexec_b32 s29, s29
; %bb.3671:                             ;   in Loop: Header=BB2_3151 Depth=2
	v_cmp_lt_i32_e32 vcc_lo, -1, v84
	v_cndmask_b32_e32 v99, 0xfc, v46, vcc_lo
; %bb.3672:                             ;   in Loop: Header=BB2_3151 Depth=2
	s_or_b32 exec_lo, exec_lo, s29
.LBB2_3673:                             ;   in Loop: Header=BB2_3151 Depth=2
	s_delay_alu instid0(SALU_CYCLE_1) | instskip(SKIP_3) | instid1(VALU_DEP_2)
	s_or_b32 exec_lo, exec_lo, s10
	v_lshrrev_b16 v82, 8, v30
	v_mov_b32_e32 v84, 0
	s_mov_b32 s10, exec_lo
	v_cmpx_ne_u16_e32 0, v82
	s_cbranch_execz .LBB2_3683
; %bb.3674:                             ;   in Loop: Header=BB2_3151 Depth=2
	v_bfrev_b32_e32 v84, 1
	s_mov_b32 s29, exec_lo
	v_cmpx_ne_u16_e32 0x80, v82
	s_cbranch_execz .LBB2_3682
; %bb.3675:                             ;   in Loop: Header=BB2_3151 Depth=2
	v_and_b32_e32 v85, 0xffff, v82
	s_delay_alu instid0(VALU_DEP_1) | instskip(SKIP_1) | instid1(VALU_DEP_2)
	v_and_b32_e32 v84, 0x7c, v85
	v_and_b32_e32 v83, 3, v85
	v_cmp_ne_u32_e32 vcc_lo, 0x7c, v84
                                        ; implicit-def: $vgpr84
	s_and_saveexec_b32 s40, vcc_lo
	s_delay_alu instid0(SALU_CYCLE_1)
	s_xor_b32 s40, exec_lo, s40
	s_cbranch_execz .LBB2_3679
; %bb.3676:                             ;   in Loop: Header=BB2_3151 Depth=2
	v_bfe_u32 v84, v85, 2, 5
	s_mov_b32 s41, exec_lo
	s_delay_alu instid0(VALU_DEP_1)
	v_cmpx_eq_u32_e32 0, v84
	s_cbranch_execz .LBB2_3678
; %bb.3677:                             ;   in Loop: Header=BB2_3151 Depth=2
	v_clz_i32_u32_e32 v83, v83
	s_delay_alu instid0(VALU_DEP_1) | instskip(SKIP_1) | instid1(VALU_DEP_2)
	v_min_u32_e32 v84, 32, v83
	v_mov_b32_e32 v83, v33
	v_subrev_nc_u32_e32 v85, 29, v84
	v_sub_nc_u32_e32 v84, 30, v84
	s_delay_alu instid0(VALU_DEP_2) | instskip(NEXT) | instid1(VALU_DEP_1)
	v_lshlrev_b64_e32 v[82:83], v85, v[82:83]
	v_and_b32_e32 v83, 3, v82
.LBB2_3678:                             ;   in Loop: Header=BB2_3151 Depth=2
	s_or_b32 exec_lo, exec_lo, s41
	v_lshlrev_b32_e32 v30, 16, v30
	s_delay_alu instid0(VALU_DEP_1) | instskip(NEXT) | instid1(VALU_DEP_1)
	v_and_b32_e32 v30, 0x80000000, v30
	v_lshl_add_u32 v30, v84, 23, v30
	s_delay_alu instid0(VALU_DEP_1) | instskip(NEXT) | instid1(VALU_DEP_1)
	v_lshl_or_b32 v30, v83, 21, v30
                                        ; implicit-def: $vgpr83
	v_add_nc_u32_e32 v84, 0x38000000, v30
                                        ; implicit-def: $vgpr30
.LBB2_3679:                             ;   in Loop: Header=BB2_3151 Depth=2
	s_and_not1_saveexec_b32 s40, s40
; %bb.3680:                             ;   in Loop: Header=BB2_3151 Depth=2
	v_cmp_lt_i16_e32 vcc_lo, -1, v30
	v_cndmask_b32_e32 v30, 0xff800000, v45, vcc_lo
	v_cmp_eq_u32_e32 vcc_lo, 0, v83
	s_delay_alu instid0(VALU_DEP_2)
	v_cndmask_b32_e32 v84, 0x7f800001, v30, vcc_lo
; %bb.3681:                             ;   in Loop: Header=BB2_3151 Depth=2
	s_or_b32 exec_lo, exec_lo, s40
.LBB2_3682:                             ;   in Loop: Header=BB2_3151 Depth=2
	s_delay_alu instid0(SALU_CYCLE_1)
	s_or_b32 exec_lo, exec_lo, s29
.LBB2_3683:                             ;   in Loop: Header=BB2_3151 Depth=2
	s_delay_alu instid0(SALU_CYCLE_1) | instskip(SKIP_3) | instid1(VALU_DEP_1)
	s_or_b32 exec_lo, exec_lo, s10
	v_lshrrev_b16 v82, 8, v10
	s_mov_b32 s29, 0
	s_mov_b32 s10, exec_lo
	v_cmpx_lt_i16_e32 0x7f, v82
	s_xor_b32 s10, exec_lo, s10
	s_cbranch_execnz .LBB2_4170
; %bb.3684:                             ;   in Loop: Header=BB2_3151 Depth=2
	s_or_saveexec_b32 s10, s10
	v_bfrev_b32_e32 v30, 1
	s_xor_b32 exec_lo, exec_lo, s10
	s_cbranch_execnz .LBB2_4173
.LBB2_3685:                             ;   in Loop: Header=BB2_3151 Depth=2
	s_or_b32 exec_lo, exec_lo, s10
	s_and_saveexec_b32 s10, s29
	s_cbranch_execz .LBB2_3687
.LBB2_3686:                             ;   in Loop: Header=BB2_3151 Depth=2
	v_and_b32_e32 v30, 0xffff, v82
	s_delay_alu instid0(VALU_DEP_1) | instskip(NEXT) | instid1(VALU_DEP_1)
	v_and_b32_e32 v85, 3, v30
	v_clz_i32_u32_e32 v83, v85
	s_delay_alu instid0(VALU_DEP_1) | instskip(SKIP_1) | instid1(VALU_DEP_2)
	v_min_u32_e32 v87, 32, v83
	v_mov_b32_e32 v83, v33
	v_subrev_nc_u32_e32 v101, 29, v87
	v_sub_nc_u32_e32 v87, 30, v87
	s_delay_alu instid0(VALU_DEP_2) | instskip(SKIP_3) | instid1(VALU_DEP_3)
	v_lshlrev_b64_e32 v[58:59], v101, v[82:83]
	v_bfe_u32 v83, v30, 2, 5
	v_lshlrev_b32_e32 v82, 24, v82
	v_and_b32_e32 v30, 0x7c, v30
	v_cmp_eq_u32_e32 vcc_lo, 0, v83
	s_delay_alu instid0(VALU_DEP_3) | instskip(SKIP_1) | instid1(VALU_DEP_1)
	v_and_b32_e32 v82, 0x80000000, v82
	v_dual_cndmask_b32 v83, v83, v87, vcc_lo :: v_dual_bitop2_b32 v101, 3, v58 bitop3:0x40
	v_cndmask_b32_e32 v87, v85, v101, vcc_lo
	v_cmp_lt_i16_e32 vcc_lo, -1, v10
	s_delay_alu instid0(VALU_DEP_3) | instskip(SKIP_2) | instid1(VALU_DEP_3)
	v_lshl_add_u32 v82, v83, 23, v82
	v_cndmask_b32_e32 v83, 0xff800000, v45, vcc_lo
	v_cmp_eq_u32_e32 vcc_lo, 0, v85
	v_lshl_or_b32 v82, v87, 21, v82
	s_delay_alu instid0(VALU_DEP_3) | instskip(NEXT) | instid1(VALU_DEP_2)
	v_cndmask_b32_e32 v83, 0x7f800001, v83, vcc_lo
	v_add_nc_u32_e32 v82, 0x38000000, v82
	v_cmp_eq_u32_e32 vcc_lo, 0x7c, v30
	s_delay_alu instid0(VALU_DEP_2)
	v_cndmask_b32_e32 v30, v82, v83, vcc_lo
.LBB2_3687:                             ;   in Loop: Header=BB2_3151 Depth=2
	s_or_b32 exec_lo, exec_lo, s10
	s_delay_alu instid0(VALU_DEP_1) | instskip(SKIP_2) | instid1(VALU_DEP_2)
	v_dual_add_f32 v84, v84, v30 :: v_dual_mov_b32 v59, v33
	v_mov_b32_e32 v83, v33
                                        ; implicit-def: $vgpr101
	s_mov_b32 s10, exec_lo
	v_and_b32_e32 v58, 0x7f800000, v84
	v_and_b32_e32 v82, 0x7fffff, v84
	v_lshrrev_b32_e32 v30, 24, v84
	s_delay_alu instid0(VALU_DEP_3)
	v_cmpx_ne_u64_e32 0x7f800000, v[58:59]
	s_xor_b32 s29, exec_lo, s10
	s_cbranch_execz .LBB2_3701
; %bb.3688:                             ;   in Loop: Header=BB2_3151 Depth=2
	v_and_b32_e32 v58, 0x7fffffff, v84
	v_mov_b32_e32 v59, v33
	v_and_b32_e32 v30, 0x80, v30
                                        ; implicit-def: $vgpr101
	s_mov_b32 s10, exec_lo
	s_delay_alu instid0(VALU_DEP_2)
	v_cmpx_gt_u64_e32 0x47600001, v[58:59]
	s_xor_b32 s40, exec_lo, s10
	s_cbranch_execz .LBB2_3698
; %bb.3689:                             ;   in Loop: Header=BB2_3151 Depth=2
	v_mov_b32_e32 v101, 0
	s_mov_b32 s41, exec_lo
	v_cmpx_ne_u32_e32 0, v84
	s_cbranch_execz .LBB2_3697
; %bb.3690:                             ;   in Loop: Header=BB2_3151 Depth=2
	v_bfe_u32 v87, v84, 23, 8
	v_or_b32_e32 v112, 0x800000, v82
	s_delay_alu instid0(VALU_DEP_2) | instskip(SKIP_1) | instid1(VALU_DEP_2)
	v_sub_nc_u32_e32 v84, 0x71, v87
	v_cmp_gt_u32_e32 vcc_lo, 0x72, v87
	v_cndmask_b32_e32 v84, 0, v84, vcc_lo
	v_cmp_eq_u32_e32 vcc_lo, 0, v87
	s_delay_alu instid0(VALU_DEP_2) | instskip(NEXT) | instid1(VALU_DEP_1)
	v_cndmask_b32_e64 v101, v84, 0x70, vcc_lo
	v_dual_cndmask_b32 v82, v112, v82, vcc_lo :: v_dual_add_nc_u32 v84, 21, v101
	v_add_nc_u32_e32 v115, 20, v101
	s_delay_alu instid0(VALU_DEP_2) | instskip(NEXT) | instid1(VALU_DEP_2)
	v_lshlrev_b64_e64 v[84:85], v84, -1
	v_lshlrev_b64_e64 v[58:59], v115, 1
	s_delay_alu instid0(VALU_DEP_2) | instskip(SKIP_1) | instid1(VALU_DEP_4)
	v_bfi_b32 v84, v84, 0, v82
	v_lshrrev_b64 v[82:83], v101, v[82:83]
	v_bfi_b32 v85, v85, 0, 0
	s_delay_alu instid0(VALU_DEP_1) | instskip(NEXT) | instid1(VALU_DEP_3)
	v_cmp_eq_u64_e64 s10, v[84:85], v[58:59]
	v_mov_b64_e32 v[84:85], v[82:83]
	s_and_saveexec_b32 s42, s10
; %bb.3691:                             ;   in Loop: Header=BB2_3151 Depth=2
	v_bfe_u32 v84, v82, 21, 1
	v_mov_b32_e32 v85, v33
	s_delay_alu instid0(VALU_DEP_1) | instskip(NEXT) | instid1(VALU_DEP_1)
	v_add_nc_u64_e32 v[84:85], v[82:83], v[84:85]
	v_add_nc_u64_e32 v[84:85], -1, v[84:85]
; %bb.3692:                             ;   in Loop: Header=BB2_3151 Depth=2
	s_or_b32 exec_lo, exec_lo, s42
	v_add_nc_u32_e32 v83, 0xffffff81, v87
	v_lshrrev_b32_e32 v85, 23, v82
	s_mov_b32 s10, exec_lo
	s_delay_alu instid0(VALU_DEP_2) | instskip(NEXT) | instid1(VALU_DEP_1)
	v_cndmask_b32_e64 v83, v83, 0xffffff82, vcc_lo
	v_add3_u32 v85, v101, v83, v85
	v_and_b32_e32 v83, 0x1fffff, v84
                                        ; implicit-def: $vgpr84
	s_delay_alu instid0(VALU_DEP_1) | instskip(SKIP_1) | instid1(VALU_DEP_2)
	v_dual_add_nc_u32 v87, 14, v85 :: v_dual_add_nc_u32 v82, v83, v82
	v_mov_b32_e32 v83, v33
	v_cmpx_ne_u32_e32 0, v87
	s_xor_b32 s10, exec_lo, s10
; %bb.3693:                             ;   in Loop: Header=BB2_3151 Depth=2
	s_delay_alu instid0(VALU_DEP_2) | instskip(SKIP_2) | instid1(VALU_DEP_2)
	v_cmp_lt_u64_e32 vcc_lo, 0xffffff, v[82:83]
	v_add_nc_u32_e32 v84, 15, v85
	v_cndmask_b32_e64 v85, 0, 1, vcc_lo
	v_cndmask_b32_e32 v84, v87, v84, vcc_lo
	s_delay_alu instid0(VALU_DEP_2)
	v_lshrrev_b64 v[82:83], v85, v[82:83]
; %bb.3694:                             ;   in Loop: Header=BB2_3151 Depth=2
	s_and_not1_saveexec_b32 s10, s10
; %bb.3695:                             ;   in Loop: Header=BB2_3151 Depth=2
	s_delay_alu instid0(VALU_DEP_1)
	v_bfe_u32 v84, v82, 23, 1
; %bb.3696:                             ;   in Loop: Header=BB2_3151 Depth=2
	s_or_b32 exec_lo, exec_lo, s10
	s_delay_alu instid0(VALU_DEP_2) | instskip(NEXT) | instid1(VALU_DEP_2)
	v_lshrrev_b64 v[82:83], 21, v[82:83]
	v_cmp_gt_i32_e32 vcc_lo, 32, v84
	v_min_i32_e32 v85, 31, v84
	v_cmp_eq_u32_e64 s10, 0, v84
	s_delay_alu instid0(VALU_DEP_2) | instskip(SKIP_1) | instid1(VALU_DEP_2)
	v_dual_cndmask_b32 v83, 0, v83, vcc_lo :: v_dual_lshlrev_b32 v85, 2, v85
	v_cndmask_b32_e32 v82, 3, v82, vcc_lo
	v_and_b32_e32 v85, 0xfc, v85
	s_delay_alu instid0(VALU_DEP_2) | instskip(NEXT) | instid1(VALU_DEP_2)
	v_cmp_eq_u64_e32 vcc_lo, 0, v[82:83]
	v_and_or_b32 v82, v82, 3, v85
	s_and_b32 s10, s10, vcc_lo
	s_delay_alu instid0(VALU_DEP_1) | instid1(SALU_CYCLE_1)
	v_cndmask_b32_e64 v82, v82, 0, s10
	s_delay_alu instid0(VALU_DEP_1)
	v_or_b32_e32 v101, v82, v30
.LBB2_3697:                             ;   in Loop: Header=BB2_3151 Depth=2
	s_or_b32 exec_lo, exec_lo, s41
                                        ; implicit-def: $vgpr30
.LBB2_3698:                             ;   in Loop: Header=BB2_3151 Depth=2
	s_and_not1_saveexec_b32 s10, s40
; %bb.3699:                             ;   in Loop: Header=BB2_3151 Depth=2
	v_or_b32_e32 v101, 0x7b, v30
; %bb.3700:                             ;   in Loop: Header=BB2_3151 Depth=2
	s_or_b32 exec_lo, exec_lo, s10
                                        ; implicit-def: $vgpr84
                                        ; implicit-def: $vgpr82_vgpr83
                                        ; implicit-def: $vgpr30
.LBB2_3701:                             ;   in Loop: Header=BB2_3151 Depth=2
	s_and_not1_saveexec_b32 s10, s29
	s_cbranch_execz .LBB2_3707
; %bb.3702:                             ;   in Loop: Header=BB2_3151 Depth=2
	s_mov_b32 s29, exec_lo
                                        ; implicit-def: $vgpr101
	v_cmpx_ne_u64_e32 0, v[82:83]
	s_xor_b32 s29, exec_lo, s29
; %bb.3703:                             ;   in Loop: Header=BB2_3151 Depth=2
	v_or_b32_e32 v101, 0x7f, v30
                                        ; implicit-def: $vgpr84
; %bb.3704:                             ;   in Loop: Header=BB2_3151 Depth=2
	s_and_not1_saveexec_b32 s29, s29
; %bb.3705:                             ;   in Loop: Header=BB2_3151 Depth=2
	v_cmp_lt_i32_e32 vcc_lo, -1, v84
	v_cndmask_b32_e32 v101, 0xfc, v46, vcc_lo
; %bb.3706:                             ;   in Loop: Header=BB2_3151 Depth=2
	s_or_b32 exec_lo, exec_lo, s29
.LBB2_3707:                             ;   in Loop: Header=BB2_3151 Depth=2
	s_delay_alu instid0(SALU_CYCLE_1) | instskip(SKIP_2) | instid1(VALU_DEP_1)
	s_or_b32 exec_lo, exec_lo, s10
	v_dual_lshrrev_b32 v30, 16, v32 :: v_dual_mov_b32 v82, 0
	s_mov_b32 s10, exec_lo
	v_and_b32_e32 v83, 0xff, v30
	s_delay_alu instid0(VALU_DEP_1)
	v_cmpx_ne_u16_e32 0, v83
	s_cbranch_execz .LBB2_3717
; %bb.3708:                             ;   in Loop: Header=BB2_3151 Depth=2
	v_bfrev_b32_e32 v82, 1
	s_mov_b32 s29, exec_lo
	v_cmpx_ne_u16_e32 0x80, v83
	s_cbranch_execz .LBB2_3716
; %bb.3709:                             ;   in Loop: Header=BB2_3151 Depth=2
	v_and_b32_e32 v82, 0x7c0000, v32
	v_bfe_u32 v83, v32, 16, 2
	s_delay_alu instid0(VALU_DEP_2) | instskip(SKIP_1) | instid1(SALU_CYCLE_1)
	v_cmp_ne_u32_e32 vcc_lo, 0x7c0000, v82
                                        ; implicit-def: $vgpr82
	s_and_saveexec_b32 s40, vcc_lo
	s_xor_b32 s40, exec_lo, s40
	s_cbranch_execz .LBB2_3713
; %bb.3710:                             ;   in Loop: Header=BB2_3151 Depth=2
	v_bfe_u32 v82, v32, 18, 5
	v_lshrrev_b32_e32 v30, 16, v32
	s_mov_b32 s41, exec_lo
	s_delay_alu instid0(VALU_DEP_2)
	v_cmpx_eq_u32_e32 0, v82
; %bb.3711:                             ;   in Loop: Header=BB2_3151 Depth=2
	v_clz_i32_u32_e32 v82, v83
	s_delay_alu instid0(VALU_DEP_1) | instskip(NEXT) | instid1(VALU_DEP_1)
	v_min_u32_e32 v82, 32, v82
	v_subrev_nc_u32_e32 v83, 29, v82
	s_delay_alu instid0(VALU_DEP_1) | instskip(NEXT) | instid1(VALU_DEP_1)
	v_lshlrev_b64_e32 v[84:85], v83, v[30:31]
	v_dual_sub_nc_u32 v82, 30, v82 :: v_dual_bitop2_b32 v83, 3, v84 bitop3:0x40
; %bb.3712:                             ;   in Loop: Header=BB2_3151 Depth=2
	s_or_b32 exec_lo, exec_lo, s41
	v_lshlrev_b32_e32 v30, 24, v30
	s_delay_alu instid0(VALU_DEP_1) | instskip(NEXT) | instid1(VALU_DEP_1)
	v_and_b32_e32 v30, 0x80000000, v30
	v_lshl_add_u32 v30, v82, 23, v30
	s_delay_alu instid0(VALU_DEP_1) | instskip(NEXT) | instid1(VALU_DEP_1)
	v_lshl_or_b32 v30, v83, 21, v30
                                        ; implicit-def: $vgpr83
	v_add_nc_u32_e32 v82, 0x38000000, v30
                                        ; implicit-def: $vgpr30
.LBB2_3713:                             ;   in Loop: Header=BB2_3151 Depth=2
	s_and_not1_saveexec_b32 s40, s40
; %bb.3714:                             ;   in Loop: Header=BB2_3151 Depth=2
	v_bfe_i32 v30, v30, 0, 8
	s_delay_alu instid0(VALU_DEP_1) | instskip(SKIP_2) | instid1(VALU_DEP_2)
	v_cmp_lt_i16_e32 vcc_lo, -1, v30
	v_cndmask_b32_e32 v30, 0xff800000, v45, vcc_lo
	v_cmp_eq_u32_e32 vcc_lo, 0, v83
	v_cndmask_b32_e32 v82, 0x7f800001, v30, vcc_lo
; %bb.3715:                             ;   in Loop: Header=BB2_3151 Depth=2
	s_or_b32 exec_lo, exec_lo, s40
.LBB2_3716:                             ;   in Loop: Header=BB2_3151 Depth=2
	s_delay_alu instid0(SALU_CYCLE_1)
	s_or_b32 exec_lo, exec_lo, s29
.LBB2_3717:                             ;   in Loop: Header=BB2_3151 Depth=2
	s_delay_alu instid0(SALU_CYCLE_1) | instskip(SKIP_3) | instid1(VALU_DEP_1)
	s_or_b32 exec_lo, exec_lo, s10
	v_lshrrev_b32_e32 v30, 16, v10
	s_mov_b32 s29, 0
	s_mov_b32 s10, exec_lo
	v_and_b32_e32 v84, 0xff, v30
	s_delay_alu instid0(VALU_DEP_1)
	v_cmpx_lt_i16_e32 0x7f, v84
	s_xor_b32 s10, exec_lo, s10
	s_cbranch_execnz .LBB2_4174
; %bb.3718:                             ;   in Loop: Header=BB2_3151 Depth=2
	s_or_saveexec_b32 s10, s10
	v_bfrev_b32_e32 v83, 1
	s_xor_b32 exec_lo, exec_lo, s10
	s_cbranch_execnz .LBB2_4177
.LBB2_3719:                             ;   in Loop: Header=BB2_3151 Depth=2
	s_or_b32 exec_lo, exec_lo, s10
	s_and_saveexec_b32 s10, s29
	s_cbranch_execz .LBB2_3721
.LBB2_3720:                             ;   in Loop: Header=BB2_3151 Depth=2
	v_and_b32_e32 v83, 3, v30
	v_bfe_u32 v112, v10, 18, 5
	s_delay_alu instid0(VALU_DEP_2) | instskip(NEXT) | instid1(VALU_DEP_2)
	v_clz_i32_u32_e32 v84, v83
	v_cmp_eq_u32_e32 vcc_lo, 0, v112
	s_delay_alu instid0(VALU_DEP_2) | instskip(NEXT) | instid1(VALU_DEP_1)
	v_min_u32_e32 v87, 32, v84
	v_subrev_nc_u32_e32 v84, 29, v87
	s_delay_alu instid0(VALU_DEP_1) | instskip(SKIP_2) | instid1(VALU_DEP_2)
	v_lshlrev_b64_e32 v[84:85], v84, v[30:31]
	v_dual_lshlrev_b32 v85, 24, v30 :: v_dual_sub_nc_u32 v87, 30, v87
	v_bfe_i32 v30, v30, 0, 8
	v_and_b32_e32 v85, 0x80000000, v85
	s_delay_alu instid0(VALU_DEP_3) | instskip(NEXT) | instid1(VALU_DEP_1)
	v_dual_cndmask_b32 v87, v112, v87, vcc_lo :: v_dual_bitop2_b32 v84, 3, v84 bitop3:0x40
	v_cndmask_b32_e32 v84, v83, v84, vcc_lo
	s_delay_alu instid0(VALU_DEP_2) | instskip(SKIP_1) | instid1(VALU_DEP_2)
	v_lshl_add_u32 v85, v87, 23, v85
	v_cmp_lt_i16_e32 vcc_lo, -1, v30
	v_lshl_or_b32 v84, v84, 21, v85
	v_cndmask_b32_e32 v30, 0xff800000, v45, vcc_lo
	v_and_b32_e32 v85, 0x7c0000, v10
	v_cmp_eq_u32_e32 vcc_lo, 0, v83
	s_delay_alu instid0(VALU_DEP_4) | instskip(NEXT) | instid1(VALU_DEP_4)
	v_add_nc_u32_e32 v83, 0x38000000, v84
	v_cndmask_b32_e32 v30, 0x7f800001, v30, vcc_lo
	s_delay_alu instid0(VALU_DEP_4) | instskip(NEXT) | instid1(VALU_DEP_2)
	v_cmp_eq_u32_e32 vcc_lo, 0x7c0000, v85
	v_cndmask_b32_e32 v83, v83, v30, vcc_lo
.LBB2_3721:                             ;   in Loop: Header=BB2_3151 Depth=2
	s_or_b32 exec_lo, exec_lo, s10
	s_delay_alu instid0(VALU_DEP_1) | instskip(SKIP_2) | instid1(VALU_DEP_2)
	v_dual_add_f32 v84, v82, v83 :: v_dual_mov_b32 v59, v33
	v_mov_b32_e32 v83, v33
                                        ; implicit-def: $vgpr112
	s_mov_b32 s10, exec_lo
	v_and_b32_e32 v58, 0x7f800000, v84
	v_and_b32_e32 v82, 0x7fffff, v84
	v_lshrrev_b32_e32 v30, 24, v84
	s_delay_alu instid0(VALU_DEP_3)
	v_cmpx_ne_u64_e32 0x7f800000, v[58:59]
	s_xor_b32 s29, exec_lo, s10
	s_cbranch_execz .LBB2_3735
; %bb.3722:                             ;   in Loop: Header=BB2_3151 Depth=2
	v_and_b32_e32 v58, 0x7fffffff, v84
	v_mov_b32_e32 v59, v33
	v_and_b32_e32 v30, 0x80, v30
                                        ; implicit-def: $vgpr112
	s_mov_b32 s10, exec_lo
	s_delay_alu instid0(VALU_DEP_2)
	v_cmpx_gt_u64_e32 0x47600001, v[58:59]
	s_xor_b32 s40, exec_lo, s10
	s_cbranch_execz .LBB2_3732
; %bb.3723:                             ;   in Loop: Header=BB2_3151 Depth=2
	v_mov_b32_e32 v112, 0
	s_mov_b32 s41, exec_lo
	v_cmpx_ne_u32_e32 0, v84
	s_cbranch_execz .LBB2_3731
; %bb.3724:                             ;   in Loop: Header=BB2_3151 Depth=2
	v_bfe_u32 v87, v84, 23, 8
	v_or_b32_e32 v115, 0x800000, v82
	s_delay_alu instid0(VALU_DEP_2) | instskip(SKIP_1) | instid1(VALU_DEP_2)
	v_sub_nc_u32_e32 v84, 0x71, v87
	v_cmp_gt_u32_e32 vcc_lo, 0x72, v87
	v_cndmask_b32_e32 v84, 0, v84, vcc_lo
	v_cmp_eq_u32_e32 vcc_lo, 0, v87
	v_cndmask_b32_e32 v82, v115, v82, vcc_lo
	s_delay_alu instid0(VALU_DEP_3) | instskip(NEXT) | instid1(VALU_DEP_1)
	v_cndmask_b32_e64 v112, v84, 0x70, vcc_lo
	v_dual_add_nc_u32 v84, 21, v112 :: v_dual_add_nc_u32 v58, 20, v112
	s_delay_alu instid0(VALU_DEP_1) | instskip(NEXT) | instid1(VALU_DEP_2)
	v_lshlrev_b64_e64 v[84:85], v84, -1
	v_lshlrev_b64_e64 v[58:59], v58, 1
	s_delay_alu instid0(VALU_DEP_2) | instskip(SKIP_1) | instid1(VALU_DEP_4)
	v_bfi_b32 v84, v84, 0, v82
	v_lshrrev_b64 v[82:83], v112, v[82:83]
	v_bfi_b32 v85, v85, 0, 0
	s_delay_alu instid0(VALU_DEP_1) | instskip(NEXT) | instid1(VALU_DEP_3)
	v_cmp_eq_u64_e64 s10, v[84:85], v[58:59]
	v_mov_b64_e32 v[84:85], v[82:83]
	s_and_saveexec_b32 s42, s10
; %bb.3725:                             ;   in Loop: Header=BB2_3151 Depth=2
	v_bfe_u32 v84, v82, 21, 1
	v_mov_b32_e32 v85, v33
	s_delay_alu instid0(VALU_DEP_1) | instskip(NEXT) | instid1(VALU_DEP_1)
	v_add_nc_u64_e32 v[84:85], v[82:83], v[84:85]
	v_add_nc_u64_e32 v[84:85], -1, v[84:85]
; %bb.3726:                             ;   in Loop: Header=BB2_3151 Depth=2
	s_or_b32 exec_lo, exec_lo, s42
	v_add_nc_u32_e32 v83, 0xffffff81, v87
	v_lshrrev_b32_e32 v85, 23, v82
	s_mov_b32 s10, exec_lo
	s_delay_alu instid0(VALU_DEP_2) | instskip(NEXT) | instid1(VALU_DEP_1)
	v_cndmask_b32_e64 v83, v83, 0xffffff82, vcc_lo
	v_add3_u32 v85, v112, v83, v85
	v_and_b32_e32 v83, 0x1fffff, v84
                                        ; implicit-def: $vgpr84
	s_delay_alu instid0(VALU_DEP_1) | instskip(SKIP_1) | instid1(VALU_DEP_2)
	v_dual_add_nc_u32 v87, 14, v85 :: v_dual_add_nc_u32 v82, v83, v82
	v_mov_b32_e32 v83, v33
	v_cmpx_ne_u32_e32 0, v87
	s_xor_b32 s10, exec_lo, s10
; %bb.3727:                             ;   in Loop: Header=BB2_3151 Depth=2
	s_delay_alu instid0(VALU_DEP_2) | instskip(SKIP_2) | instid1(VALU_DEP_2)
	v_cmp_lt_u64_e32 vcc_lo, 0xffffff, v[82:83]
	v_add_nc_u32_e32 v84, 15, v85
	v_cndmask_b32_e64 v85, 0, 1, vcc_lo
	v_cndmask_b32_e32 v84, v87, v84, vcc_lo
	s_delay_alu instid0(VALU_DEP_2)
	v_lshrrev_b64 v[82:83], v85, v[82:83]
; %bb.3728:                             ;   in Loop: Header=BB2_3151 Depth=2
	s_and_not1_saveexec_b32 s10, s10
; %bb.3729:                             ;   in Loop: Header=BB2_3151 Depth=2
	s_delay_alu instid0(VALU_DEP_1)
	v_bfe_u32 v84, v82, 23, 1
; %bb.3730:                             ;   in Loop: Header=BB2_3151 Depth=2
	s_or_b32 exec_lo, exec_lo, s10
	s_delay_alu instid0(VALU_DEP_2) | instskip(NEXT) | instid1(VALU_DEP_2)
	v_lshrrev_b64 v[82:83], 21, v[82:83]
	v_cmp_gt_i32_e32 vcc_lo, 32, v84
	v_min_i32_e32 v85, 31, v84
	v_cmp_eq_u32_e64 s10, 0, v84
	s_delay_alu instid0(VALU_DEP_2) | instskip(SKIP_1) | instid1(VALU_DEP_2)
	v_dual_cndmask_b32 v83, 0, v83, vcc_lo :: v_dual_lshlrev_b32 v85, 2, v85
	v_cndmask_b32_e32 v82, 3, v82, vcc_lo
	v_and_b32_e32 v85, 0xfc, v85
	s_delay_alu instid0(VALU_DEP_2) | instskip(NEXT) | instid1(VALU_DEP_2)
	v_cmp_eq_u64_e32 vcc_lo, 0, v[82:83]
	v_and_or_b32 v82, v82, 3, v85
	s_and_b32 s10, s10, vcc_lo
	s_delay_alu instid0(VALU_DEP_1) | instid1(SALU_CYCLE_1)
	v_cndmask_b32_e64 v82, v82, 0, s10
	s_delay_alu instid0(VALU_DEP_1)
	v_or_b32_e32 v112, v82, v30
.LBB2_3731:                             ;   in Loop: Header=BB2_3151 Depth=2
	s_or_b32 exec_lo, exec_lo, s41
                                        ; implicit-def: $vgpr30
.LBB2_3732:                             ;   in Loop: Header=BB2_3151 Depth=2
	s_and_not1_saveexec_b32 s10, s40
; %bb.3733:                             ;   in Loop: Header=BB2_3151 Depth=2
	v_or_b32_e32 v112, 0x7b, v30
; %bb.3734:                             ;   in Loop: Header=BB2_3151 Depth=2
	s_or_b32 exec_lo, exec_lo, s10
                                        ; implicit-def: $vgpr84
                                        ; implicit-def: $vgpr82_vgpr83
                                        ; implicit-def: $vgpr30
.LBB2_3735:                             ;   in Loop: Header=BB2_3151 Depth=2
	s_and_not1_saveexec_b32 s10, s29
	s_cbranch_execz .LBB2_3741
; %bb.3736:                             ;   in Loop: Header=BB2_3151 Depth=2
	s_mov_b32 s29, exec_lo
                                        ; implicit-def: $vgpr112
	v_cmpx_ne_u64_e32 0, v[82:83]
	s_xor_b32 s29, exec_lo, s29
; %bb.3737:                             ;   in Loop: Header=BB2_3151 Depth=2
	v_or_b32_e32 v112, 0x7f, v30
                                        ; implicit-def: $vgpr84
; %bb.3738:                             ;   in Loop: Header=BB2_3151 Depth=2
	s_and_not1_saveexec_b32 s29, s29
; %bb.3739:                             ;   in Loop: Header=BB2_3151 Depth=2
	v_cmp_lt_i32_e32 vcc_lo, -1, v84
	v_cndmask_b32_e32 v112, 0xfc, v46, vcc_lo
; %bb.3740:                             ;   in Loop: Header=BB2_3151 Depth=2
	s_or_b32 exec_lo, exec_lo, s29
.LBB2_3741:                             ;   in Loop: Header=BB2_3151 Depth=2
	s_delay_alu instid0(SALU_CYCLE_1)
	s_or_b32 exec_lo, exec_lo, s10
	v_mov_b32_e32 v82, 0
	s_mov_b32 s10, exec_lo
	v_cmpx_lt_u32_e32 0xffffff, v32
	s_cbranch_execz .LBB2_3751
; %bb.3742:                             ;   in Loop: Header=BB2_3151 Depth=2
	v_lshrrev_b32_e32 v30, 24, v32
	v_bfrev_b32_e32 v82, 1
	s_mov_b32 s29, exec_lo
	s_delay_alu instid0(VALU_DEP_2)
	v_cmpx_ne_u32_e32 0x80, v30
	s_cbranch_execz .LBB2_3750
; %bb.3743:                             ;   in Loop: Header=BB2_3151 Depth=2
	v_and_b32_e32 v82, 0x7c000000, v32
	v_bfe_u32 v83, v32, 24, 2
	s_delay_alu instid0(VALU_DEP_2) | instskip(SKIP_1) | instid1(SALU_CYCLE_1)
	v_cmp_ne_u32_e32 vcc_lo, 0x7c000000, v82
                                        ; implicit-def: $vgpr82
	s_and_saveexec_b32 s40, vcc_lo
	s_xor_b32 s40, exec_lo, s40
	s_cbranch_execz .LBB2_3747
; %bb.3744:                             ;   in Loop: Header=BB2_3151 Depth=2
	v_bfe_u32 v82, v32, 26, 5
	s_mov_b32 s41, exec_lo
	s_delay_alu instid0(VALU_DEP_1)
	v_cmpx_eq_u32_e32 0, v82
; %bb.3745:                             ;   in Loop: Header=BB2_3151 Depth=2
	v_clz_i32_u32_e32 v82, v83
	s_delay_alu instid0(VALU_DEP_1) | instskip(NEXT) | instid1(VALU_DEP_1)
	v_min_u32_e32 v82, 32, v82
	v_subrev_nc_u32_e32 v83, 29, v82
	s_delay_alu instid0(VALU_DEP_1) | instskip(NEXT) | instid1(VALU_DEP_1)
	v_lshlrev_b64_e32 v[84:85], v83, v[30:31]
	v_dual_sub_nc_u32 v82, 30, v82 :: v_dual_bitop2_b32 v83, 3, v84 bitop3:0x40
; %bb.3746:                             ;   in Loop: Header=BB2_3151 Depth=2
	s_or_b32 exec_lo, exec_lo, s41
	v_and_b32_e32 v30, 0x80000000, v32
	s_delay_alu instid0(VALU_DEP_1) | instskip(NEXT) | instid1(VALU_DEP_1)
	v_lshl_add_u32 v30, v82, 23, v30
	v_lshl_or_b32 v30, v83, 21, v30
                                        ; implicit-def: $vgpr83
	s_delay_alu instid0(VALU_DEP_1)
	v_add_nc_u32_e32 v82, 0x38000000, v30
.LBB2_3747:                             ;   in Loop: Header=BB2_3151 Depth=2
	s_and_not1_saveexec_b32 s40, s40
; %bb.3748:                             ;   in Loop: Header=BB2_3151 Depth=2
	v_cmp_lt_i32_e32 vcc_lo, -1, v32
	v_cndmask_b32_e32 v30, 0xff800000, v45, vcc_lo
	v_cmp_eq_u32_e32 vcc_lo, 0, v83
	s_delay_alu instid0(VALU_DEP_2)
	v_cndmask_b32_e32 v82, 0x7f800001, v30, vcc_lo
; %bb.3749:                             ;   in Loop: Header=BB2_3151 Depth=2
	s_or_b32 exec_lo, exec_lo, s40
.LBB2_3750:                             ;   in Loop: Header=BB2_3151 Depth=2
	s_delay_alu instid0(SALU_CYCLE_1)
	s_or_b32 exec_lo, exec_lo, s29
.LBB2_3751:                             ;   in Loop: Header=BB2_3151 Depth=2
	s_delay_alu instid0(SALU_CYCLE_1) | instskip(SKIP_3) | instid1(VALU_DEP_2)
	s_or_b32 exec_lo, exec_lo, s10
	v_bfe_u32 v32, v10, 24, 2
	v_bfe_u32 v87, v10, 26, 5
                                        ; implicit-def: $vgpr115
	s_mov_b32 s10, exec_lo
	v_clz_i32_u32_e32 v30, v32
	s_delay_alu instid0(VALU_DEP_2) | instskip(NEXT) | instid1(VALU_DEP_2)
	v_cmp_eq_u32_e32 vcc_lo, 0, v87
	v_min_u32_e32 v83, 32, v30
	v_lshrrev_b32_e32 v30, 24, v10
	s_delay_alu instid0(VALU_DEP_2) | instskip(SKIP_1) | instid1(VALU_DEP_2)
	v_subrev_nc_u32_e32 v84, 29, v83
	v_sub_nc_u32_e32 v83, 30, v83
	v_lshlrev_b64_e32 v[84:85], v84, v[30:31]
	v_and_b32_e32 v85, 0x80000000, v10
	s_delay_alu instid0(VALU_DEP_2) | instskip(NEXT) | instid1(VALU_DEP_1)
	v_dual_cndmask_b32 v83, v87, v83, vcc_lo :: v_dual_bitop2_b32 v84, 3, v84 bitop3:0x40
	v_lshl_add_u32 v83, v83, 23, v85
	s_delay_alu instid0(VALU_DEP_2) | instskip(SKIP_1) | instid1(VALU_DEP_2)
	v_cndmask_b32_e32 v84, v32, v84, vcc_lo
	v_cmp_lt_i32_e32 vcc_lo, -1, v10
	v_lshl_or_b32 v83, v84, 21, v83
	v_cndmask_b32_e32 v85, 0xff800000, v45, vcc_lo
	v_and_b32_e32 v84, 0x7c000000, v10
	v_cmp_eq_u32_e32 vcc_lo, 0, v32
	s_delay_alu instid0(VALU_DEP_4) | instskip(NEXT) | instid1(VALU_DEP_4)
	v_add_nc_u32_e32 v83, 0x38000000, v83
	v_dual_cndmask_b32 v32, 0x7f800001, v85 :: v_dual_mov_b32 v85, v33
	s_delay_alu instid0(VALU_DEP_4) | instskip(NEXT) | instid1(VALU_DEP_2)
	v_cmp_eq_u32_e32 vcc_lo, 0x7c000000, v84
	v_cndmask_b32_e32 v32, v83, v32, vcc_lo
	v_cmp_ne_u32_e32 vcc_lo, 0x80, v30
	s_delay_alu instid0(VALU_DEP_2) | instskip(SKIP_1) | instid1(VALU_DEP_2)
	v_cndmask_b32_e32 v30, 0x80000000, v32, vcc_lo
	v_cmp_lt_u32_e32 vcc_lo, 0xffffff, v10
	v_cndmask_b32_e32 v30, 0, v30, vcc_lo
	s_delay_alu instid0(VALU_DEP_1) | instskip(NEXT) | instid1(VALU_DEP_1)
	v_add_f32_e32 v82, v30, v82
	v_and_b32_e32 v84, 0x7f800000, v82
	v_and_b32_e32 v32, 0x7fffff, v82
	v_lshrrev_b32_e32 v30, 24, v82
	s_delay_alu instid0(VALU_DEP_3)
	v_cmpx_ne_u64_e32 0x7f800000, v[84:85]
	s_xor_b32 s29, exec_lo, s10
	s_cbranch_execz .LBB2_3765
; %bb.3752:                             ;   in Loop: Header=BB2_3151 Depth=2
	v_and_b32_e32 v84, 0x7fffffff, v82
	v_mov_b32_e32 v85, v33
	v_and_b32_e32 v30, 0x80, v30
                                        ; implicit-def: $vgpr115
	s_mov_b32 s10, exec_lo
	s_delay_alu instid0(VALU_DEP_2)
	v_cmpx_gt_u64_e32 0x47600001, v[84:85]
	s_xor_b32 s40, exec_lo, s10
	s_cbranch_execz .LBB2_3762
; %bb.3753:                             ;   in Loop: Header=BB2_3151 Depth=2
	v_mov_b32_e32 v115, 0
	s_mov_b32 s41, exec_lo
	v_cmpx_ne_u32_e32 0, v82
	s_cbranch_execz .LBB2_3761
; %bb.3754:                             ;   in Loop: Header=BB2_3151 Depth=2
	v_bfe_u32 v87, v82, 23, 8
	v_or_b32_e32 v84, 0x800000, v32
	s_delay_alu instid0(VALU_DEP_2) | instskip(SKIP_1) | instid1(VALU_DEP_2)
	v_sub_nc_u32_e32 v82, 0x71, v87
	v_cmp_gt_u32_e32 vcc_lo, 0x72, v87
	v_cndmask_b32_e32 v82, 0, v82, vcc_lo
	v_cmp_eq_u32_e32 vcc_lo, 0, v87
	s_delay_alu instid0(VALU_DEP_2) | instskip(NEXT) | instid1(VALU_DEP_1)
	v_cndmask_b32_e64 v115, v82, 0x70, vcc_lo
	v_dual_cndmask_b32 v32, v84, v32, vcc_lo :: v_dual_add_nc_u32 v82, 21, v115
	v_add_nc_u32_e32 v85, 20, v115
	s_delay_alu instid0(VALU_DEP_2) | instskip(NEXT) | instid1(VALU_DEP_2)
	v_lshlrev_b64_e64 v[82:83], v82, -1
	v_lshlrev_b64_e64 v[84:85], v85, 1
	s_delay_alu instid0(VALU_DEP_2) | instskip(NEXT) | instid1(VALU_DEP_3)
	v_bfi_b32 v59, v83, 0, 0
	v_bfi_b32 v58, v82, 0, v32
	v_lshrrev_b64 v[82:83], v115, v[32:33]
	s_delay_alu instid0(VALU_DEP_2) | instskip(NEXT) | instid1(VALU_DEP_2)
	v_cmp_eq_u64_e64 s10, v[58:59], v[84:85]
	v_mov_b64_e32 v[84:85], v[82:83]
	s_and_saveexec_b32 s42, s10
; %bb.3755:                             ;   in Loop: Header=BB2_3151 Depth=2
	v_bfe_u32 v32, v82, 21, 1
	s_delay_alu instid0(VALU_DEP_1) | instskip(NEXT) | instid1(VALU_DEP_1)
	v_add_nc_u64_e32 v[84:85], v[82:83], v[32:33]
	v_add_nc_u64_e32 v[84:85], -1, v[84:85]
; %bb.3756:                             ;   in Loop: Header=BB2_3151 Depth=2
	s_or_b32 exec_lo, exec_lo, s42
	v_add_nc_u32_e32 v32, 0xffffff81, v87
	v_lshrrev_b32_e32 v83, 23, v82
	s_mov_b32 s10, exec_lo
	s_delay_alu instid0(VALU_DEP_2) | instskip(NEXT) | instid1(VALU_DEP_1)
	v_cndmask_b32_e64 v32, v32, 0xffffff82, vcc_lo
	v_add3_u32 v85, v115, v32, v83
	v_and_b32_e32 v32, 0x1fffff, v84
                                        ; implicit-def: $vgpr84
	s_delay_alu instid0(VALU_DEP_1) | instskip(NEXT) | instid1(VALU_DEP_1)
	v_dual_add_nc_u32 v87, 14, v85 :: v_dual_add_nc_u32 v32, v32, v82
                                        ; implicit-def: $vgpr82_vgpr83
	v_cmpx_ne_u32_e32 0, v87
	s_xor_b32 s10, exec_lo, s10
; %bb.3757:                             ;   in Loop: Header=BB2_3151 Depth=2
	s_delay_alu instid0(VALU_DEP_2) | instskip(SKIP_1) | instid1(VALU_DEP_1)
	v_cmp_lt_u64_e32 vcc_lo, 0xffffff, v[32:33]
	v_add_nc_u32_e32 v82, 15, v85
	v_cndmask_b32_e32 v84, v87, v82, vcc_lo
	v_cndmask_b32_e64 v82, 0, 1, vcc_lo
	s_delay_alu instid0(VALU_DEP_1)
	v_lshrrev_b64 v[82:83], v82, v[32:33]
; %bb.3758:                             ;   in Loop: Header=BB2_3151 Depth=2
	s_and_not1_saveexec_b32 s10, s10
; %bb.3759:                             ;   in Loop: Header=BB2_3151 Depth=2
	v_mov_b64_e32 v[82:83], v[32:33]
	v_bfe_u32 v84, v32, 23, 1
; %bb.3760:                             ;   in Loop: Header=BB2_3151 Depth=2
	s_or_b32 exec_lo, exec_lo, s10
	s_delay_alu instid0(VALU_DEP_2) | instskip(NEXT) | instid1(VALU_DEP_2)
	v_lshrrev_b64 v[82:83], 21, v[82:83]
	v_cmp_gt_i32_e32 vcc_lo, 32, v84
	v_min_i32_e32 v32, 31, v84
	v_cmp_eq_u32_e64 s10, 0, v84
	s_delay_alu instid0(VALU_DEP_2) | instskip(SKIP_1) | instid1(VALU_DEP_2)
	v_dual_cndmask_b32 v83, 0, v83 :: v_dual_lshlrev_b32 v32, 2, v32
	v_cndmask_b32_e32 v82, 3, v82, vcc_lo
	v_and_b32_e32 v32, 0xfc, v32
	s_delay_alu instid0(VALU_DEP_2) | instskip(NEXT) | instid1(VALU_DEP_2)
	v_cmp_eq_u64_e32 vcc_lo, 0, v[82:83]
	v_and_or_b32 v32, v82, 3, v32
	s_and_b32 s10, s10, vcc_lo
	s_delay_alu instid0(VALU_DEP_1) | instid1(SALU_CYCLE_1)
	v_cndmask_b32_e64 v32, v32, 0, s10
	s_delay_alu instid0(VALU_DEP_1)
	v_or_b32_e32 v115, v32, v30
.LBB2_3761:                             ;   in Loop: Header=BB2_3151 Depth=2
	s_or_b32 exec_lo, exec_lo, s41
                                        ; implicit-def: $vgpr30
.LBB2_3762:                             ;   in Loop: Header=BB2_3151 Depth=2
	s_and_not1_saveexec_b32 s10, s40
; %bb.3763:                             ;   in Loop: Header=BB2_3151 Depth=2
	v_or_b32_e32 v115, 0x7b, v30
; %bb.3764:                             ;   in Loop: Header=BB2_3151 Depth=2
	s_or_b32 exec_lo, exec_lo, s10
                                        ; implicit-def: $vgpr82
                                        ; implicit-def: $vgpr30
.LBB2_3765:                             ;   in Loop: Header=BB2_3151 Depth=2
	s_and_not1_saveexec_b32 s10, s29
	s_cbranch_execz .LBB2_3771
; %bb.3766:                             ;   in Loop: Header=BB2_3151 Depth=2
	s_mov_b32 s29, exec_lo
                                        ; implicit-def: $vgpr115
	v_cmpx_ne_u64_e32 0, v[32:33]
	s_xor_b32 s29, exec_lo, s29
; %bb.3767:                             ;   in Loop: Header=BB2_3151 Depth=2
	v_or_b32_e32 v115, 0x7f, v30
                                        ; implicit-def: $vgpr82
; %bb.3768:                             ;   in Loop: Header=BB2_3151 Depth=2
	s_and_not1_saveexec_b32 s29, s29
; %bb.3769:                             ;   in Loop: Header=BB2_3151 Depth=2
	v_cmp_lt_i32_e32 vcc_lo, -1, v82
	v_cndmask_b32_e32 v115, 0xfc, v46, vcc_lo
; %bb.3770:                             ;   in Loop: Header=BB2_3151 Depth=2
	s_or_b32 exec_lo, exec_lo, s29
.LBB2_3771:                             ;   in Loop: Header=BB2_3151 Depth=2
	s_delay_alu instid0(SALU_CYCLE_1) | instskip(SKIP_4) | instid1(VALU_DEP_2)
	s_or_b32 exec_lo, exec_lo, s10
	v_lshl_or_b32 v30, v118, 8, v86
	v_dual_lshlrev_b32 v32, 16, v40 :: v_dual_lshlrev_b32 v82, 24, v41
	v_mov_b32_e32 v84, 0
	s_mov_b32 s10, exec_lo
	v_or3_b32 v32, v32, v82, v30
	v_cmpx_ne_u32_e32 0, v86
	s_cbranch_execz .LBB2_3781
; %bb.3772:                             ;   in Loop: Header=BB2_3151 Depth=2
	v_bfrev_b32_e32 v84, 1
	s_mov_b32 s29, exec_lo
	v_cmpx_ne_u32_e32 0x80, v86
	s_cbranch_execz .LBB2_3780
; %bb.3773:                             ;   in Loop: Header=BB2_3151 Depth=2
	v_and_b32_e32 v83, 0x7c, v86
	v_and_b32_e32 v82, 3, v86
	s_mov_b32 s40, exec_lo
                                        ; implicit-def: $vgpr84
	s_delay_alu instid0(VALU_DEP_2)
	v_cmpx_ne_u32_e32 0x7c, v83
	s_xor_b32 s40, exec_lo, s40
	s_cbranch_execz .LBB2_3777
; %bb.3774:                             ;   in Loop: Header=BB2_3151 Depth=2
	v_bfe_u32 v83, v86, 2, 5
	s_mov_b32 s41, exec_lo
	s_delay_alu instid0(VALU_DEP_1)
	v_cmpx_eq_u32_e32 0, v83
; %bb.3775:                             ;   in Loop: Header=BB2_3151 Depth=2
	v_clz_i32_u32_e32 v82, v82
	s_delay_alu instid0(VALU_DEP_1) | instskip(NEXT) | instid1(VALU_DEP_1)
	v_min_u32_e32 v84, 32, v82
	v_subrev_nc_u32_e32 v82, 29, v84
	s_delay_alu instid0(VALU_DEP_1) | instskip(NEXT) | instid1(VALU_DEP_1)
	v_lshlrev_b64_e32 v[82:83], v82, v[32:33]
	v_dual_sub_nc_u32 v83, 30, v84 :: v_dual_bitop2_b32 v82, 3, v82 bitop3:0x40
; %bb.3776:                             ;   in Loop: Header=BB2_3151 Depth=2
	s_or_b32 exec_lo, exec_lo, s41
	v_lshlrev_b32_e32 v84, 24, v86
                                        ; implicit-def: $vgpr86
	s_delay_alu instid0(VALU_DEP_1) | instskip(NEXT) | instid1(VALU_DEP_1)
	v_and_b32_e32 v84, 0x80000000, v84
	v_lshl_add_u32 v83, v83, 23, v84
	s_delay_alu instid0(VALU_DEP_1) | instskip(NEXT) | instid1(VALU_DEP_1)
	v_lshl_or_b32 v82, v82, 21, v83
	v_add_nc_u32_e32 v84, 0x38000000, v82
                                        ; implicit-def: $vgpr82
.LBB2_3777:                             ;   in Loop: Header=BB2_3151 Depth=2
	s_and_not1_saveexec_b32 s40, s40
; %bb.3778:                             ;   in Loop: Header=BB2_3151 Depth=2
	v_and_b32_e32 v83, 0x80, v86
	s_delay_alu instid0(VALU_DEP_1) | instskip(SKIP_2) | instid1(VALU_DEP_2)
	v_cmp_eq_u32_e32 vcc_lo, 0, v83
	v_cndmask_b32_e32 v83, 0xff800000, v45, vcc_lo
	v_cmp_eq_u32_e32 vcc_lo, 0, v82
	v_cndmask_b32_e32 v84, 0x7f800001, v83, vcc_lo
; %bb.3779:                             ;   in Loop: Header=BB2_3151 Depth=2
	s_or_b32 exec_lo, exec_lo, s40
.LBB2_3780:                             ;   in Loop: Header=BB2_3151 Depth=2
	s_delay_alu instid0(SALU_CYCLE_1)
	s_or_b32 exec_lo, exec_lo, s29
.LBB2_3781:                             ;   in Loop: Header=BB2_3151 Depth=2
	s_delay_alu instid0(SALU_CYCLE_1) | instskip(SKIP_4) | instid1(VALU_DEP_2)
	s_or_b32 exec_lo, exec_lo, s10
	v_and_b32_e32 v83, 0xff, v11
	v_mov_b32_e32 v82, v11
	s_mov_b32 s29, 0
	s_mov_b32 s10, exec_lo
	v_cmpx_lt_i16_e32 0x7f, v83
	s_xor_b32 s10, exec_lo, s10
	s_cbranch_execnz .LBB2_4178
; %bb.3782:                             ;   in Loop: Header=BB2_3151 Depth=2
	s_or_saveexec_b32 s10, s10
	v_bfrev_b32_e32 v85, 1
	s_xor_b32 exec_lo, exec_lo, s10
	s_cbranch_execnz .LBB2_4181
.LBB2_3783:                             ;   in Loop: Header=BB2_3151 Depth=2
	s_or_b32 exec_lo, exec_lo, s10
	v_mov_b32_e32 v83, v33
	s_and_saveexec_b32 s10, s29
	s_cbranch_execz .LBB2_3785
.LBB2_3784:                             ;   in Loop: Header=BB2_3151 Depth=2
	v_and_b32_e32 v85, 3, v11
	s_delay_alu instid0(VALU_DEP_1) | instskip(NEXT) | instid1(VALU_DEP_1)
	v_clz_i32_u32_e32 v86, v85
	v_min_u32_e32 v118, 32, v86
	s_delay_alu instid0(VALU_DEP_1) | instskip(SKIP_1) | instid1(VALU_DEP_2)
	v_subrev_nc_u32_e32 v86, 29, v118
	v_sub_nc_u32_e32 v118, 30, v118
	v_lshlrev_b64_e32 v[86:87], v86, v[82:83]
	v_bfe_u32 v87, v11, 2, 5
	v_lshlrev_b32_e32 v83, 24, v11
	s_delay_alu instid0(VALU_DEP_2) | instskip(NEXT) | instid1(VALU_DEP_2)
	v_cmp_eq_u32_e32 vcc_lo, 0, v87
	v_and_b32_e32 v83, 0x80000000, v83
	v_and_b32_e32 v86, 3, v86
	v_cndmask_b32_e32 v87, v87, v118, vcc_lo
	v_bfe_i32 v118, v11, 0, 8
	s_delay_alu instid0(VALU_DEP_3) | instskip(NEXT) | instid1(VALU_DEP_3)
	v_cndmask_b32_e32 v86, v85, v86, vcc_lo
	v_lshl_add_u32 v83, v87, 23, v83
	s_delay_alu instid0(VALU_DEP_3) | instskip(NEXT) | instid1(VALU_DEP_2)
	v_cmp_lt_i16_e32 vcc_lo, -1, v118
	v_lshl_or_b32 v83, v86, 21, v83
	v_cndmask_b32_e32 v87, 0xff800000, v45, vcc_lo
	v_and_b32_e32 v86, 0x7c, v11
	v_cmp_eq_u32_e32 vcc_lo, 0, v85
	s_delay_alu instid0(VALU_DEP_4) | instskip(NEXT) | instid1(VALU_DEP_4)
	v_add_nc_u32_e32 v83, 0x38000000, v83
	v_cndmask_b32_e32 v85, 0x7f800001, v87, vcc_lo
	s_delay_alu instid0(VALU_DEP_4) | instskip(NEXT) | instid1(VALU_DEP_2)
	v_cmp_eq_u32_e32 vcc_lo, 0x7c, v86
	v_cndmask_b32_e32 v85, v83, v85, vcc_lo
.LBB2_3785:                             ;   in Loop: Header=BB2_3151 Depth=2
	s_or_b32 exec_lo, exec_lo, s10
	s_delay_alu instid0(VALU_DEP_1) | instskip(SKIP_2) | instid1(VALU_DEP_2)
	v_dual_add_f32 v87, v84, v85 :: v_dual_mov_b32 v41, v33
	v_mov_b32_e32 v85, v33
                                        ; implicit-def: $vgpr86
	s_mov_b32 s10, exec_lo
	v_and_b32_e32 v40, 0x7f800000, v87
	v_and_b32_e32 v84, 0x7fffff, v87
	v_lshrrev_b32_e32 v83, 24, v87
	s_delay_alu instid0(VALU_DEP_3)
	v_cmpx_ne_u64_e32 0x7f800000, v[40:41]
	s_xor_b32 s29, exec_lo, s10
	s_cbranch_execz .LBB2_3799
; %bb.3786:                             ;   in Loop: Header=BB2_3151 Depth=2
	v_and_b32_e32 v40, 0x7fffffff, v87
	v_mov_b32_e32 v41, v33
	v_and_b32_e32 v83, 0x80, v83
                                        ; implicit-def: $vgpr86
	s_mov_b32 s10, exec_lo
	s_delay_alu instid0(VALU_DEP_2)
	v_cmpx_gt_u64_e32 0x47600001, v[40:41]
	s_xor_b32 s40, exec_lo, s10
	s_cbranch_execz .LBB2_3796
; %bb.3787:                             ;   in Loop: Header=BB2_3151 Depth=2
	v_mov_b32_e32 v86, 0
	s_mov_b32 s41, exec_lo
	v_cmpx_ne_u32_e32 0, v87
	s_cbranch_execz .LBB2_3795
; %bb.3788:                             ;   in Loop: Header=BB2_3151 Depth=2
	v_bfe_u32 v118, v87, 23, 8
	v_or_b32_e32 v41, 0x800000, v84
	s_delay_alu instid0(VALU_DEP_2) | instskip(SKIP_1) | instid1(VALU_DEP_2)
	v_sub_nc_u32_e32 v86, 0x71, v118
	v_cmp_gt_u32_e32 vcc_lo, 0x72, v118
	v_cndmask_b32_e32 v86, 0, v86, vcc_lo
	v_cmp_eq_u32_e32 vcc_lo, 0, v118
	s_delay_alu instid0(VALU_DEP_2) | instskip(SKIP_1) | instid1(VALU_DEP_2)
	v_cndmask_b32_e64 v40, v86, 0x70, vcc_lo
	v_cndmask_b32_e32 v84, v41, v84, vcc_lo
	v_dual_add_nc_u32 v86, 21, v40 :: v_dual_add_nc_u32 v58, 20, v40
	s_delay_alu instid0(VALU_DEP_1) | instskip(NEXT) | instid1(VALU_DEP_2)
	v_lshlrev_b64_e64 v[86:87], v86, -1
	v_lshlrev_b64_e64 v[58:59], v58, 1
	s_delay_alu instid0(VALU_DEP_2) | instskip(SKIP_1) | instid1(VALU_DEP_4)
	v_bfi_b32 v86, v86, 0, v84
	v_lshrrev_b64 v[84:85], v40, v[84:85]
	v_bfi_b32 v87, v87, 0, 0
	s_delay_alu instid0(VALU_DEP_1) | instskip(NEXT) | instid1(VALU_DEP_3)
	v_cmp_eq_u64_e64 s10, v[86:87], v[58:59]
	v_mov_b64_e32 v[86:87], v[84:85]
	s_and_saveexec_b32 s42, s10
; %bb.3789:                             ;   in Loop: Header=BB2_3151 Depth=2
	v_bfe_u32 v86, v84, 21, 1
	v_mov_b32_e32 v87, v33
	s_delay_alu instid0(VALU_DEP_1) | instskip(NEXT) | instid1(VALU_DEP_1)
	v_add_nc_u64_e32 v[86:87], v[84:85], v[86:87]
	v_add_nc_u64_e32 v[86:87], -1, v[86:87]
; %bb.3790:                             ;   in Loop: Header=BB2_3151 Depth=2
	s_or_b32 exec_lo, exec_lo, s42
	v_add_nc_u32_e32 v85, 0xffffff81, v118
	v_lshrrev_b32_e32 v87, 23, v84
	s_mov_b32 s10, exec_lo
	s_delay_alu instid0(VALU_DEP_2) | instskip(NEXT) | instid1(VALU_DEP_1)
	v_cndmask_b32_e64 v85, v85, 0xffffff82, vcc_lo
	v_add3_u32 v87, v40, v85, v87
	v_and_b32_e32 v85, 0x1fffff, v86
                                        ; implicit-def: $vgpr86
	s_delay_alu instid0(VALU_DEP_1) | instskip(SKIP_1) | instid1(VALU_DEP_2)
	v_dual_add_nc_u32 v118, 14, v87 :: v_dual_add_nc_u32 v84, v85, v84
	v_mov_b32_e32 v85, v33
	v_cmpx_ne_u32_e32 0, v118
	s_xor_b32 s10, exec_lo, s10
; %bb.3791:                             ;   in Loop: Header=BB2_3151 Depth=2
	s_delay_alu instid0(VALU_DEP_2) | instskip(SKIP_2) | instid1(VALU_DEP_2)
	v_cmp_lt_u64_e32 vcc_lo, 0xffffff, v[84:85]
	v_add_nc_u32_e32 v86, 15, v87
	v_cndmask_b32_e64 v87, 0, 1, vcc_lo
	v_cndmask_b32_e32 v86, v118, v86, vcc_lo
	s_delay_alu instid0(VALU_DEP_2)
	v_lshrrev_b64 v[84:85], v87, v[84:85]
; %bb.3792:                             ;   in Loop: Header=BB2_3151 Depth=2
	s_and_not1_saveexec_b32 s10, s10
; %bb.3793:                             ;   in Loop: Header=BB2_3151 Depth=2
	s_delay_alu instid0(VALU_DEP_1)
	v_bfe_u32 v86, v84, 23, 1
; %bb.3794:                             ;   in Loop: Header=BB2_3151 Depth=2
	s_or_b32 exec_lo, exec_lo, s10
	s_delay_alu instid0(VALU_DEP_2) | instskip(NEXT) | instid1(VALU_DEP_2)
	v_lshrrev_b64 v[84:85], 21, v[84:85]
	v_cmp_gt_i32_e32 vcc_lo, 32, v86
	v_min_i32_e32 v87, 31, v86
	v_cmp_eq_u32_e64 s10, 0, v86
	s_delay_alu instid0(VALU_DEP_2) | instskip(SKIP_1) | instid1(VALU_DEP_2)
	v_dual_cndmask_b32 v85, 0, v85, vcc_lo :: v_dual_lshlrev_b32 v87, 2, v87
	v_cndmask_b32_e32 v84, 3, v84, vcc_lo
	v_and_b32_e32 v87, 0xfc, v87
	s_delay_alu instid0(VALU_DEP_2) | instskip(NEXT) | instid1(VALU_DEP_2)
	v_cmp_eq_u64_e32 vcc_lo, 0, v[84:85]
	v_and_or_b32 v84, v84, 3, v87
	s_and_b32 s10, s10, vcc_lo
	s_delay_alu instid0(VALU_DEP_1) | instid1(SALU_CYCLE_1)
	v_cndmask_b32_e64 v84, v84, 0, s10
	s_delay_alu instid0(VALU_DEP_1)
	v_or_b32_e32 v86, v84, v83
.LBB2_3795:                             ;   in Loop: Header=BB2_3151 Depth=2
	s_or_b32 exec_lo, exec_lo, s41
                                        ; implicit-def: $vgpr83
.LBB2_3796:                             ;   in Loop: Header=BB2_3151 Depth=2
	s_and_not1_saveexec_b32 s10, s40
; %bb.3797:                             ;   in Loop: Header=BB2_3151 Depth=2
	v_or_b32_e32 v86, 0x7b, v83
; %bb.3798:                             ;   in Loop: Header=BB2_3151 Depth=2
	s_or_b32 exec_lo, exec_lo, s10
                                        ; implicit-def: $vgpr87
                                        ; implicit-def: $vgpr84_vgpr85
                                        ; implicit-def: $vgpr83
.LBB2_3799:                             ;   in Loop: Header=BB2_3151 Depth=2
	s_and_not1_saveexec_b32 s10, s29
	s_cbranch_execz .LBB2_3805
; %bb.3800:                             ;   in Loop: Header=BB2_3151 Depth=2
	s_mov_b32 s29, exec_lo
                                        ; implicit-def: $vgpr86
	v_cmpx_ne_u64_e32 0, v[84:85]
	s_xor_b32 s29, exec_lo, s29
; %bb.3801:                             ;   in Loop: Header=BB2_3151 Depth=2
	v_or_b32_e32 v86, 0x7f, v83
                                        ; implicit-def: $vgpr87
; %bb.3802:                             ;   in Loop: Header=BB2_3151 Depth=2
	s_and_not1_saveexec_b32 s29, s29
; %bb.3803:                             ;   in Loop: Header=BB2_3151 Depth=2
	v_cmp_lt_i32_e32 vcc_lo, -1, v87
	v_cndmask_b32_e32 v86, 0xfc, v46, vcc_lo
; %bb.3804:                             ;   in Loop: Header=BB2_3151 Depth=2
	s_or_b32 exec_lo, exec_lo, s29
.LBB2_3805:                             ;   in Loop: Header=BB2_3151 Depth=2
	s_delay_alu instid0(SALU_CYCLE_1) | instskip(SKIP_3) | instid1(VALU_DEP_2)
	s_or_b32 exec_lo, exec_lo, s10
	v_lshrrev_b16 v84, 8, v30
	v_mov_b32_e32 v83, 0
	s_mov_b32 s10, exec_lo
	v_cmpx_ne_u16_e32 0, v84
	s_cbranch_execz .LBB2_3815
; %bb.3806:                             ;   in Loop: Header=BB2_3151 Depth=2
	v_bfrev_b32_e32 v83, 1
	s_mov_b32 s29, exec_lo
	v_cmpx_ne_u16_e32 0x80, v84
	s_cbranch_execz .LBB2_3814
; %bb.3807:                             ;   in Loop: Header=BB2_3151 Depth=2
	v_and_b32_e32 v87, 0xffff, v84
	s_delay_alu instid0(VALU_DEP_1) | instskip(SKIP_1) | instid1(VALU_DEP_2)
	v_and_b32_e32 v83, 0x7c, v87
	v_and_b32_e32 v85, 3, v87
	v_cmp_ne_u32_e32 vcc_lo, 0x7c, v83
                                        ; implicit-def: $vgpr83
	s_and_saveexec_b32 s40, vcc_lo
	s_delay_alu instid0(SALU_CYCLE_1)
	s_xor_b32 s40, exec_lo, s40
	s_cbranch_execz .LBB2_3811
; %bb.3808:                             ;   in Loop: Header=BB2_3151 Depth=2
	v_bfe_u32 v83, v87, 2, 5
	s_mov_b32 s41, exec_lo
	s_delay_alu instid0(VALU_DEP_1)
	v_cmpx_eq_u32_e32 0, v83
	s_cbranch_execz .LBB2_3810
; %bb.3809:                             ;   in Loop: Header=BB2_3151 Depth=2
	v_clz_i32_u32_e32 v83, v85
	s_delay_alu instid0(VALU_DEP_1) | instskip(SKIP_1) | instid1(VALU_DEP_2)
	v_min_u32_e32 v83, 32, v83
	v_mov_b32_e32 v85, v33
	v_subrev_nc_u32_e32 v87, 29, v83
	v_sub_nc_u32_e32 v83, 30, v83
	s_delay_alu instid0(VALU_DEP_2) | instskip(NEXT) | instid1(VALU_DEP_1)
	v_lshlrev_b64_e32 v[84:85], v87, v[84:85]
	v_and_b32_e32 v85, 3, v84
.LBB2_3810:                             ;   in Loop: Header=BB2_3151 Depth=2
	s_or_b32 exec_lo, exec_lo, s41
	v_lshlrev_b32_e32 v30, 16, v30
	s_delay_alu instid0(VALU_DEP_1) | instskip(NEXT) | instid1(VALU_DEP_1)
	v_and_b32_e32 v30, 0x80000000, v30
	v_lshl_add_u32 v30, v83, 23, v30
	s_delay_alu instid0(VALU_DEP_1) | instskip(NEXT) | instid1(VALU_DEP_1)
	v_lshl_or_b32 v30, v85, 21, v30
                                        ; implicit-def: $vgpr85
	v_add_nc_u32_e32 v83, 0x38000000, v30
                                        ; implicit-def: $vgpr30
.LBB2_3811:                             ;   in Loop: Header=BB2_3151 Depth=2
	s_and_not1_saveexec_b32 s40, s40
; %bb.3812:                             ;   in Loop: Header=BB2_3151 Depth=2
	v_cmp_lt_i16_e32 vcc_lo, -1, v30
	v_cndmask_b32_e32 v30, 0xff800000, v45, vcc_lo
	v_cmp_eq_u32_e32 vcc_lo, 0, v85
	s_delay_alu instid0(VALU_DEP_2)
	v_cndmask_b32_e32 v83, 0x7f800001, v30, vcc_lo
; %bb.3813:                             ;   in Loop: Header=BB2_3151 Depth=2
	s_or_b32 exec_lo, exec_lo, s40
.LBB2_3814:                             ;   in Loop: Header=BB2_3151 Depth=2
	s_delay_alu instid0(SALU_CYCLE_1)
	s_or_b32 exec_lo, exec_lo, s29
.LBB2_3815:                             ;   in Loop: Header=BB2_3151 Depth=2
	s_delay_alu instid0(SALU_CYCLE_1) | instskip(SKIP_3) | instid1(VALU_DEP_1)
	s_or_b32 exec_lo, exec_lo, s10
	v_lshrrev_b16 v84, 8, v82
	s_mov_b32 s29, 0
	s_mov_b32 s10, exec_lo
	v_cmpx_lt_i16_e32 0x7f, v84
	s_xor_b32 s10, exec_lo, s10
	s_cbranch_execnz .LBB2_4182
; %bb.3816:                             ;   in Loop: Header=BB2_3151 Depth=2
	s_or_saveexec_b32 s10, s10
	v_bfrev_b32_e32 v30, 1
	s_xor_b32 exec_lo, exec_lo, s10
	s_cbranch_execnz .LBB2_4185
.LBB2_3817:                             ;   in Loop: Header=BB2_3151 Depth=2
	s_or_b32 exec_lo, exec_lo, s10
	s_and_saveexec_b32 s10, s29
	s_cbranch_execz .LBB2_3819
.LBB2_3818:                             ;   in Loop: Header=BB2_3151 Depth=2
	v_and_b32_e32 v30, 0xffff, v84
	s_delay_alu instid0(VALU_DEP_1) | instskip(NEXT) | instid1(VALU_DEP_1)
	v_and_b32_e32 v87, 3, v30
	v_clz_i32_u32_e32 v85, v87
	s_delay_alu instid0(VALU_DEP_1) | instskip(SKIP_1) | instid1(VALU_DEP_2)
	v_min_u32_e32 v118, 32, v85
	v_mov_b32_e32 v85, v33
	v_subrev_nc_u32_e32 v40, 29, v118
	v_sub_nc_u32_e32 v118, 30, v118
	s_delay_alu instid0(VALU_DEP_2) | instskip(SKIP_3) | instid1(VALU_DEP_3)
	v_lshlrev_b64_e32 v[40:41], v40, v[84:85]
	v_bfe_u32 v85, v30, 2, 5
	v_lshlrev_b32_e32 v84, 24, v84
	v_and_b32_e32 v30, 0x7c, v30
	v_cmp_eq_u32_e32 vcc_lo, 0, v85
	s_delay_alu instid0(VALU_DEP_3) | instskip(SKIP_1) | instid1(VALU_DEP_1)
	v_and_b32_e32 v84, 0x80000000, v84
	v_dual_cndmask_b32 v85, v85, v118, vcc_lo :: v_dual_bitop2_b32 v40, 3, v40 bitop3:0x40
	v_cndmask_b32_e32 v118, v87, v40, vcc_lo
	v_cmp_lt_i16_e32 vcc_lo, -1, v82
	s_delay_alu instid0(VALU_DEP_3) | instskip(SKIP_2) | instid1(VALU_DEP_3)
	v_lshl_add_u32 v84, v85, 23, v84
	v_cndmask_b32_e32 v82, 0xff800000, v45, vcc_lo
	v_cmp_eq_u32_e32 vcc_lo, 0, v87
	v_lshl_or_b32 v84, v118, 21, v84
	s_delay_alu instid0(VALU_DEP_3) | instskip(NEXT) | instid1(VALU_DEP_2)
	v_cndmask_b32_e32 v82, 0x7f800001, v82, vcc_lo
	v_add_nc_u32_e32 v84, 0x38000000, v84
	v_cmp_eq_u32_e32 vcc_lo, 0x7c, v30
	s_delay_alu instid0(VALU_DEP_2)
	v_cndmask_b32_e32 v30, v84, v82, vcc_lo
.LBB2_3819:                             ;   in Loop: Header=BB2_3151 Depth=2
	s_or_b32 exec_lo, exec_lo, s10
	s_delay_alu instid0(VALU_DEP_1) | instskip(SKIP_2) | instid1(VALU_DEP_2)
	v_dual_add_f32 v84, v83, v30 :: v_dual_mov_b32 v41, v33
	v_mov_b32_e32 v83, v33
                                        ; implicit-def: $vgpr87
	s_mov_b32 s10, exec_lo
	v_and_b32_e32 v40, 0x7f800000, v84
	v_and_b32_e32 v82, 0x7fffff, v84
	v_lshrrev_b32_e32 v30, 24, v84
	s_delay_alu instid0(VALU_DEP_3)
	v_cmpx_ne_u64_e32 0x7f800000, v[40:41]
	s_xor_b32 s29, exec_lo, s10
	s_cbranch_execz .LBB2_3833
; %bb.3820:                             ;   in Loop: Header=BB2_3151 Depth=2
	v_and_b32_e32 v40, 0x7fffffff, v84
	v_mov_b32_e32 v41, v33
	v_and_b32_e32 v30, 0x80, v30
                                        ; implicit-def: $vgpr87
	s_mov_b32 s10, exec_lo
	s_delay_alu instid0(VALU_DEP_2)
	v_cmpx_gt_u64_e32 0x47600001, v[40:41]
	s_xor_b32 s40, exec_lo, s10
	s_cbranch_execz .LBB2_3830
; %bb.3821:                             ;   in Loop: Header=BB2_3151 Depth=2
	v_mov_b32_e32 v87, 0
	s_mov_b32 s41, exec_lo
	v_cmpx_ne_u32_e32 0, v84
	s_cbranch_execz .LBB2_3829
; %bb.3822:                             ;   in Loop: Header=BB2_3151 Depth=2
	v_bfe_u32 v87, v84, 23, 8
	v_or_b32_e32 v40, 0x800000, v82
	s_delay_alu instid0(VALU_DEP_2) | instskip(SKIP_1) | instid1(VALU_DEP_2)
	v_sub_nc_u32_e32 v84, 0x71, v87
	v_cmp_gt_u32_e32 vcc_lo, 0x72, v87
	v_cndmask_b32_e32 v84, 0, v84, vcc_lo
	v_cmp_eq_u32_e32 vcc_lo, 0, v87
	s_delay_alu instid0(VALU_DEP_2) | instskip(SKIP_1) | instid1(VALU_DEP_2)
	v_cndmask_b32_e64 v118, v84, 0x70, vcc_lo
	v_cndmask_b32_e32 v82, v40, v82, vcc_lo
	v_dual_add_nc_u32 v84, 21, v118 :: v_dual_add_nc_u32 v41, 20, v118
	s_delay_alu instid0(VALU_DEP_1) | instskip(NEXT) | instid1(VALU_DEP_2)
	v_lshlrev_b64_e64 v[84:85], v84, -1
	v_lshlrev_b64_e64 v[40:41], v41, 1
	s_delay_alu instid0(VALU_DEP_2) | instskip(SKIP_1) | instid1(VALU_DEP_4)
	v_bfi_b32 v84, v84, 0, v82
	v_lshrrev_b64 v[82:83], v118, v[82:83]
	v_bfi_b32 v85, v85, 0, 0
	s_delay_alu instid0(VALU_DEP_1) | instskip(NEXT) | instid1(VALU_DEP_3)
	v_cmp_eq_u64_e64 s10, v[84:85], v[40:41]
	v_mov_b64_e32 v[84:85], v[82:83]
	s_and_saveexec_b32 s42, s10
; %bb.3823:                             ;   in Loop: Header=BB2_3151 Depth=2
	v_bfe_u32 v84, v82, 21, 1
	v_mov_b32_e32 v85, v33
	s_delay_alu instid0(VALU_DEP_1) | instskip(NEXT) | instid1(VALU_DEP_1)
	v_add_nc_u64_e32 v[84:85], v[82:83], v[84:85]
	v_add_nc_u64_e32 v[84:85], -1, v[84:85]
; %bb.3824:                             ;   in Loop: Header=BB2_3151 Depth=2
	s_or_b32 exec_lo, exec_lo, s42
	v_add_nc_u32_e32 v83, 0xffffff81, v87
	v_lshrrev_b32_e32 v85, 23, v82
	s_mov_b32 s10, exec_lo
	s_delay_alu instid0(VALU_DEP_2) | instskip(NEXT) | instid1(VALU_DEP_1)
	v_cndmask_b32_e64 v83, v83, 0xffffff82, vcc_lo
	v_add3_u32 v85, v118, v83, v85
	v_and_b32_e32 v83, 0x1fffff, v84
                                        ; implicit-def: $vgpr84
	s_delay_alu instid0(VALU_DEP_1) | instskip(SKIP_1) | instid1(VALU_DEP_2)
	v_dual_add_nc_u32 v87, 14, v85 :: v_dual_add_nc_u32 v82, v83, v82
	v_mov_b32_e32 v83, v33
	v_cmpx_ne_u32_e32 0, v87
	s_xor_b32 s10, exec_lo, s10
; %bb.3825:                             ;   in Loop: Header=BB2_3151 Depth=2
	s_delay_alu instid0(VALU_DEP_2) | instskip(SKIP_2) | instid1(VALU_DEP_2)
	v_cmp_lt_u64_e32 vcc_lo, 0xffffff, v[82:83]
	v_add_nc_u32_e32 v84, 15, v85
	v_cndmask_b32_e64 v85, 0, 1, vcc_lo
	v_cndmask_b32_e32 v84, v87, v84, vcc_lo
	s_delay_alu instid0(VALU_DEP_2)
	v_lshrrev_b64 v[82:83], v85, v[82:83]
; %bb.3826:                             ;   in Loop: Header=BB2_3151 Depth=2
	s_and_not1_saveexec_b32 s10, s10
; %bb.3827:                             ;   in Loop: Header=BB2_3151 Depth=2
	s_delay_alu instid0(VALU_DEP_1)
	v_bfe_u32 v84, v82, 23, 1
; %bb.3828:                             ;   in Loop: Header=BB2_3151 Depth=2
	s_or_b32 exec_lo, exec_lo, s10
	s_delay_alu instid0(VALU_DEP_2) | instskip(NEXT) | instid1(VALU_DEP_2)
	v_lshrrev_b64 v[82:83], 21, v[82:83]
	v_cmp_gt_i32_e32 vcc_lo, 32, v84
	v_min_i32_e32 v85, 31, v84
	v_cmp_eq_u32_e64 s10, 0, v84
	s_delay_alu instid0(VALU_DEP_2) | instskip(SKIP_1) | instid1(VALU_DEP_2)
	v_dual_cndmask_b32 v83, 0, v83, vcc_lo :: v_dual_lshlrev_b32 v85, 2, v85
	v_cndmask_b32_e32 v82, 3, v82, vcc_lo
	v_and_b32_e32 v85, 0xfc, v85
	s_delay_alu instid0(VALU_DEP_2) | instskip(NEXT) | instid1(VALU_DEP_2)
	v_cmp_eq_u64_e32 vcc_lo, 0, v[82:83]
	v_and_or_b32 v82, v82, 3, v85
	s_and_b32 s10, s10, vcc_lo
	s_delay_alu instid0(VALU_DEP_1) | instid1(SALU_CYCLE_1)
	v_cndmask_b32_e64 v82, v82, 0, s10
	s_delay_alu instid0(VALU_DEP_1)
	v_or_b32_e32 v87, v82, v30
.LBB2_3829:                             ;   in Loop: Header=BB2_3151 Depth=2
	s_or_b32 exec_lo, exec_lo, s41
                                        ; implicit-def: $vgpr30
.LBB2_3830:                             ;   in Loop: Header=BB2_3151 Depth=2
	s_and_not1_saveexec_b32 s10, s40
; %bb.3831:                             ;   in Loop: Header=BB2_3151 Depth=2
	v_or_b32_e32 v87, 0x7b, v30
; %bb.3832:                             ;   in Loop: Header=BB2_3151 Depth=2
	s_or_b32 exec_lo, exec_lo, s10
                                        ; implicit-def: $vgpr84
                                        ; implicit-def: $vgpr82_vgpr83
                                        ; implicit-def: $vgpr30
.LBB2_3833:                             ;   in Loop: Header=BB2_3151 Depth=2
	s_and_not1_saveexec_b32 s10, s29
	s_cbranch_execz .LBB2_3839
; %bb.3834:                             ;   in Loop: Header=BB2_3151 Depth=2
	s_mov_b32 s29, exec_lo
                                        ; implicit-def: $vgpr87
	v_cmpx_ne_u64_e32 0, v[82:83]
	s_xor_b32 s29, exec_lo, s29
; %bb.3835:                             ;   in Loop: Header=BB2_3151 Depth=2
	v_or_b32_e32 v87, 0x7f, v30
                                        ; implicit-def: $vgpr84
; %bb.3836:                             ;   in Loop: Header=BB2_3151 Depth=2
	s_and_not1_saveexec_b32 s29, s29
; %bb.3837:                             ;   in Loop: Header=BB2_3151 Depth=2
	v_cmp_lt_i32_e32 vcc_lo, -1, v84
	v_cndmask_b32_e32 v87, 0xfc, v46, vcc_lo
; %bb.3838:                             ;   in Loop: Header=BB2_3151 Depth=2
	s_or_b32 exec_lo, exec_lo, s29
.LBB2_3839:                             ;   in Loop: Header=BB2_3151 Depth=2
	s_delay_alu instid0(SALU_CYCLE_1) | instskip(SKIP_2) | instid1(VALU_DEP_1)
	s_or_b32 exec_lo, exec_lo, s10
	v_dual_lshrrev_b32 v30, 16, v32 :: v_dual_mov_b32 v82, 0
	s_mov_b32 s10, exec_lo
	v_and_b32_e32 v83, 0xff, v30
	s_delay_alu instid0(VALU_DEP_1)
	v_cmpx_ne_u16_e32 0, v83
	s_cbranch_execz .LBB2_3849
; %bb.3840:                             ;   in Loop: Header=BB2_3151 Depth=2
	v_bfrev_b32_e32 v82, 1
	s_mov_b32 s29, exec_lo
	v_cmpx_ne_u16_e32 0x80, v83
	s_cbranch_execz .LBB2_3848
; %bb.3841:                             ;   in Loop: Header=BB2_3151 Depth=2
	v_and_b32_e32 v82, 0x7c0000, v32
	v_bfe_u32 v83, v32, 16, 2
	s_delay_alu instid0(VALU_DEP_2) | instskip(SKIP_1) | instid1(SALU_CYCLE_1)
	v_cmp_ne_u32_e32 vcc_lo, 0x7c0000, v82
                                        ; implicit-def: $vgpr82
	s_and_saveexec_b32 s40, vcc_lo
	s_xor_b32 s40, exec_lo, s40
	s_cbranch_execz .LBB2_3845
; %bb.3842:                             ;   in Loop: Header=BB2_3151 Depth=2
	v_bfe_u32 v82, v32, 18, 5
	s_mov_b32 s41, exec_lo
	s_delay_alu instid0(VALU_DEP_1)
	v_cmpx_eq_u32_e32 0, v82
; %bb.3843:                             ;   in Loop: Header=BB2_3151 Depth=2
	v_clz_i32_u32_e32 v82, v83
	s_delay_alu instid0(VALU_DEP_1) | instskip(NEXT) | instid1(VALU_DEP_1)
	v_min_u32_e32 v82, 32, v82
	v_subrev_nc_u32_e32 v83, 29, v82
	s_delay_alu instid0(VALU_DEP_1) | instskip(NEXT) | instid1(VALU_DEP_1)
	v_lshlrev_b64_e32 v[84:85], v83, v[30:31]
	v_dual_sub_nc_u32 v82, 30, v82 :: v_dual_bitop2_b32 v83, 3, v84 bitop3:0x40
; %bb.3844:                             ;   in Loop: Header=BB2_3151 Depth=2
	s_or_b32 exec_lo, exec_lo, s41
	v_lshlrev_b32_e32 v30, 24, v30
	s_delay_alu instid0(VALU_DEP_1) | instskip(NEXT) | instid1(VALU_DEP_1)
	v_and_b32_e32 v30, 0x80000000, v30
	v_lshl_add_u32 v30, v82, 23, v30
	s_delay_alu instid0(VALU_DEP_1) | instskip(NEXT) | instid1(VALU_DEP_1)
	v_lshl_or_b32 v30, v83, 21, v30
                                        ; implicit-def: $vgpr83
	v_add_nc_u32_e32 v82, 0x38000000, v30
                                        ; implicit-def: $vgpr30
.LBB2_3845:                             ;   in Loop: Header=BB2_3151 Depth=2
	s_and_not1_saveexec_b32 s40, s40
; %bb.3846:                             ;   in Loop: Header=BB2_3151 Depth=2
	v_bfe_i32 v30, v30, 0, 8
	s_delay_alu instid0(VALU_DEP_1) | instskip(SKIP_2) | instid1(VALU_DEP_2)
	v_cmp_lt_i16_e32 vcc_lo, -1, v30
	v_cndmask_b32_e32 v30, 0xff800000, v45, vcc_lo
	v_cmp_eq_u32_e32 vcc_lo, 0, v83
	v_cndmask_b32_e32 v82, 0x7f800001, v30, vcc_lo
; %bb.3847:                             ;   in Loop: Header=BB2_3151 Depth=2
	s_or_b32 exec_lo, exec_lo, s40
.LBB2_3848:                             ;   in Loop: Header=BB2_3151 Depth=2
	s_delay_alu instid0(SALU_CYCLE_1)
	s_or_b32 exec_lo, exec_lo, s29
.LBB2_3849:                             ;   in Loop: Header=BB2_3151 Depth=2
	s_delay_alu instid0(SALU_CYCLE_1) | instskip(SKIP_3) | instid1(VALU_DEP_1)
	s_or_b32 exec_lo, exec_lo, s10
	v_lshrrev_b32_e32 v30, 16, v11
	s_mov_b32 s29, 0
	s_mov_b32 s10, exec_lo
	v_and_b32_e32 v84, 0xff, v30
	s_delay_alu instid0(VALU_DEP_1)
	v_cmpx_lt_i16_e32 0x7f, v84
	s_xor_b32 s10, exec_lo, s10
	s_cbranch_execnz .LBB2_4186
; %bb.3850:                             ;   in Loop: Header=BB2_3151 Depth=2
	s_or_saveexec_b32 s10, s10
	v_bfrev_b32_e32 v83, 1
	s_xor_b32 exec_lo, exec_lo, s10
	s_cbranch_execnz .LBB2_4189
.LBB2_3851:                             ;   in Loop: Header=BB2_3151 Depth=2
	s_or_b32 exec_lo, exec_lo, s10
	s_and_saveexec_b32 s10, s29
	s_cbranch_execz .LBB2_3853
.LBB2_3852:                             ;   in Loop: Header=BB2_3151 Depth=2
	v_and_b32_e32 v83, 3, v30
	v_bfe_u32 v40, v11, 18, 5
	s_delay_alu instid0(VALU_DEP_2) | instskip(NEXT) | instid1(VALU_DEP_2)
	v_clz_i32_u32_e32 v84, v83
	v_cmp_eq_u32_e32 vcc_lo, 0, v40
	s_delay_alu instid0(VALU_DEP_2) | instskip(NEXT) | instid1(VALU_DEP_1)
	v_min_u32_e32 v118, 32, v84
	v_subrev_nc_u32_e32 v84, 29, v118
	s_delay_alu instid0(VALU_DEP_1) | instskip(SKIP_3) | instid1(VALU_DEP_3)
	v_lshlrev_b64_e32 v[84:85], v84, v[30:31]
	v_lshlrev_b32_e32 v85, 24, v30
	v_sub_nc_u32_e32 v118, 30, v118
	v_bfe_i32 v30, v30, 0, 8
	v_and_b32_e32 v85, 0x80000000, v85
	s_delay_alu instid0(VALU_DEP_3) | instskip(NEXT) | instid1(VALU_DEP_1)
	v_dual_cndmask_b32 v118, v40, v118, vcc_lo :: v_dual_bitop2_b32 v84, 3, v84 bitop3:0x40
	v_cndmask_b32_e32 v84, v83, v84, vcc_lo
	s_delay_alu instid0(VALU_DEP_2) | instskip(SKIP_1) | instid1(VALU_DEP_2)
	v_lshl_add_u32 v85, v118, 23, v85
	v_cmp_lt_i16_e32 vcc_lo, -1, v30
	v_lshl_or_b32 v84, v84, 21, v85
	v_cndmask_b32_e32 v30, 0xff800000, v45, vcc_lo
	v_and_b32_e32 v85, 0x7c0000, v11
	v_cmp_eq_u32_e32 vcc_lo, 0, v83
	s_delay_alu instid0(VALU_DEP_4) | instskip(NEXT) | instid1(VALU_DEP_4)
	v_add_nc_u32_e32 v83, 0x38000000, v84
	v_cndmask_b32_e32 v30, 0x7f800001, v30, vcc_lo
	s_delay_alu instid0(VALU_DEP_4) | instskip(NEXT) | instid1(VALU_DEP_2)
	v_cmp_eq_u32_e32 vcc_lo, 0x7c0000, v85
	v_cndmask_b32_e32 v83, v83, v30, vcc_lo
.LBB2_3853:                             ;   in Loop: Header=BB2_3151 Depth=2
	s_or_b32 exec_lo, exec_lo, s10
	s_delay_alu instid0(VALU_DEP_1) | instskip(SKIP_2) | instid1(VALU_DEP_2)
	v_dual_add_f32 v84, v82, v83 :: v_dual_mov_b32 v41, v33
	v_mov_b32_e32 v83, v33
                                        ; implicit-def: $vgpr118
	s_mov_b32 s10, exec_lo
	v_and_b32_e32 v40, 0x7f800000, v84
	v_and_b32_e32 v82, 0x7fffff, v84
	v_lshrrev_b32_e32 v30, 24, v84
	s_delay_alu instid0(VALU_DEP_3)
	v_cmpx_ne_u64_e32 0x7f800000, v[40:41]
	s_xor_b32 s29, exec_lo, s10
	s_cbranch_execz .LBB2_3867
; %bb.3854:                             ;   in Loop: Header=BB2_3151 Depth=2
	v_and_b32_e32 v40, 0x7fffffff, v84
	v_mov_b32_e32 v41, v33
	v_and_b32_e32 v30, 0x80, v30
                                        ; implicit-def: $vgpr118
	s_mov_b32 s10, exec_lo
	s_delay_alu instid0(VALU_DEP_2)
	v_cmpx_gt_u64_e32 0x47600001, v[40:41]
	s_xor_b32 s40, exec_lo, s10
	s_cbranch_execz .LBB2_3864
; %bb.3855:                             ;   in Loop: Header=BB2_3151 Depth=2
	v_mov_b32_e32 v118, 0
	s_mov_b32 s41, exec_lo
	v_cmpx_ne_u32_e32 0, v84
	s_cbranch_execz .LBB2_3863
; %bb.3856:                             ;   in Loop: Header=BB2_3151 Depth=2
	v_bfe_u32 v118, v84, 23, 8
	v_or_b32_e32 v41, 0x800000, v82
	s_delay_alu instid0(VALU_DEP_2) | instskip(SKIP_1) | instid1(VALU_DEP_2)
	v_sub_nc_u32_e32 v84, 0x71, v118
	v_cmp_gt_u32_e32 vcc_lo, 0x72, v118
	v_cndmask_b32_e32 v84, 0, v84, vcc_lo
	v_cmp_eq_u32_e32 vcc_lo, 0, v118
	v_cndmask_b32_e32 v82, v41, v82, vcc_lo
	s_delay_alu instid0(VALU_DEP_3) | instskip(NEXT) | instid1(VALU_DEP_1)
	v_cndmask_b32_e64 v40, v84, 0x70, vcc_lo
	v_dual_add_nc_u32 v84, 21, v40 :: v_dual_add_nc_u32 v58, 20, v40
	s_delay_alu instid0(VALU_DEP_1) | instskip(NEXT) | instid1(VALU_DEP_2)
	v_lshlrev_b64_e64 v[84:85], v84, -1
	v_lshlrev_b64_e64 v[58:59], v58, 1
	s_delay_alu instid0(VALU_DEP_2) | instskip(SKIP_1) | instid1(VALU_DEP_4)
	v_bfi_b32 v84, v84, 0, v82
	v_lshrrev_b64 v[82:83], v40, v[82:83]
	v_bfi_b32 v85, v85, 0, 0
	s_delay_alu instid0(VALU_DEP_1) | instskip(NEXT) | instid1(VALU_DEP_3)
	v_cmp_eq_u64_e64 s10, v[84:85], v[58:59]
	v_mov_b64_e32 v[84:85], v[82:83]
	s_and_saveexec_b32 s42, s10
; %bb.3857:                             ;   in Loop: Header=BB2_3151 Depth=2
	v_bfe_u32 v84, v82, 21, 1
	v_mov_b32_e32 v85, v33
	s_delay_alu instid0(VALU_DEP_1) | instskip(NEXT) | instid1(VALU_DEP_1)
	v_add_nc_u64_e32 v[84:85], v[82:83], v[84:85]
	v_add_nc_u64_e32 v[84:85], -1, v[84:85]
; %bb.3858:                             ;   in Loop: Header=BB2_3151 Depth=2
	s_or_b32 exec_lo, exec_lo, s42
	v_add_nc_u32_e32 v83, 0xffffff81, v118
	v_lshrrev_b32_e32 v85, 23, v82
	s_mov_b32 s10, exec_lo
	s_delay_alu instid0(VALU_DEP_2) | instskip(NEXT) | instid1(VALU_DEP_1)
	v_cndmask_b32_e64 v83, v83, 0xffffff82, vcc_lo
	v_add3_u32 v85, v40, v83, v85
	v_and_b32_e32 v83, 0x1fffff, v84
                                        ; implicit-def: $vgpr84
	s_delay_alu instid0(VALU_DEP_1) | instskip(SKIP_1) | instid1(VALU_DEP_2)
	v_dual_add_nc_u32 v118, 14, v85 :: v_dual_add_nc_u32 v82, v83, v82
	v_mov_b32_e32 v83, v33
	v_cmpx_ne_u32_e32 0, v118
	s_xor_b32 s10, exec_lo, s10
; %bb.3859:                             ;   in Loop: Header=BB2_3151 Depth=2
	s_delay_alu instid0(VALU_DEP_2) | instskip(SKIP_2) | instid1(VALU_DEP_2)
	v_cmp_lt_u64_e32 vcc_lo, 0xffffff, v[82:83]
	v_add_nc_u32_e32 v84, 15, v85
	v_cndmask_b32_e64 v85, 0, 1, vcc_lo
	v_cndmask_b32_e32 v84, v118, v84, vcc_lo
	s_delay_alu instid0(VALU_DEP_2)
	v_lshrrev_b64 v[82:83], v85, v[82:83]
; %bb.3860:                             ;   in Loop: Header=BB2_3151 Depth=2
	s_and_not1_saveexec_b32 s10, s10
; %bb.3861:                             ;   in Loop: Header=BB2_3151 Depth=2
	s_delay_alu instid0(VALU_DEP_1)
	v_bfe_u32 v84, v82, 23, 1
; %bb.3862:                             ;   in Loop: Header=BB2_3151 Depth=2
	s_or_b32 exec_lo, exec_lo, s10
	s_delay_alu instid0(VALU_DEP_2) | instskip(NEXT) | instid1(VALU_DEP_2)
	v_lshrrev_b64 v[82:83], 21, v[82:83]
	v_cmp_gt_i32_e32 vcc_lo, 32, v84
	v_min_i32_e32 v85, 31, v84
	v_cmp_eq_u32_e64 s10, 0, v84
	s_delay_alu instid0(VALU_DEP_2) | instskip(SKIP_1) | instid1(VALU_DEP_2)
	v_dual_cndmask_b32 v83, 0, v83, vcc_lo :: v_dual_lshlrev_b32 v85, 2, v85
	v_cndmask_b32_e32 v82, 3, v82, vcc_lo
	v_and_b32_e32 v85, 0xfc, v85
	s_delay_alu instid0(VALU_DEP_2) | instskip(NEXT) | instid1(VALU_DEP_2)
	v_cmp_eq_u64_e32 vcc_lo, 0, v[82:83]
	v_and_or_b32 v82, v82, 3, v85
	s_and_b32 s10, s10, vcc_lo
	s_delay_alu instid0(VALU_DEP_1) | instid1(SALU_CYCLE_1)
	v_cndmask_b32_e64 v82, v82, 0, s10
	s_delay_alu instid0(VALU_DEP_1)
	v_or_b32_e32 v118, v82, v30
.LBB2_3863:                             ;   in Loop: Header=BB2_3151 Depth=2
	s_or_b32 exec_lo, exec_lo, s41
                                        ; implicit-def: $vgpr30
.LBB2_3864:                             ;   in Loop: Header=BB2_3151 Depth=2
	s_and_not1_saveexec_b32 s10, s40
; %bb.3865:                             ;   in Loop: Header=BB2_3151 Depth=2
	v_or_b32_e32 v118, 0x7b, v30
; %bb.3866:                             ;   in Loop: Header=BB2_3151 Depth=2
	s_or_b32 exec_lo, exec_lo, s10
                                        ; implicit-def: $vgpr84
                                        ; implicit-def: $vgpr82_vgpr83
                                        ; implicit-def: $vgpr30
.LBB2_3867:                             ;   in Loop: Header=BB2_3151 Depth=2
	s_and_not1_saveexec_b32 s10, s29
	s_cbranch_execz .LBB2_3873
; %bb.3868:                             ;   in Loop: Header=BB2_3151 Depth=2
	s_mov_b32 s29, exec_lo
                                        ; implicit-def: $vgpr118
	v_cmpx_ne_u64_e32 0, v[82:83]
	s_xor_b32 s29, exec_lo, s29
; %bb.3869:                             ;   in Loop: Header=BB2_3151 Depth=2
	v_or_b32_e32 v118, 0x7f, v30
                                        ; implicit-def: $vgpr84
; %bb.3870:                             ;   in Loop: Header=BB2_3151 Depth=2
	s_and_not1_saveexec_b32 s29, s29
; %bb.3871:                             ;   in Loop: Header=BB2_3151 Depth=2
	v_cmp_lt_i32_e32 vcc_lo, -1, v84
	v_cndmask_b32_e32 v118, 0xfc, v46, vcc_lo
; %bb.3872:                             ;   in Loop: Header=BB2_3151 Depth=2
	s_or_b32 exec_lo, exec_lo, s29
.LBB2_3873:                             ;   in Loop: Header=BB2_3151 Depth=2
	s_delay_alu instid0(SALU_CYCLE_1)
	s_or_b32 exec_lo, exec_lo, s10
	v_mov_b32_e32 v82, 0
	s_mov_b32 s10, exec_lo
	v_cmpx_lt_u32_e32 0xffffff, v32
	s_cbranch_execz .LBB2_3883
; %bb.3874:                             ;   in Loop: Header=BB2_3151 Depth=2
	v_lshrrev_b32_e32 v30, 24, v32
	v_bfrev_b32_e32 v82, 1
	s_mov_b32 s29, exec_lo
	s_delay_alu instid0(VALU_DEP_2)
	v_cmpx_ne_u32_e32 0x80, v30
	s_cbranch_execz .LBB2_3882
; %bb.3875:                             ;   in Loop: Header=BB2_3151 Depth=2
	v_and_b32_e32 v82, 0x7c000000, v32
	v_bfe_u32 v83, v32, 24, 2
	s_delay_alu instid0(VALU_DEP_2) | instskip(SKIP_1) | instid1(SALU_CYCLE_1)
	v_cmp_ne_u32_e32 vcc_lo, 0x7c000000, v82
                                        ; implicit-def: $vgpr82
	s_and_saveexec_b32 s40, vcc_lo
	s_xor_b32 s40, exec_lo, s40
	s_cbranch_execz .LBB2_3879
; %bb.3876:                             ;   in Loop: Header=BB2_3151 Depth=2
	v_bfe_u32 v82, v32, 26, 5
	s_mov_b32 s41, exec_lo
	s_delay_alu instid0(VALU_DEP_1)
	v_cmpx_eq_u32_e32 0, v82
; %bb.3877:                             ;   in Loop: Header=BB2_3151 Depth=2
	v_clz_i32_u32_e32 v82, v83
	s_delay_alu instid0(VALU_DEP_1) | instskip(NEXT) | instid1(VALU_DEP_1)
	v_min_u32_e32 v82, 32, v82
	v_subrev_nc_u32_e32 v83, 29, v82
	s_delay_alu instid0(VALU_DEP_1) | instskip(NEXT) | instid1(VALU_DEP_1)
	v_lshlrev_b64_e32 v[84:85], v83, v[30:31]
	v_dual_sub_nc_u32 v82, 30, v82 :: v_dual_bitop2_b32 v83, 3, v84 bitop3:0x40
; %bb.3878:                             ;   in Loop: Header=BB2_3151 Depth=2
	s_or_b32 exec_lo, exec_lo, s41
	v_and_b32_e32 v30, 0x80000000, v32
	s_delay_alu instid0(VALU_DEP_1) | instskip(NEXT) | instid1(VALU_DEP_1)
	v_lshl_add_u32 v30, v82, 23, v30
	v_lshl_or_b32 v30, v83, 21, v30
                                        ; implicit-def: $vgpr83
	s_delay_alu instid0(VALU_DEP_1)
	v_add_nc_u32_e32 v82, 0x38000000, v30
.LBB2_3879:                             ;   in Loop: Header=BB2_3151 Depth=2
	s_and_not1_saveexec_b32 s40, s40
; %bb.3880:                             ;   in Loop: Header=BB2_3151 Depth=2
	v_cmp_lt_i32_e32 vcc_lo, -1, v32
	v_cndmask_b32_e32 v30, 0xff800000, v45, vcc_lo
	v_cmp_eq_u32_e32 vcc_lo, 0, v83
	s_delay_alu instid0(VALU_DEP_2)
	v_cndmask_b32_e32 v82, 0x7f800001, v30, vcc_lo
; %bb.3881:                             ;   in Loop: Header=BB2_3151 Depth=2
	s_or_b32 exec_lo, exec_lo, s40
.LBB2_3882:                             ;   in Loop: Header=BB2_3151 Depth=2
	s_delay_alu instid0(SALU_CYCLE_1)
	s_or_b32 exec_lo, exec_lo, s29
.LBB2_3883:                             ;   in Loop: Header=BB2_3151 Depth=2
	s_delay_alu instid0(SALU_CYCLE_1) | instskip(SKIP_3) | instid1(VALU_DEP_2)
	s_or_b32 exec_lo, exec_lo, s10
	v_bfe_u32 v32, v11, 24, 2
	v_bfe_u32 v40, v11, 26, 5
	s_mov_b32 s10, exec_lo
	v_clz_i32_u32_e32 v30, v32
	s_delay_alu instid0(VALU_DEP_2) | instskip(NEXT) | instid1(VALU_DEP_2)
	v_cmp_eq_u32_e32 vcc_lo, 0, v40
	v_min_u32_e32 v83, 32, v30
	v_lshrrev_b32_e32 v30, 24, v11
	s_delay_alu instid0(VALU_DEP_2) | instskip(NEXT) | instid1(VALU_DEP_1)
	v_subrev_nc_u32_e32 v84, 29, v83
	v_lshlrev_b64_e32 v[84:85], v84, v[30:31]
	v_and_b32_e32 v85, 0x80000000, v11
	s_delay_alu instid0(VALU_DEP_2) | instskip(NEXT) | instid1(VALU_DEP_1)
	v_dual_sub_nc_u32 v83, 30, v83 :: v_dual_bitop2_b32 v84, 3, v84 bitop3:0x40
	v_cndmask_b32_e32 v84, v32, v84, vcc_lo
	s_delay_alu instid0(VALU_DEP_2) | instskip(SKIP_1) | instid1(VALU_DEP_2)
	v_cndmask_b32_e32 v83, v40, v83, vcc_lo
	v_cmp_lt_i64_e32 vcc_lo, -1, v[10:11]
	v_lshl_add_u32 v83, v83, 23, v85
	v_cndmask_b32_e32 v85, 0xff800000, v45, vcc_lo
	v_cmp_eq_u32_e32 vcc_lo, 0, v32
	s_delay_alu instid0(VALU_DEP_3) | instskip(SKIP_1) | instid1(VALU_DEP_4)
	v_lshl_or_b32 v83, v84, 21, v83
	v_and_b32_e32 v84, 0x7c000000, v11
	v_cndmask_b32_e32 v32, 0x7f800001, v85, vcc_lo
	s_delay_alu instid0(VALU_DEP_3) | instskip(NEXT) | instid1(VALU_DEP_3)
	v_add_nc_u32_e32 v83, 0x38000000, v83
	v_cmp_eq_u32_e32 vcc_lo, 0x7c000000, v84
	s_delay_alu instid0(VALU_DEP_2) | instskip(SKIP_1) | instid1(VALU_DEP_2)
	v_cndmask_b32_e32 v32, v83, v32, vcc_lo
	v_cmp_ne_u32_e32 vcc_lo, 0x80, v30
	v_dual_mov_b32 v83, v33 :: v_dual_cndmask_b32 v30, 0x80000000, v32
	v_cmp_lt_u64_e32 vcc_lo, s[12:13], v[10:11]
	s_delay_alu instid0(VALU_DEP_2) | instskip(NEXT) | instid1(VALU_DEP_1)
	v_cndmask_b32_e32 v10, 0, v30, vcc_lo
                                        ; implicit-def: $vgpr30
	v_add_f32_e32 v10, v10, v82
	s_delay_alu instid0(VALU_DEP_1) | instskip(SKIP_2) | instid1(VALU_DEP_3)
	v_and_b32_e32 v82, 0x7f800000, v10
	v_and_b32_e32 v32, 0x7fffff, v10
	v_lshrrev_b32_e32 v11, 24, v10
	v_cmpx_ne_u64_e32 0x7f800000, v[82:83]
	s_xor_b32 s29, exec_lo, s10
	s_cbranch_execz .LBB2_3897
; %bb.3884:                             ;   in Loop: Header=BB2_3151 Depth=2
	v_and_b32_e32 v82, 0x7fffffff, v10
	v_mov_b32_e32 v83, v33
	v_and_b32_e32 v84, 0x80, v11
                                        ; implicit-def: $vgpr30
	s_mov_b32 s10, exec_lo
	s_delay_alu instid0(VALU_DEP_2)
	v_cmpx_gt_u64_e32 0x47600001, v[82:83]
	s_xor_b32 s40, exec_lo, s10
	s_cbranch_execz .LBB2_3894
; %bb.3885:                             ;   in Loop: Header=BB2_3151 Depth=2
	v_mov_b32_e32 v30, 0
	s_mov_b32 s41, exec_lo
	v_cmpx_ne_u32_e32 0, v10
	s_cbranch_execz .LBB2_3893
; %bb.3886:                             ;   in Loop: Header=BB2_3151 Depth=2
	v_bfe_u32 v30, v10, 23, 8
	v_or_b32_e32 v82, 0x800000, v32
	s_delay_alu instid0(VALU_DEP_2) | instskip(SKIP_1) | instid1(VALU_DEP_2)
	v_sub_nc_u32_e32 v10, 0x71, v30
	v_cmp_gt_u32_e32 vcc_lo, 0x72, v30
	v_cndmask_b32_e32 v10, 0, v10, vcc_lo
	v_cmp_eq_u32_e32 vcc_lo, 0, v30
	s_delay_alu instid0(VALU_DEP_2) | instskip(NEXT) | instid1(VALU_DEP_1)
	v_cndmask_b32_e64 v85, v10, 0x70, vcc_lo
	v_dual_cndmask_b32 v32, v82, v32, vcc_lo :: v_dual_add_nc_u32 v10, 21, v85
	v_add_nc_u32_e32 v83, 20, v85
	s_delay_alu instid0(VALU_DEP_2) | instskip(NEXT) | instid1(VALU_DEP_2)
	v_lshlrev_b64_e64 v[10:11], v10, -1
	v_lshlrev_b64_e64 v[82:83], v83, 1
	s_delay_alu instid0(VALU_DEP_2) | instskip(NEXT) | instid1(VALU_DEP_3)
	v_bfi_b32 v41, v11, 0, 0
	v_bfi_b32 v40, v10, 0, v32
	v_lshrrev_b64 v[10:11], v85, v[32:33]
	s_delay_alu instid0(VALU_DEP_2) | instskip(NEXT) | instid1(VALU_DEP_2)
	v_cmp_eq_u64_e64 s10, v[40:41], v[82:83]
	v_mov_b64_e32 v[82:83], v[10:11]
	s_and_saveexec_b32 s42, s10
; %bb.3887:                             ;   in Loop: Header=BB2_3151 Depth=2
	v_bfe_u32 v32, v10, 21, 1
	s_delay_alu instid0(VALU_DEP_1) | instskip(NEXT) | instid1(VALU_DEP_1)
	v_add_nc_u64_e32 v[82:83], v[10:11], v[32:33]
	v_add_nc_u64_e32 v[82:83], -1, v[82:83]
; %bb.3888:                             ;   in Loop: Header=BB2_3151 Depth=2
	s_or_b32 exec_lo, exec_lo, s42
	v_add_nc_u32_e32 v11, 0xffffff81, v30
	v_lshrrev_b32_e32 v30, 23, v10
	s_mov_b32 s10, exec_lo
	s_delay_alu instid0(VALU_DEP_2) | instskip(NEXT) | instid1(VALU_DEP_1)
	v_cndmask_b32_e64 v11, v11, 0xffffff82, vcc_lo
	v_add3_u32 v83, v85, v11, v30
	v_and_b32_e32 v11, 0x1fffff, v82
                                        ; implicit-def: $vgpr30
	s_delay_alu instid0(VALU_DEP_1) | instskip(NEXT) | instid1(VALU_DEP_1)
	v_dual_add_nc_u32 v82, 14, v83 :: v_dual_add_nc_u32 v32, v11, v10
                                        ; implicit-def: $vgpr10_vgpr11
	v_cmpx_ne_u32_e32 0, v82
	s_xor_b32 s10, exec_lo, s10
; %bb.3889:                             ;   in Loop: Header=BB2_3151 Depth=2
	s_delay_alu instid0(VALU_DEP_2) | instskip(SKIP_1) | instid1(VALU_DEP_1)
	v_cmp_lt_u64_e32 vcc_lo, 0xffffff, v[32:33]
	v_add_nc_u32_e32 v10, 15, v83
	v_cndmask_b32_e32 v30, v82, v10, vcc_lo
	v_cndmask_b32_e64 v10, 0, 1, vcc_lo
	s_delay_alu instid0(VALU_DEP_1)
	v_lshrrev_b64 v[10:11], v10, v[32:33]
; %bb.3890:                             ;   in Loop: Header=BB2_3151 Depth=2
	s_and_not1_saveexec_b32 s10, s10
; %bb.3891:                             ;   in Loop: Header=BB2_3151 Depth=2
	v_mov_b64_e32 v[10:11], v[32:33]
	v_bfe_u32 v30, v32, 23, 1
; %bb.3892:                             ;   in Loop: Header=BB2_3151 Depth=2
	s_or_b32 exec_lo, exec_lo, s10
	s_delay_alu instid0(VALU_DEP_2) | instskip(NEXT) | instid1(VALU_DEP_2)
	v_lshrrev_b64 v[10:11], 21, v[10:11]
	v_cmp_gt_i32_e32 vcc_lo, 32, v30
	v_min_i32_e32 v32, 31, v30
	v_cmp_eq_u32_e64 s10, 0, v30
	s_delay_alu instid0(VALU_DEP_2) | instskip(SKIP_1) | instid1(VALU_DEP_2)
	v_dual_cndmask_b32 v11, 0, v11 :: v_dual_lshlrev_b32 v32, 2, v32
	v_cndmask_b32_e32 v10, 3, v10, vcc_lo
	v_and_b32_e32 v32, 0xfc, v32
	s_delay_alu instid0(VALU_DEP_2) | instskip(NEXT) | instid1(VALU_DEP_2)
	v_cmp_eq_u64_e32 vcc_lo, 0, v[10:11]
	v_and_or_b32 v10, v10, 3, v32
	s_and_b32 s10, s10, vcc_lo
	s_delay_alu instid0(VALU_DEP_1) | instid1(SALU_CYCLE_1)
	v_cndmask_b32_e64 v10, v10, 0, s10
	s_delay_alu instid0(VALU_DEP_1)
	v_or_b32_e32 v30, v10, v84
.LBB2_3893:                             ;   in Loop: Header=BB2_3151 Depth=2
	s_or_b32 exec_lo, exec_lo, s41
                                        ; implicit-def: $vgpr84
.LBB2_3894:                             ;   in Loop: Header=BB2_3151 Depth=2
	s_and_not1_saveexec_b32 s10, s40
; %bb.3895:                             ;   in Loop: Header=BB2_3151 Depth=2
	v_or_b32_e32 v30, 0x7b, v84
; %bb.3896:                             ;   in Loop: Header=BB2_3151 Depth=2
	s_or_b32 exec_lo, exec_lo, s10
                                        ; implicit-def: $vgpr10
                                        ; implicit-def: $vgpr11
.LBB2_3897:                             ;   in Loop: Header=BB2_3151 Depth=2
	s_and_not1_saveexec_b32 s10, s29
	s_cbranch_execz .LBB2_3903
; %bb.3898:                             ;   in Loop: Header=BB2_3151 Depth=2
	s_mov_b32 s29, exec_lo
                                        ; implicit-def: $vgpr30
	v_cmpx_ne_u64_e32 0, v[32:33]
	s_xor_b32 s29, exec_lo, s29
; %bb.3899:                             ;   in Loop: Header=BB2_3151 Depth=2
	v_or_b32_e32 v30, 0x7f, v11
                                        ; implicit-def: $vgpr10
; %bb.3900:                             ;   in Loop: Header=BB2_3151 Depth=2
	s_and_not1_saveexec_b32 s29, s29
; %bb.3901:                             ;   in Loop: Header=BB2_3151 Depth=2
	v_cmp_lt_i32_e32 vcc_lo, -1, v10
	v_cndmask_b32_e32 v30, 0xfc, v46, vcc_lo
; %bb.3902:                             ;   in Loop: Header=BB2_3151 Depth=2
	s_or_b32 exec_lo, exec_lo, s29
.LBB2_3903:                             ;   in Loop: Header=BB2_3151 Depth=2
	s_delay_alu instid0(SALU_CYCLE_1) | instskip(SKIP_3) | instid1(VALU_DEP_1)
	s_or_b32 exec_lo, exec_lo, s10
	v_lshl_or_b32 v84, v114, 8, v102
	v_dual_lshlrev_b32 v10, 16, v117 :: v_dual_lshlrev_b32 v11, 24, v119
	s_mov_b32 s10, exec_lo
	v_or3_b32 v32, v10, v11, v84
	v_mov_b32_e32 v10, 0
	v_cmpx_ne_u32_e32 0, v102
	s_cbranch_execz .LBB2_3913
; %bb.3904:                             ;   in Loop: Header=BB2_3151 Depth=2
	v_bfrev_b32_e32 v10, 1
	s_mov_b32 s29, exec_lo
	v_cmpx_ne_u32_e32 0x80, v102
	s_cbranch_execz .LBB2_3912
; %bb.3905:                             ;   in Loop: Header=BB2_3151 Depth=2
	v_and_b32_e32 v10, 0x7c, v102
	v_and_b32_e32 v11, 3, v102
	s_delay_alu instid0(VALU_DEP_2) | instskip(SKIP_1) | instid1(SALU_CYCLE_1)
	v_cmp_ne_u32_e32 vcc_lo, 0x7c, v10
                                        ; implicit-def: $vgpr10
	s_and_saveexec_b32 s40, vcc_lo
	s_xor_b32 s40, exec_lo, s40
	s_cbranch_execz .LBB2_3909
; %bb.3906:                             ;   in Loop: Header=BB2_3151 Depth=2
	v_bfe_u32 v10, v102, 2, 5
	s_mov_b32 s41, exec_lo
	s_delay_alu instid0(VALU_DEP_1)
	v_cmpx_eq_u32_e32 0, v10
; %bb.3907:                             ;   in Loop: Header=BB2_3151 Depth=2
	v_clz_i32_u32_e32 v10, v11
	s_delay_alu instid0(VALU_DEP_1) | instskip(NEXT) | instid1(VALU_DEP_1)
	v_min_u32_e32 v10, 32, v10
	v_subrev_nc_u32_e32 v11, 29, v10
	v_sub_nc_u32_e32 v10, 30, v10
	s_delay_alu instid0(VALU_DEP_2) | instskip(NEXT) | instid1(VALU_DEP_1)
	v_lshlrev_b64_e32 v[82:83], v11, v[32:33]
	v_and_b32_e32 v11, 3, v82
; %bb.3908:                             ;   in Loop: Header=BB2_3151 Depth=2
	s_or_b32 exec_lo, exec_lo, s41
	v_lshlrev_b32_e32 v82, 24, v102
                                        ; implicit-def: $vgpr102
	s_delay_alu instid0(VALU_DEP_1) | instskip(NEXT) | instid1(VALU_DEP_1)
	v_and_b32_e32 v82, 0x80000000, v82
	v_lshl_add_u32 v10, v10, 23, v82
	s_delay_alu instid0(VALU_DEP_1) | instskip(NEXT) | instid1(VALU_DEP_1)
	v_lshl_or_b32 v10, v11, 21, v10
                                        ; implicit-def: $vgpr11
	v_add_nc_u32_e32 v10, 0x38000000, v10
.LBB2_3909:                             ;   in Loop: Header=BB2_3151 Depth=2
	s_and_not1_saveexec_b32 s40, s40
; %bb.3910:                             ;   in Loop: Header=BB2_3151 Depth=2
	v_and_b32_e32 v10, 0x80, v102
	s_delay_alu instid0(VALU_DEP_1) | instskip(SKIP_2) | instid1(VALU_DEP_2)
	v_cmp_eq_u32_e32 vcc_lo, 0, v10
	v_cndmask_b32_e32 v10, 0xff800000, v45, vcc_lo
	v_cmp_eq_u32_e32 vcc_lo, 0, v11
	v_cndmask_b32_e32 v10, 0x7f800001, v10, vcc_lo
; %bb.3911:                             ;   in Loop: Header=BB2_3151 Depth=2
	s_or_b32 exec_lo, exec_lo, s40
.LBB2_3912:                             ;   in Loop: Header=BB2_3151 Depth=2
	s_delay_alu instid0(SALU_CYCLE_1)
	s_or_b32 exec_lo, exec_lo, s29
.LBB2_3913:                             ;   in Loop: Header=BB2_3151 Depth=2
	s_delay_alu instid0(SALU_CYCLE_1) | instskip(SKIP_3) | instid1(VALU_DEP_1)
	s_or_b32 exec_lo, exec_lo, s10
	v_and_b32_e32 v82, 0xff, v12
	s_mov_b32 s29, 0
	s_mov_b32 s10, exec_lo
	v_cmpx_lt_i16_e32 0x7f, v82
	s_xor_b32 s10, exec_lo, s10
	s_cbranch_execnz .LBB2_4190
; %bb.3914:                             ;   in Loop: Header=BB2_3151 Depth=2
	s_or_saveexec_b32 s10, s10
	v_bfrev_b32_e32 v11, 1
	s_xor_b32 exec_lo, exec_lo, s10
	s_cbranch_execnz .LBB2_4193
.LBB2_3915:                             ;   in Loop: Header=BB2_3151 Depth=2
	s_or_b32 exec_lo, exec_lo, s10
	s_and_saveexec_b32 s10, s29
	s_cbranch_execz .LBB2_3917
.LBB2_3916:                             ;   in Loop: Header=BB2_3151 Depth=2
	v_and_b32_e32 v11, 3, v12
	v_bfe_u32 v102, v12, 2, 5
	s_delay_alu instid0(VALU_DEP_2) | instskip(NEXT) | instid1(VALU_DEP_2)
	v_clz_i32_u32_e32 v82, v11
	v_cmp_eq_u32_e32 vcc_lo, 0, v102
	s_delay_alu instid0(VALU_DEP_2) | instskip(NEXT) | instid1(VALU_DEP_1)
	v_min_u32_e32 v85, 32, v82
	v_subrev_nc_u32_e32 v82, 29, v85
	s_delay_alu instid0(VALU_DEP_1) | instskip(SKIP_1) | instid1(VALU_DEP_1)
	v_lshlrev_b64_e32 v[82:83], v82, v[12:13]
	v_dual_lshlrev_b32 v83, 24, v12 :: v_dual_sub_nc_u32 v85, 30, v85
	v_and_b32_e32 v83, 0x80000000, v83
	s_delay_alu instid0(VALU_DEP_2) | instskip(SKIP_1) | instid1(VALU_DEP_2)
	v_dual_cndmask_b32 v85, v102, v85, vcc_lo :: v_dual_bitop2_b32 v82, 3, v82 bitop3:0x40
	v_bfe_i32 v102, v12, 0, 8
	v_cndmask_b32_e32 v82, v11, v82, vcc_lo
	s_delay_alu instid0(VALU_DEP_3) | instskip(NEXT) | instid1(VALU_DEP_3)
	v_lshl_add_u32 v83, v85, 23, v83
	v_cmp_lt_i16_e32 vcc_lo, -1, v102
	s_delay_alu instid0(VALU_DEP_2) | instskip(SKIP_3) | instid1(VALU_DEP_4)
	v_lshl_or_b32 v82, v82, 21, v83
	v_cndmask_b32_e32 v85, 0xff800000, v45, vcc_lo
	v_and_b32_e32 v83, 0x7c, v12
	v_cmp_eq_u32_e32 vcc_lo, 0, v11
	v_add_nc_u32_e32 v82, 0x38000000, v82
	s_delay_alu instid0(VALU_DEP_4) | instskip(NEXT) | instid1(VALU_DEP_4)
	v_cndmask_b32_e32 v11, 0x7f800001, v85, vcc_lo
	v_cmp_eq_u32_e32 vcc_lo, 0x7c, v83
	s_delay_alu instid0(VALU_DEP_2)
	v_cndmask_b32_e32 v11, v82, v11, vcc_lo
.LBB2_3917:                             ;   in Loop: Header=BB2_3151 Depth=2
	s_or_b32 exec_lo, exec_lo, s10
	s_delay_alu instid0(VALU_DEP_1) | instskip(SKIP_2) | instid1(VALU_DEP_2)
	v_dual_add_f32 v82, v10, v11 :: v_dual_mov_b32 v41, v33
	v_mov_b32_e32 v11, v33
                                        ; implicit-def: $vgpr102
	s_mov_b32 s10, exec_lo
	v_and_b32_e32 v40, 0x7f800000, v82
	v_and_b32_e32 v10, 0x7fffff, v82
	v_lshrrev_b32_e32 v83, 24, v82
	s_delay_alu instid0(VALU_DEP_3)
	v_cmpx_ne_u64_e32 0x7f800000, v[40:41]
	s_xor_b32 s29, exec_lo, s10
	s_cbranch_execz .LBB2_3931
; %bb.3918:                             ;   in Loop: Header=BB2_3151 Depth=2
	v_and_b32_e32 v40, 0x7fffffff, v82
	v_mov_b32_e32 v41, v33
	v_and_b32_e32 v85, 0x80, v83
                                        ; implicit-def: $vgpr102
	s_mov_b32 s10, exec_lo
	s_delay_alu instid0(VALU_DEP_2)
	v_cmpx_gt_u64_e32 0x47600001, v[40:41]
	s_xor_b32 s40, exec_lo, s10
	s_cbranch_execz .LBB2_3928
; %bb.3919:                             ;   in Loop: Header=BB2_3151 Depth=2
	v_mov_b32_e32 v102, 0
	s_mov_b32 s41, exec_lo
	v_cmpx_ne_u32_e32 0, v82
	s_cbranch_execz .LBB2_3927
; %bb.3920:                             ;   in Loop: Header=BB2_3151 Depth=2
	v_bfe_u32 v102, v82, 23, 8
	v_or_b32_e32 v117, 0x800000, v10
	s_delay_alu instid0(VALU_DEP_2) | instskip(SKIP_1) | instid1(VALU_DEP_2)
	v_sub_nc_u32_e32 v82, 0x71, v102
	v_cmp_gt_u32_e32 vcc_lo, 0x72, v102
	v_cndmask_b32_e32 v82, 0, v82, vcc_lo
	v_cmp_eq_u32_e32 vcc_lo, 0, v102
	s_delay_alu instid0(VALU_DEP_2) | instskip(SKIP_1) | instid1(VALU_DEP_2)
	v_cndmask_b32_e64 v114, v82, 0x70, vcc_lo
	v_cndmask_b32_e32 v10, v117, v10, vcc_lo
	v_dual_add_nc_u32 v82, 21, v114 :: v_dual_add_nc_u32 v119, 20, v114
	s_delay_alu instid0(VALU_DEP_1) | instskip(NEXT) | instid1(VALU_DEP_2)
	v_lshlrev_b64_e64 v[82:83], v82, -1
	v_lshlrev_b64_e64 v[40:41], v119, 1
	s_delay_alu instid0(VALU_DEP_2) | instskip(SKIP_1) | instid1(VALU_DEP_4)
	v_bfi_b32 v82, v82, 0, v10
	v_lshrrev_b64 v[10:11], v114, v[10:11]
	v_bfi_b32 v83, v83, 0, 0
	s_delay_alu instid0(VALU_DEP_1) | instskip(NEXT) | instid1(VALU_DEP_3)
	v_cmp_eq_u64_e64 s10, v[82:83], v[40:41]
	v_mov_b64_e32 v[82:83], v[10:11]
	s_and_saveexec_b32 s42, s10
; %bb.3921:                             ;   in Loop: Header=BB2_3151 Depth=2
	v_bfe_u32 v82, v10, 21, 1
	v_mov_b32_e32 v83, v33
	s_delay_alu instid0(VALU_DEP_1) | instskip(NEXT) | instid1(VALU_DEP_1)
	v_add_nc_u64_e32 v[82:83], v[10:11], v[82:83]
	v_add_nc_u64_e32 v[82:83], -1, v[82:83]
; %bb.3922:                             ;   in Loop: Header=BB2_3151 Depth=2
	s_or_b32 exec_lo, exec_lo, s42
	v_add_nc_u32_e32 v11, 0xffffff81, v102
	v_lshrrev_b32_e32 v83, 23, v10
	s_mov_b32 s10, exec_lo
	s_delay_alu instid0(VALU_DEP_2) | instskip(NEXT) | instid1(VALU_DEP_1)
	v_cndmask_b32_e64 v11, v11, 0xffffff82, vcc_lo
	v_add3_u32 v83, v114, v11, v83
	v_and_b32_e32 v11, 0x1fffff, v82
                                        ; implicit-def: $vgpr82
	s_delay_alu instid0(VALU_DEP_1) | instskip(SKIP_1) | instid1(VALU_DEP_2)
	v_dual_add_nc_u32 v102, 14, v83 :: v_dual_add_nc_u32 v10, v11, v10
	v_mov_b32_e32 v11, v33
	v_cmpx_ne_u32_e32 0, v102
	s_xor_b32 s10, exec_lo, s10
; %bb.3923:                             ;   in Loop: Header=BB2_3151 Depth=2
	s_delay_alu instid0(VALU_DEP_2) | instskip(SKIP_2) | instid1(VALU_DEP_2)
	v_cmp_lt_u64_e32 vcc_lo, 0xffffff, v[10:11]
	v_add_nc_u32_e32 v82, 15, v83
	v_cndmask_b32_e64 v83, 0, 1, vcc_lo
	v_cndmask_b32_e32 v82, v102, v82, vcc_lo
	s_delay_alu instid0(VALU_DEP_2)
	v_lshrrev_b64 v[10:11], v83, v[10:11]
; %bb.3924:                             ;   in Loop: Header=BB2_3151 Depth=2
	s_and_not1_saveexec_b32 s10, s10
; %bb.3925:                             ;   in Loop: Header=BB2_3151 Depth=2
	s_delay_alu instid0(VALU_DEP_1)
	v_bfe_u32 v82, v10, 23, 1
; %bb.3926:                             ;   in Loop: Header=BB2_3151 Depth=2
	s_or_b32 exec_lo, exec_lo, s10
	s_delay_alu instid0(VALU_DEP_2) | instskip(NEXT) | instid1(VALU_DEP_2)
	v_lshrrev_b64 v[10:11], 21, v[10:11]
	v_cmp_gt_i32_e32 vcc_lo, 32, v82
	v_min_i32_e32 v83, 31, v82
	v_cmp_eq_u32_e64 s10, 0, v82
	s_delay_alu instid0(VALU_DEP_4) | instskip(NEXT) | instid1(VALU_DEP_3)
	v_cndmask_b32_e32 v11, 0, v11, vcc_lo
	v_dual_cndmask_b32 v10, 3, v10 :: v_dual_lshlrev_b32 v83, 2, v83
	s_delay_alu instid0(VALU_DEP_1) | instskip(NEXT) | instid1(VALU_DEP_2)
	v_and_b32_e32 v83, 0xfc, v83
	v_cmp_eq_u64_e32 vcc_lo, 0, v[10:11]
	s_delay_alu instid0(VALU_DEP_2)
	v_and_or_b32 v10, v10, 3, v83
	s_and_b32 s10, s10, vcc_lo
	s_delay_alu instid0(VALU_DEP_1) | instid1(SALU_CYCLE_1)
	v_cndmask_b32_e64 v10, v10, 0, s10
	s_delay_alu instid0(VALU_DEP_1)
	v_or_b32_e32 v102, v10, v85
.LBB2_3927:                             ;   in Loop: Header=BB2_3151 Depth=2
	s_or_b32 exec_lo, exec_lo, s41
                                        ; implicit-def: $vgpr85
.LBB2_3928:                             ;   in Loop: Header=BB2_3151 Depth=2
	s_and_not1_saveexec_b32 s10, s40
; %bb.3929:                             ;   in Loop: Header=BB2_3151 Depth=2
	v_or_b32_e32 v102, 0x7b, v85
; %bb.3930:                             ;   in Loop: Header=BB2_3151 Depth=2
	s_or_b32 exec_lo, exec_lo, s10
                                        ; implicit-def: $vgpr82
                                        ; implicit-def: $vgpr10_vgpr11
                                        ; implicit-def: $vgpr83
.LBB2_3931:                             ;   in Loop: Header=BB2_3151 Depth=2
	s_and_not1_saveexec_b32 s10, s29
	s_cbranch_execz .LBB2_3937
; %bb.3932:                             ;   in Loop: Header=BB2_3151 Depth=2
	s_mov_b32 s29, exec_lo
                                        ; implicit-def: $vgpr102
	v_cmpx_ne_u64_e32 0, v[10:11]
	s_xor_b32 s29, exec_lo, s29
; %bb.3933:                             ;   in Loop: Header=BB2_3151 Depth=2
	v_or_b32_e32 v102, 0x7f, v83
                                        ; implicit-def: $vgpr82
; %bb.3934:                             ;   in Loop: Header=BB2_3151 Depth=2
	s_and_not1_saveexec_b32 s29, s29
; %bb.3935:                             ;   in Loop: Header=BB2_3151 Depth=2
	v_cmp_lt_i32_e32 vcc_lo, -1, v82
	v_cndmask_b32_e32 v102, 0xfc, v46, vcc_lo
; %bb.3936:                             ;   in Loop: Header=BB2_3151 Depth=2
	s_or_b32 exec_lo, exec_lo, s29
.LBB2_3937:                             ;   in Loop: Header=BB2_3151 Depth=2
	s_delay_alu instid0(SALU_CYCLE_1) | instskip(SKIP_3) | instid1(VALU_DEP_2)
	s_or_b32 exec_lo, exec_lo, s10
	v_lshrrev_b16 v10, 8, v84
	v_mov_b32_e32 v82, 0
	s_mov_b32 s10, exec_lo
	v_cmpx_ne_u16_e32 0, v10
	s_cbranch_execz .LBB2_3947
; %bb.3938:                             ;   in Loop: Header=BB2_3151 Depth=2
	v_bfrev_b32_e32 v82, 1
	s_mov_b32 s29, exec_lo
	v_cmpx_ne_u16_e32 0x80, v10
	s_cbranch_execz .LBB2_3946
; %bb.3939:                             ;   in Loop: Header=BB2_3151 Depth=2
	v_and_b32_e32 v83, 0xffff, v10
	s_delay_alu instid0(VALU_DEP_1) | instskip(SKIP_1) | instid1(VALU_DEP_2)
	v_and_b32_e32 v82, 0x7c, v83
	v_and_b32_e32 v11, 3, v83
	v_cmp_ne_u32_e32 vcc_lo, 0x7c, v82
                                        ; implicit-def: $vgpr82
	s_and_saveexec_b32 s40, vcc_lo
	s_delay_alu instid0(SALU_CYCLE_1)
	s_xor_b32 s40, exec_lo, s40
	s_cbranch_execz .LBB2_3943
; %bb.3940:                             ;   in Loop: Header=BB2_3151 Depth=2
	v_bfe_u32 v82, v83, 2, 5
	s_mov_b32 s41, exec_lo
	s_delay_alu instid0(VALU_DEP_1)
	v_cmpx_eq_u32_e32 0, v82
	s_cbranch_execz .LBB2_3942
; %bb.3941:                             ;   in Loop: Header=BB2_3151 Depth=2
	v_clz_i32_u32_e32 v11, v11
	s_delay_alu instid0(VALU_DEP_1) | instskip(SKIP_1) | instid1(VALU_DEP_2)
	v_min_u32_e32 v82, 32, v11
	v_mov_b32_e32 v11, v33
	v_subrev_nc_u32_e32 v83, 29, v82
	v_sub_nc_u32_e32 v82, 30, v82
	s_delay_alu instid0(VALU_DEP_2) | instskip(NEXT) | instid1(VALU_DEP_1)
	v_lshlrev_b64_e32 v[10:11], v83, v[10:11]
	v_and_b32_e32 v11, 3, v10
.LBB2_3942:                             ;   in Loop: Header=BB2_3151 Depth=2
	s_or_b32 exec_lo, exec_lo, s41
	v_lshlrev_b32_e32 v10, 16, v84
                                        ; implicit-def: $vgpr84
	s_delay_alu instid0(VALU_DEP_1) | instskip(NEXT) | instid1(VALU_DEP_1)
	v_and_b32_e32 v10, 0x80000000, v10
	v_lshl_add_u32 v10, v82, 23, v10
	s_delay_alu instid0(VALU_DEP_1) | instskip(NEXT) | instid1(VALU_DEP_1)
	v_lshl_or_b32 v10, v11, 21, v10
                                        ; implicit-def: $vgpr11
	v_add_nc_u32_e32 v82, 0x38000000, v10
.LBB2_3943:                             ;   in Loop: Header=BB2_3151 Depth=2
	s_and_not1_saveexec_b32 s40, s40
; %bb.3944:                             ;   in Loop: Header=BB2_3151 Depth=2
	v_cmp_lt_i16_e32 vcc_lo, -1, v84
	v_cndmask_b32_e32 v10, 0xff800000, v45, vcc_lo
	v_cmp_eq_u32_e32 vcc_lo, 0, v11
	s_delay_alu instid0(VALU_DEP_2)
	v_cndmask_b32_e32 v82, 0x7f800001, v10, vcc_lo
; %bb.3945:                             ;   in Loop: Header=BB2_3151 Depth=2
	s_or_b32 exec_lo, exec_lo, s40
.LBB2_3946:                             ;   in Loop: Header=BB2_3151 Depth=2
	s_delay_alu instid0(SALU_CYCLE_1)
	s_or_b32 exec_lo, exec_lo, s29
.LBB2_3947:                             ;   in Loop: Header=BB2_3151 Depth=2
	s_delay_alu instid0(SALU_CYCLE_1) | instskip(SKIP_3) | instid1(VALU_DEP_1)
	s_or_b32 exec_lo, exec_lo, s10
	v_lshrrev_b16 v10, 8, v12
	s_mov_b32 s29, 0
	s_mov_b32 s10, exec_lo
	v_cmpx_lt_i16_e32 0x7f, v10
	s_xor_b32 s10, exec_lo, s10
	s_cbranch_execnz .LBB2_4194
; %bb.3948:                             ;   in Loop: Header=BB2_3151 Depth=2
	s_or_saveexec_b32 s10, s10
	v_bfrev_b32_e32 v11, 1
	s_xor_b32 exec_lo, exec_lo, s10
	s_cbranch_execnz .LBB2_4197
.LBB2_3949:                             ;   in Loop: Header=BB2_3151 Depth=2
	s_or_b32 exec_lo, exec_lo, s10
	s_and_saveexec_b32 s10, s29
	s_cbranch_execz .LBB2_3951
.LBB2_3950:                             ;   in Loop: Header=BB2_3151 Depth=2
	v_and_b32_e32 v83, 0xffff, v10
	s_delay_alu instid0(VALU_DEP_1) | instskip(NEXT) | instid1(VALU_DEP_1)
	v_and_b32_e32 v114, 3, v83
	v_clz_i32_u32_e32 v11, v114
	s_delay_alu instid0(VALU_DEP_1) | instskip(SKIP_1) | instid1(VALU_DEP_2)
	v_min_u32_e32 v117, 32, v11
	v_mov_b32_e32 v11, v33
	v_subrev_nc_u32_e32 v84, 29, v117
	s_delay_alu instid0(VALU_DEP_1) | instskip(SKIP_3) | instid1(VALU_DEP_3)
	v_lshlrev_b64_e32 v[84:85], v84, v[10:11]
	v_bfe_u32 v11, v83, 2, 5
	v_dual_lshlrev_b32 v10, 24, v10 :: v_dual_sub_nc_u32 v85, 30, v117
	v_and_b32_e32 v83, 0x7c, v83
	v_cmp_eq_u32_e32 vcc_lo, 0, v11
	s_delay_alu instid0(VALU_DEP_3) | instskip(NEXT) | instid1(VALU_DEP_4)
	v_and_b32_e32 v10, 0x80000000, v10
	v_dual_cndmask_b32 v11, v11, v85, vcc_lo :: v_dual_bitop2_b32 v84, 3, v84 bitop3:0x40
	s_delay_alu instid0(VALU_DEP_1) | instskip(SKIP_1) | instid1(VALU_DEP_3)
	v_cndmask_b32_e32 v84, v114, v84, vcc_lo
	v_cmp_lt_i16_e32 vcc_lo, -1, v12
	v_lshl_add_u32 v10, v11, 23, v10
	v_cndmask_b32_e32 v11, 0xff800000, v45, vcc_lo
	v_cmp_eq_u32_e32 vcc_lo, 0, v114
	s_delay_alu instid0(VALU_DEP_3) | instskip(NEXT) | instid1(VALU_DEP_3)
	v_lshl_or_b32 v10, v84, 21, v10
	v_cndmask_b32_e32 v11, 0x7f800001, v11, vcc_lo
	s_delay_alu instid0(VALU_DEP_2) | instskip(SKIP_1) | instid1(VALU_DEP_2)
	v_add_nc_u32_e32 v10, 0x38000000, v10
	v_cmp_eq_u32_e32 vcc_lo, 0x7c, v83
	v_cndmask_b32_e32 v11, v10, v11, vcc_lo
.LBB2_3951:                             ;   in Loop: Header=BB2_3151 Depth=2
	s_or_b32 exec_lo, exec_lo, s10
	s_delay_alu instid0(VALU_DEP_1) | instskip(SKIP_2) | instid1(VALU_DEP_2)
	v_dual_add_f32 v82, v82, v11 :: v_dual_mov_b32 v85, v33
	v_mov_b32_e32 v11, v33
                                        ; implicit-def: $vgpr114
	s_mov_b32 s10, exec_lo
	v_and_b32_e32 v84, 0x7f800000, v82
	v_and_b32_e32 v10, 0x7fffff, v82
	v_lshrrev_b32_e32 v83, 24, v82
	s_delay_alu instid0(VALU_DEP_3)
	v_cmpx_ne_u64_e32 0x7f800000, v[84:85]
	s_xor_b32 s29, exec_lo, s10
	s_cbranch_execz .LBB2_3965
; %bb.3952:                             ;   in Loop: Header=BB2_3151 Depth=2
	v_and_b32_e32 v84, 0x7fffffff, v82
	v_mov_b32_e32 v85, v33
                                        ; implicit-def: $vgpr114
	s_delay_alu instid0(VALU_DEP_1) | instskip(SKIP_2) | instid1(SALU_CYCLE_1)
	v_cmp_gt_u64_e32 vcc_lo, 0x47600001, v[84:85]
	v_and_b32_e32 v84, 0x80, v83
	s_and_saveexec_b32 s10, vcc_lo
	s_xor_b32 s40, exec_lo, s10
	s_cbranch_execz .LBB2_3962
; %bb.3953:                             ;   in Loop: Header=BB2_3151 Depth=2
	v_mov_b32_e32 v114, 0
	s_mov_b32 s41, exec_lo
	v_cmpx_ne_u32_e32 0, v82
	s_cbranch_execz .LBB2_3961
; %bb.3954:                             ;   in Loop: Header=BB2_3151 Depth=2
	v_bfe_u32 v85, v82, 23, 8
	v_or_b32_e32 v117, 0x800000, v10
	s_delay_alu instid0(VALU_DEP_2) | instskip(SKIP_1) | instid1(VALU_DEP_2)
	v_sub_nc_u32_e32 v82, 0x71, v85
	v_cmp_gt_u32_e32 vcc_lo, 0x72, v85
	v_cndmask_b32_e32 v82, 0, v82, vcc_lo
	v_cmp_eq_u32_e32 vcc_lo, 0, v85
	s_delay_alu instid0(VALU_DEP_2) | instskip(SKIP_1) | instid1(VALU_DEP_2)
	v_cndmask_b32_e64 v114, v82, 0x70, vcc_lo
	v_cndmask_b32_e32 v10, v117, v10, vcc_lo
	v_dual_add_nc_u32 v82, 21, v114 :: v_dual_add_nc_u32 v119, 20, v114
	s_delay_alu instid0(VALU_DEP_1) | instskip(NEXT) | instid1(VALU_DEP_2)
	v_lshlrev_b64_e64 v[82:83], v82, -1
	v_lshlrev_b64_e64 v[40:41], v119, 1
	s_delay_alu instid0(VALU_DEP_2) | instskip(SKIP_1) | instid1(VALU_DEP_4)
	v_bfi_b32 v82, v82, 0, v10
	v_lshrrev_b64 v[10:11], v114, v[10:11]
	v_bfi_b32 v83, v83, 0, 0
	s_delay_alu instid0(VALU_DEP_1) | instskip(NEXT) | instid1(VALU_DEP_3)
	v_cmp_eq_u64_e64 s10, v[82:83], v[40:41]
	v_mov_b64_e32 v[82:83], v[10:11]
	s_and_saveexec_b32 s42, s10
; %bb.3955:                             ;   in Loop: Header=BB2_3151 Depth=2
	v_bfe_u32 v82, v10, 21, 1
	v_mov_b32_e32 v83, v33
	s_delay_alu instid0(VALU_DEP_1) | instskip(NEXT) | instid1(VALU_DEP_1)
	v_add_nc_u64_e32 v[82:83], v[10:11], v[82:83]
	v_add_nc_u64_e32 v[82:83], -1, v[82:83]
; %bb.3956:                             ;   in Loop: Header=BB2_3151 Depth=2
	s_or_b32 exec_lo, exec_lo, s42
	v_add_nc_u32_e32 v11, 0xffffff81, v85
	v_lshrrev_b32_e32 v83, 23, v10
	s_mov_b32 s10, exec_lo
	s_delay_alu instid0(VALU_DEP_2) | instskip(NEXT) | instid1(VALU_DEP_1)
	v_cndmask_b32_e64 v11, v11, 0xffffff82, vcc_lo
	v_add3_u32 v83, v114, v11, v83
	v_and_b32_e32 v11, 0x1fffff, v82
                                        ; implicit-def: $vgpr82
	s_delay_alu instid0(VALU_DEP_1) | instskip(SKIP_1) | instid1(VALU_DEP_2)
	v_dual_add_nc_u32 v85, 14, v83 :: v_dual_add_nc_u32 v10, v11, v10
	v_mov_b32_e32 v11, v33
	v_cmpx_ne_u32_e32 0, v85
	s_xor_b32 s10, exec_lo, s10
; %bb.3957:                             ;   in Loop: Header=BB2_3151 Depth=2
	s_delay_alu instid0(VALU_DEP_2) | instskip(SKIP_2) | instid1(VALU_DEP_2)
	v_cmp_lt_u64_e32 vcc_lo, 0xffffff, v[10:11]
	v_add_nc_u32_e32 v82, 15, v83
	v_cndmask_b32_e64 v83, 0, 1, vcc_lo
	v_cndmask_b32_e32 v82, v85, v82, vcc_lo
	s_delay_alu instid0(VALU_DEP_2)
	v_lshrrev_b64 v[10:11], v83, v[10:11]
; %bb.3958:                             ;   in Loop: Header=BB2_3151 Depth=2
	s_and_not1_saveexec_b32 s10, s10
; %bb.3959:                             ;   in Loop: Header=BB2_3151 Depth=2
	s_delay_alu instid0(VALU_DEP_1)
	v_bfe_u32 v82, v10, 23, 1
; %bb.3960:                             ;   in Loop: Header=BB2_3151 Depth=2
	s_or_b32 exec_lo, exec_lo, s10
	s_delay_alu instid0(VALU_DEP_2) | instskip(NEXT) | instid1(VALU_DEP_2)
	v_lshrrev_b64 v[10:11], 21, v[10:11]
	v_cmp_gt_i32_e32 vcc_lo, 32, v82
	v_min_i32_e32 v83, 31, v82
	v_cmp_eq_u32_e64 s10, 0, v82
	s_delay_alu instid0(VALU_DEP_4) | instskip(NEXT) | instid1(VALU_DEP_3)
	v_cndmask_b32_e32 v11, 0, v11, vcc_lo
	v_dual_cndmask_b32 v10, 3, v10 :: v_dual_lshlrev_b32 v83, 2, v83
	s_delay_alu instid0(VALU_DEP_1) | instskip(NEXT) | instid1(VALU_DEP_2)
	v_and_b32_e32 v83, 0xfc, v83
	v_cmp_eq_u64_e32 vcc_lo, 0, v[10:11]
	s_delay_alu instid0(VALU_DEP_2)
	v_and_or_b32 v10, v10, 3, v83
	s_and_b32 s10, s10, vcc_lo
	s_delay_alu instid0(VALU_DEP_1) | instid1(SALU_CYCLE_1)
	v_cndmask_b32_e64 v10, v10, 0, s10
	s_delay_alu instid0(VALU_DEP_1)
	v_or_b32_e32 v114, v10, v84
.LBB2_3961:                             ;   in Loop: Header=BB2_3151 Depth=2
	s_or_b32 exec_lo, exec_lo, s41
                                        ; implicit-def: $vgpr84
.LBB2_3962:                             ;   in Loop: Header=BB2_3151 Depth=2
	s_and_not1_saveexec_b32 s10, s40
; %bb.3963:                             ;   in Loop: Header=BB2_3151 Depth=2
	v_or_b32_e32 v114, 0x7b, v84
; %bb.3964:                             ;   in Loop: Header=BB2_3151 Depth=2
	s_or_b32 exec_lo, exec_lo, s10
                                        ; implicit-def: $vgpr82
                                        ; implicit-def: $vgpr10_vgpr11
                                        ; implicit-def: $vgpr83
.LBB2_3965:                             ;   in Loop: Header=BB2_3151 Depth=2
	s_and_not1_saveexec_b32 s10, s29
	s_cbranch_execz .LBB2_3971
; %bb.3966:                             ;   in Loop: Header=BB2_3151 Depth=2
	s_mov_b32 s29, exec_lo
                                        ; implicit-def: $vgpr114
	v_cmpx_ne_u64_e32 0, v[10:11]
	s_xor_b32 s29, exec_lo, s29
; %bb.3967:                             ;   in Loop: Header=BB2_3151 Depth=2
	v_or_b32_e32 v114, 0x7f, v83
                                        ; implicit-def: $vgpr82
; %bb.3968:                             ;   in Loop: Header=BB2_3151 Depth=2
	s_and_not1_saveexec_b32 s29, s29
; %bb.3969:                             ;   in Loop: Header=BB2_3151 Depth=2
	v_cmp_lt_i32_e32 vcc_lo, -1, v82
	v_cndmask_b32_e32 v114, 0xfc, v46, vcc_lo
; %bb.3970:                             ;   in Loop: Header=BB2_3151 Depth=2
	s_or_b32 exec_lo, exec_lo, s29
.LBB2_3971:                             ;   in Loop: Header=BB2_3151 Depth=2
	s_delay_alu instid0(SALU_CYCLE_1) | instskip(SKIP_2) | instid1(VALU_DEP_1)
	s_or_b32 exec_lo, exec_lo, s10
	v_dual_mov_b32 v11, 0 :: v_dual_lshrrev_b32 v10, 16, v32
	s_mov_b32 s10, exec_lo
	v_and_b32_e32 v82, 0xff, v10
	s_delay_alu instid0(VALU_DEP_1)
	v_cmpx_ne_u16_e32 0, v82
	s_cbranch_execz .LBB2_3981
; %bb.3972:                             ;   in Loop: Header=BB2_3151 Depth=2
	v_bfrev_b32_e32 v11, 1
	s_mov_b32 s29, exec_lo
	v_cmpx_ne_u16_e32 0x80, v82
	s_cbranch_execz .LBB2_3980
; %bb.3973:                             ;   in Loop: Header=BB2_3151 Depth=2
	v_and_b32_e32 v11, 0x7c0000, v32
	v_bfe_u32 v82, v32, 16, 2
	s_delay_alu instid0(VALU_DEP_2) | instskip(SKIP_1) | instid1(SALU_CYCLE_1)
	v_cmp_ne_u32_e32 vcc_lo, 0x7c0000, v11
                                        ; implicit-def: $vgpr11
	s_and_saveexec_b32 s40, vcc_lo
	s_xor_b32 s40, exec_lo, s40
	s_cbranch_execz .LBB2_3977
; %bb.3974:                             ;   in Loop: Header=BB2_3151 Depth=2
	v_bfe_u32 v11, v32, 18, 5
	s_mov_b32 s41, exec_lo
	s_delay_alu instid0(VALU_DEP_1)
	v_cmpx_eq_u32_e32 0, v11
; %bb.3975:                             ;   in Loop: Header=BB2_3151 Depth=2
	v_clz_i32_u32_e32 v11, v82
	s_delay_alu instid0(VALU_DEP_1) | instskip(NEXT) | instid1(VALU_DEP_1)
	v_min_u32_e32 v11, 32, v11
	v_subrev_nc_u32_e32 v82, 29, v11
	s_delay_alu instid0(VALU_DEP_1) | instskip(NEXT) | instid1(VALU_DEP_1)
	v_lshlrev_b64_e32 v[82:83], v82, v[10:11]
	v_dual_sub_nc_u32 v11, 30, v11 :: v_dual_bitop2_b32 v82, 3, v82 bitop3:0x40
; %bb.3976:                             ;   in Loop: Header=BB2_3151 Depth=2
	s_or_b32 exec_lo, exec_lo, s41
	v_lshlrev_b32_e32 v10, 24, v10
	s_delay_alu instid0(VALU_DEP_1) | instskip(NEXT) | instid1(VALU_DEP_1)
	v_and_b32_e32 v10, 0x80000000, v10
	v_lshl_add_u32 v10, v11, 23, v10
	s_delay_alu instid0(VALU_DEP_1) | instskip(NEXT) | instid1(VALU_DEP_1)
	v_lshl_or_b32 v10, v82, 21, v10
                                        ; implicit-def: $vgpr82
	v_add_nc_u32_e32 v11, 0x38000000, v10
                                        ; implicit-def: $vgpr10
.LBB2_3977:                             ;   in Loop: Header=BB2_3151 Depth=2
	s_and_not1_saveexec_b32 s40, s40
; %bb.3978:                             ;   in Loop: Header=BB2_3151 Depth=2
	v_bfe_i32 v10, v10, 0, 8
	s_delay_alu instid0(VALU_DEP_1) | instskip(SKIP_2) | instid1(VALU_DEP_2)
	v_cmp_lt_i16_e32 vcc_lo, -1, v10
	v_cndmask_b32_e32 v10, 0xff800000, v45, vcc_lo
	v_cmp_eq_u32_e32 vcc_lo, 0, v82
	v_cndmask_b32_e32 v11, 0x7f800001, v10, vcc_lo
; %bb.3979:                             ;   in Loop: Header=BB2_3151 Depth=2
	s_or_b32 exec_lo, exec_lo, s40
.LBB2_3980:                             ;   in Loop: Header=BB2_3151 Depth=2
	s_delay_alu instid0(SALU_CYCLE_1)
	s_or_b32 exec_lo, exec_lo, s29
.LBB2_3981:                             ;   in Loop: Header=BB2_3151 Depth=2
	s_delay_alu instid0(SALU_CYCLE_1) | instskip(SKIP_3) | instid1(VALU_DEP_1)
	s_or_b32 exec_lo, exec_lo, s10
	v_lshrrev_b32_e32 v10, 16, v12
	s_mov_b32 s29, 0
	s_mov_b32 s10, exec_lo
	v_and_b32_e32 v83, 0xff, v10
	s_delay_alu instid0(VALU_DEP_1)
	v_cmpx_lt_i16_e32 0x7f, v83
	s_xor_b32 s10, exec_lo, s10
	s_cbranch_execnz .LBB2_4198
; %bb.3982:                             ;   in Loop: Header=BB2_3151 Depth=2
	s_or_saveexec_b32 s10, s10
	v_bfrev_b32_e32 v82, 1
	s_xor_b32 exec_lo, exec_lo, s10
	s_cbranch_execnz .LBB2_4201
.LBB2_3983:                             ;   in Loop: Header=BB2_3151 Depth=2
	s_or_b32 exec_lo, exec_lo, s10
	s_and_saveexec_b32 s10, s29
	s_cbranch_execz .LBB2_3985
.LBB2_3984:                             ;   in Loop: Header=BB2_3151 Depth=2
	v_and_b32_e32 v84, 3, v10
	v_bfe_u32 v117, v12, 18, 5
	s_delay_alu instid0(VALU_DEP_2) | instskip(NEXT) | instid1(VALU_DEP_2)
	v_clz_i32_u32_e32 v82, v84
	v_cmp_eq_u32_e32 vcc_lo, 0, v117
	s_delay_alu instid0(VALU_DEP_2) | instskip(NEXT) | instid1(VALU_DEP_1)
	v_min_u32_e32 v85, 32, v82
	v_subrev_nc_u32_e32 v82, 29, v85
	s_delay_alu instid0(VALU_DEP_1) | instskip(SKIP_2) | instid1(VALU_DEP_2)
	v_lshlrev_b64_e32 v[82:83], v82, v[10:11]
	v_dual_lshlrev_b32 v83, 24, v10 :: v_dual_sub_nc_u32 v85, 30, v85
	v_bfe_i32 v10, v10, 0, 8
	v_and_b32_e32 v83, 0x80000000, v83
	s_delay_alu instid0(VALU_DEP_3) | instskip(NEXT) | instid1(VALU_DEP_1)
	v_dual_cndmask_b32 v85, v117, v85, vcc_lo :: v_dual_bitop2_b32 v82, 3, v82 bitop3:0x40
	v_cndmask_b32_e32 v82, v84, v82, vcc_lo
	s_delay_alu instid0(VALU_DEP_2) | instskip(SKIP_1) | instid1(VALU_DEP_2)
	v_lshl_add_u32 v83, v85, 23, v83
	v_cmp_lt_i16_e32 vcc_lo, -1, v10
	v_lshl_or_b32 v82, v82, 21, v83
	v_cndmask_b32_e32 v10, 0xff800000, v45, vcc_lo
	v_and_b32_e32 v83, 0x7c0000, v12
	v_cmp_eq_u32_e32 vcc_lo, 0, v84
	s_delay_alu instid0(VALU_DEP_4) | instskip(NEXT) | instid1(VALU_DEP_4)
	v_add_nc_u32_e32 v82, 0x38000000, v82
	v_cndmask_b32_e32 v10, 0x7f800001, v10, vcc_lo
	s_delay_alu instid0(VALU_DEP_4) | instskip(NEXT) | instid1(VALU_DEP_2)
	v_cmp_eq_u32_e32 vcc_lo, 0x7c0000, v83
	v_cndmask_b32_e32 v82, v82, v10, vcc_lo
.LBB2_3985:                             ;   in Loop: Header=BB2_3151 Depth=2
	s_or_b32 exec_lo, exec_lo, s10
	s_delay_alu instid0(VALU_DEP_1) | instskip(SKIP_2) | instid1(VALU_DEP_2)
	v_dual_add_f32 v82, v11, v82 :: v_dual_mov_b32 v85, v33
	v_mov_b32_e32 v11, v33
                                        ; implicit-def: $vgpr117
	s_mov_b32 s10, exec_lo
	v_and_b32_e32 v84, 0x7f800000, v82
	v_and_b32_e32 v10, 0x7fffff, v82
	v_lshrrev_b32_e32 v83, 24, v82
	s_delay_alu instid0(VALU_DEP_3)
	v_cmpx_ne_u64_e32 0x7f800000, v[84:85]
	s_xor_b32 s29, exec_lo, s10
	s_cbranch_execz .LBB2_3999
; %bb.3986:                             ;   in Loop: Header=BB2_3151 Depth=2
	v_and_b32_e32 v84, 0x7fffffff, v82
	v_mov_b32_e32 v85, v33
                                        ; implicit-def: $vgpr117
	s_delay_alu instid0(VALU_DEP_1) | instskip(SKIP_2) | instid1(SALU_CYCLE_1)
	v_cmp_gt_u64_e32 vcc_lo, 0x47600001, v[84:85]
	v_and_b32_e32 v84, 0x80, v83
	s_and_saveexec_b32 s10, vcc_lo
	s_xor_b32 s40, exec_lo, s10
	s_cbranch_execz .LBB2_3996
; %bb.3987:                             ;   in Loop: Header=BB2_3151 Depth=2
	v_mov_b32_e32 v117, 0
	s_mov_b32 s41, exec_lo
	v_cmpx_ne_u32_e32 0, v82
	s_cbranch_execz .LBB2_3995
; %bb.3988:                             ;   in Loop: Header=BB2_3151 Depth=2
	v_bfe_u32 v85, v82, 23, 8
	v_or_b32_e32 v119, 0x800000, v10
	s_delay_alu instid0(VALU_DEP_2) | instskip(SKIP_1) | instid1(VALU_DEP_2)
	v_sub_nc_u32_e32 v82, 0x71, v85
	v_cmp_gt_u32_e32 vcc_lo, 0x72, v85
	v_cndmask_b32_e32 v82, 0, v82, vcc_lo
	v_cmp_eq_u32_e32 vcc_lo, 0, v85
	s_delay_alu instid0(VALU_DEP_2) | instskip(NEXT) | instid1(VALU_DEP_1)
	v_cndmask_b32_e64 v117, v82, 0x70, vcc_lo
	v_dual_cndmask_b32 v10, v119, v10, vcc_lo :: v_dual_add_nc_u32 v82, 21, v117
	v_add_nc_u32_e32 v40, 20, v117
	s_delay_alu instid0(VALU_DEP_2) | instskip(NEXT) | instid1(VALU_DEP_2)
	v_lshlrev_b64_e64 v[82:83], v82, -1
	v_lshlrev_b64_e64 v[40:41], v40, 1
	s_delay_alu instid0(VALU_DEP_2) | instskip(SKIP_1) | instid1(VALU_DEP_4)
	v_bfi_b32 v82, v82, 0, v10
	v_lshrrev_b64 v[10:11], v117, v[10:11]
	v_bfi_b32 v83, v83, 0, 0
	s_delay_alu instid0(VALU_DEP_1) | instskip(NEXT) | instid1(VALU_DEP_3)
	v_cmp_eq_u64_e64 s10, v[82:83], v[40:41]
	v_mov_b64_e32 v[82:83], v[10:11]
	s_and_saveexec_b32 s42, s10
; %bb.3989:                             ;   in Loop: Header=BB2_3151 Depth=2
	v_bfe_u32 v82, v10, 21, 1
	v_mov_b32_e32 v83, v33
	s_delay_alu instid0(VALU_DEP_1) | instskip(NEXT) | instid1(VALU_DEP_1)
	v_add_nc_u64_e32 v[82:83], v[10:11], v[82:83]
	v_add_nc_u64_e32 v[82:83], -1, v[82:83]
; %bb.3990:                             ;   in Loop: Header=BB2_3151 Depth=2
	s_or_b32 exec_lo, exec_lo, s42
	v_add_nc_u32_e32 v11, 0xffffff81, v85
	v_lshrrev_b32_e32 v83, 23, v10
	s_mov_b32 s10, exec_lo
	s_delay_alu instid0(VALU_DEP_2) | instskip(NEXT) | instid1(VALU_DEP_1)
	v_cndmask_b32_e64 v11, v11, 0xffffff82, vcc_lo
	v_add3_u32 v83, v117, v11, v83
	v_and_b32_e32 v11, 0x1fffff, v82
                                        ; implicit-def: $vgpr82
	s_delay_alu instid0(VALU_DEP_1) | instskip(SKIP_1) | instid1(VALU_DEP_2)
	v_dual_add_nc_u32 v85, 14, v83 :: v_dual_add_nc_u32 v10, v11, v10
	v_mov_b32_e32 v11, v33
	v_cmpx_ne_u32_e32 0, v85
	s_xor_b32 s10, exec_lo, s10
; %bb.3991:                             ;   in Loop: Header=BB2_3151 Depth=2
	s_delay_alu instid0(VALU_DEP_2) | instskip(SKIP_2) | instid1(VALU_DEP_2)
	v_cmp_lt_u64_e32 vcc_lo, 0xffffff, v[10:11]
	v_add_nc_u32_e32 v82, 15, v83
	v_cndmask_b32_e64 v83, 0, 1, vcc_lo
	v_cndmask_b32_e32 v82, v85, v82, vcc_lo
	s_delay_alu instid0(VALU_DEP_2)
	v_lshrrev_b64 v[10:11], v83, v[10:11]
; %bb.3992:                             ;   in Loop: Header=BB2_3151 Depth=2
	s_and_not1_saveexec_b32 s10, s10
; %bb.3993:                             ;   in Loop: Header=BB2_3151 Depth=2
	s_delay_alu instid0(VALU_DEP_1)
	v_bfe_u32 v82, v10, 23, 1
; %bb.3994:                             ;   in Loop: Header=BB2_3151 Depth=2
	s_or_b32 exec_lo, exec_lo, s10
	s_delay_alu instid0(VALU_DEP_2) | instskip(NEXT) | instid1(VALU_DEP_2)
	v_lshrrev_b64 v[10:11], 21, v[10:11]
	v_cmp_gt_i32_e32 vcc_lo, 32, v82
	v_min_i32_e32 v83, 31, v82
	v_cmp_eq_u32_e64 s10, 0, v82
	s_delay_alu instid0(VALU_DEP_4) | instskip(NEXT) | instid1(VALU_DEP_3)
	v_cndmask_b32_e32 v11, 0, v11, vcc_lo
	v_dual_cndmask_b32 v10, 3, v10 :: v_dual_lshlrev_b32 v83, 2, v83
	s_delay_alu instid0(VALU_DEP_1) | instskip(NEXT) | instid1(VALU_DEP_2)
	v_and_b32_e32 v83, 0xfc, v83
	v_cmp_eq_u64_e32 vcc_lo, 0, v[10:11]
	s_delay_alu instid0(VALU_DEP_2)
	v_and_or_b32 v10, v10, 3, v83
	s_and_b32 s10, s10, vcc_lo
	s_delay_alu instid0(VALU_DEP_1) | instid1(SALU_CYCLE_1)
	v_cndmask_b32_e64 v10, v10, 0, s10
	s_delay_alu instid0(VALU_DEP_1)
	v_or_b32_e32 v117, v10, v84
.LBB2_3995:                             ;   in Loop: Header=BB2_3151 Depth=2
	s_or_b32 exec_lo, exec_lo, s41
                                        ; implicit-def: $vgpr84
.LBB2_3996:                             ;   in Loop: Header=BB2_3151 Depth=2
	s_and_not1_saveexec_b32 s10, s40
; %bb.3997:                             ;   in Loop: Header=BB2_3151 Depth=2
	v_or_b32_e32 v117, 0x7b, v84
; %bb.3998:                             ;   in Loop: Header=BB2_3151 Depth=2
	s_or_b32 exec_lo, exec_lo, s10
                                        ; implicit-def: $vgpr82
                                        ; implicit-def: $vgpr10_vgpr11
                                        ; implicit-def: $vgpr83
.LBB2_3999:                             ;   in Loop: Header=BB2_3151 Depth=2
	s_and_not1_saveexec_b32 s10, s29
	s_cbranch_execz .LBB2_4005
; %bb.4000:                             ;   in Loop: Header=BB2_3151 Depth=2
	s_mov_b32 s29, exec_lo
                                        ; implicit-def: $vgpr117
	v_cmpx_ne_u64_e32 0, v[10:11]
	s_xor_b32 s29, exec_lo, s29
; %bb.4001:                             ;   in Loop: Header=BB2_3151 Depth=2
	v_or_b32_e32 v117, 0x7f, v83
                                        ; implicit-def: $vgpr82
; %bb.4002:                             ;   in Loop: Header=BB2_3151 Depth=2
	s_and_not1_saveexec_b32 s29, s29
; %bb.4003:                             ;   in Loop: Header=BB2_3151 Depth=2
	v_cmp_lt_i32_e32 vcc_lo, -1, v82
	v_cndmask_b32_e32 v117, 0xfc, v46, vcc_lo
; %bb.4004:                             ;   in Loop: Header=BB2_3151 Depth=2
	s_or_b32 exec_lo, exec_lo, s29
.LBB2_4005:                             ;   in Loop: Header=BB2_3151 Depth=2
	s_delay_alu instid0(SALU_CYCLE_1)
	s_or_b32 exec_lo, exec_lo, s10
	v_mov_b32_e32 v11, 0
	s_mov_b32 s10, exec_lo
	v_cmpx_lt_u32_e32 0xffffff, v32
	s_cbranch_execz .LBB2_4015
; %bb.4006:                             ;   in Loop: Header=BB2_3151 Depth=2
	v_lshrrev_b32_e32 v10, 24, v32
	v_bfrev_b32_e32 v11, 1
	s_mov_b32 s29, exec_lo
	s_delay_alu instid0(VALU_DEP_2)
	v_cmpx_ne_u32_e32 0x80, v10
	s_cbranch_execz .LBB2_4014
; %bb.4007:                             ;   in Loop: Header=BB2_3151 Depth=2
	v_and_b32_e32 v11, 0x7c000000, v32
	v_bfe_u32 v82, v32, 24, 2
	s_delay_alu instid0(VALU_DEP_2) | instskip(SKIP_1) | instid1(SALU_CYCLE_1)
	v_cmp_ne_u32_e32 vcc_lo, 0x7c000000, v11
                                        ; implicit-def: $vgpr11
	s_and_saveexec_b32 s40, vcc_lo
	s_xor_b32 s40, exec_lo, s40
	s_cbranch_execz .LBB2_4011
; %bb.4008:                             ;   in Loop: Header=BB2_3151 Depth=2
	v_bfe_u32 v11, v32, 26, 5
	s_mov_b32 s41, exec_lo
	s_delay_alu instid0(VALU_DEP_1)
	v_cmpx_eq_u32_e32 0, v11
; %bb.4009:                             ;   in Loop: Header=BB2_3151 Depth=2
	v_clz_i32_u32_e32 v11, v82
	s_delay_alu instid0(VALU_DEP_1) | instskip(NEXT) | instid1(VALU_DEP_1)
	v_min_u32_e32 v82, 32, v11
	v_subrev_nc_u32_e32 v11, 29, v82
	s_delay_alu instid0(VALU_DEP_1) | instskip(SKIP_1) | instid1(VALU_DEP_2)
	v_lshlrev_b64_e32 v[10:11], v11, v[10:11]
	v_sub_nc_u32_e32 v11, 30, v82
	v_and_b32_e32 v82, 3, v10
; %bb.4010:                             ;   in Loop: Header=BB2_3151 Depth=2
	s_or_b32 exec_lo, exec_lo, s41
	v_and_b32_e32 v10, 0x80000000, v32
	s_delay_alu instid0(VALU_DEP_1) | instskip(NEXT) | instid1(VALU_DEP_1)
	v_lshl_add_u32 v10, v11, 23, v10
	v_lshl_or_b32 v10, v82, 21, v10
                                        ; implicit-def: $vgpr82
	s_delay_alu instid0(VALU_DEP_1)
	v_add_nc_u32_e32 v11, 0x38000000, v10
.LBB2_4011:                             ;   in Loop: Header=BB2_3151 Depth=2
	s_and_not1_saveexec_b32 s40, s40
; %bb.4012:                             ;   in Loop: Header=BB2_3151 Depth=2
	v_cmp_lt_i32_e32 vcc_lo, -1, v32
	v_cndmask_b32_e32 v10, 0xff800000, v45, vcc_lo
	v_cmp_eq_u32_e32 vcc_lo, 0, v82
	s_delay_alu instid0(VALU_DEP_2)
	v_cndmask_b32_e32 v11, 0x7f800001, v10, vcc_lo
; %bb.4013:                             ;   in Loop: Header=BB2_3151 Depth=2
	s_or_b32 exec_lo, exec_lo, s40
.LBB2_4014:                             ;   in Loop: Header=BB2_3151 Depth=2
	s_delay_alu instid0(SALU_CYCLE_1)
	s_or_b32 exec_lo, exec_lo, s29
.LBB2_4015:                             ;   in Loop: Header=BB2_3151 Depth=2
	s_delay_alu instid0(SALU_CYCLE_1) | instskip(SKIP_3) | instid1(VALU_DEP_2)
	s_or_b32 exec_lo, exec_lo, s10
	v_bfe_u32 v32, v12, 24, 2
	v_bfe_u32 v85, v12, 26, 5
                                        ; implicit-def: $vgpr119
	s_mov_b32 s10, exec_lo
	v_clz_i32_u32_e32 v10, v32
	s_delay_alu instid0(VALU_DEP_2) | instskip(NEXT) | instid1(VALU_DEP_2)
	v_cmp_eq_u32_e32 vcc_lo, 0, v85
	v_min_u32_e32 v84, 32, v10
	v_lshrrev_b32_e32 v10, 24, v12
	s_delay_alu instid0(VALU_DEP_2) | instskip(NEXT) | instid1(VALU_DEP_1)
	v_subrev_nc_u32_e32 v82, 29, v84
	v_lshlrev_b64_e32 v[82:83], v82, v[10:11]
	v_sub_nc_u32_e32 v83, 30, v84
	v_and_b32_e32 v84, 0x80000000, v12
	s_delay_alu instid0(VALU_DEP_2) | instskip(NEXT) | instid1(VALU_DEP_1)
	v_dual_cndmask_b32 v83, v85, v83, vcc_lo :: v_dual_bitop2_b32 v82, 3, v82 bitop3:0x40
	v_cndmask_b32_e32 v82, v32, v82, vcc_lo
	s_delay_alu instid0(VALU_DEP_2) | instskip(SKIP_1) | instid1(VALU_DEP_2)
	v_lshl_add_u32 v83, v83, 23, v84
	v_cmp_lt_i32_e32 vcc_lo, -1, v12
	v_lshl_or_b32 v82, v82, 21, v83
	v_cndmask_b32_e32 v84, 0xff800000, v45, vcc_lo
	v_and_b32_e32 v83, 0x7c000000, v12
	v_cmp_eq_u32_e32 vcc_lo, 0, v32
	s_delay_alu instid0(VALU_DEP_4) | instskip(NEXT) | instid1(VALU_DEP_4)
	v_add_nc_u32_e32 v82, 0x38000000, v82
	v_cndmask_b32_e32 v32, 0x7f800001, v84, vcc_lo
	s_delay_alu instid0(VALU_DEP_4) | instskip(NEXT) | instid1(VALU_DEP_2)
	v_cmp_eq_u32_e32 vcc_lo, 0x7c000000, v83
	v_dual_mov_b32 v83, v33 :: v_dual_cndmask_b32 v32, v82, v32
	v_cmp_ne_u32_e32 vcc_lo, 0x80, v10
	s_delay_alu instid0(VALU_DEP_2) | instskip(SKIP_1) | instid1(VALU_DEP_2)
	v_cndmask_b32_e32 v10, 0x80000000, v32, vcc_lo
	v_cmp_lt_u32_e32 vcc_lo, 0xffffff, v12
	v_cndmask_b32_e32 v10, 0, v10, vcc_lo
	s_delay_alu instid0(VALU_DEP_1) | instskip(NEXT) | instid1(VALU_DEP_1)
	v_add_f32_e32 v10, v10, v11
	v_and_b32_e32 v82, 0x7f800000, v10
	v_and_b32_e32 v32, 0x7fffff, v10
	v_lshrrev_b32_e32 v11, 24, v10
	s_delay_alu instid0(VALU_DEP_3)
	v_cmpx_ne_u64_e32 0x7f800000, v[82:83]
	s_xor_b32 s29, exec_lo, s10
	s_cbranch_execz .LBB2_4029
; %bb.4016:                             ;   in Loop: Header=BB2_3151 Depth=2
	v_and_b32_e32 v82, 0x7fffffff, v10
	v_mov_b32_e32 v83, v33
	v_and_b32_e32 v84, 0x80, v11
                                        ; implicit-def: $vgpr119
	s_mov_b32 s10, exec_lo
	s_delay_alu instid0(VALU_DEP_2)
	v_cmpx_gt_u64_e32 0x47600001, v[82:83]
	s_xor_b32 s40, exec_lo, s10
	s_cbranch_execz .LBB2_4026
; %bb.4017:                             ;   in Loop: Header=BB2_3151 Depth=2
	v_mov_b32_e32 v119, 0
	s_mov_b32 s41, exec_lo
	v_cmpx_ne_u32_e32 0, v10
	s_cbranch_execz .LBB2_4025
; %bb.4018:                             ;   in Loop: Header=BB2_3151 Depth=2
	v_bfe_u32 v85, v10, 23, 8
	v_or_b32_e32 v82, 0x800000, v32
	s_delay_alu instid0(VALU_DEP_2) | instskip(SKIP_1) | instid1(VALU_DEP_2)
	v_sub_nc_u32_e32 v10, 0x71, v85
	v_cmp_gt_u32_e32 vcc_lo, 0x72, v85
	v_cndmask_b32_e32 v10, 0, v10, vcc_lo
	v_cmp_eq_u32_e32 vcc_lo, 0, v85
	s_delay_alu instid0(VALU_DEP_2) | instskip(NEXT) | instid1(VALU_DEP_1)
	v_cndmask_b32_e64 v119, v10, 0x70, vcc_lo
	v_dual_cndmask_b32 v32, v82, v32, vcc_lo :: v_dual_add_nc_u32 v10, 21, v119
	v_add_nc_u32_e32 v83, 20, v119
	s_delay_alu instid0(VALU_DEP_2) | instskip(NEXT) | instid1(VALU_DEP_2)
	v_lshlrev_b64_e64 v[10:11], v10, -1
	v_lshlrev_b64_e64 v[82:83], v83, 1
	s_delay_alu instid0(VALU_DEP_2) | instskip(NEXT) | instid1(VALU_DEP_3)
	v_bfi_b32 v41, v11, 0, 0
	v_bfi_b32 v40, v10, 0, v32
	v_lshrrev_b64 v[10:11], v119, v[32:33]
	s_delay_alu instid0(VALU_DEP_2) | instskip(NEXT) | instid1(VALU_DEP_2)
	v_cmp_eq_u64_e64 s10, v[40:41], v[82:83]
	v_mov_b64_e32 v[82:83], v[10:11]
	s_and_saveexec_b32 s42, s10
; %bb.4019:                             ;   in Loop: Header=BB2_3151 Depth=2
	v_bfe_u32 v32, v10, 21, 1
	s_delay_alu instid0(VALU_DEP_1) | instskip(NEXT) | instid1(VALU_DEP_1)
	v_add_nc_u64_e32 v[82:83], v[10:11], v[32:33]
	v_add_nc_u64_e32 v[82:83], -1, v[82:83]
; %bb.4020:                             ;   in Loop: Header=BB2_3151 Depth=2
	s_or_b32 exec_lo, exec_lo, s42
	v_add_nc_u32_e32 v11, 0xffffff81, v85
	v_lshrrev_b32_e32 v32, 23, v10
	s_mov_b32 s10, exec_lo
	s_delay_alu instid0(VALU_DEP_2) | instskip(NEXT) | instid1(VALU_DEP_1)
	v_cndmask_b32_e64 v11, v11, 0xffffff82, vcc_lo
	v_add3_u32 v83, v119, v11, v32
	v_and_b32_e32 v11, 0x1fffff, v82
                                        ; implicit-def: $vgpr82
	s_delay_alu instid0(VALU_DEP_1) | instskip(NEXT) | instid1(VALU_DEP_1)
	v_dual_add_nc_u32 v85, 14, v83 :: v_dual_add_nc_u32 v32, v11, v10
                                        ; implicit-def: $vgpr10_vgpr11
	v_cmpx_ne_u32_e32 0, v85
	s_xor_b32 s10, exec_lo, s10
; %bb.4021:                             ;   in Loop: Header=BB2_3151 Depth=2
	s_delay_alu instid0(VALU_DEP_2) | instskip(SKIP_1) | instid1(VALU_DEP_1)
	v_cmp_lt_u64_e32 vcc_lo, 0xffffff, v[32:33]
	v_add_nc_u32_e32 v10, 15, v83
	v_cndmask_b32_e32 v82, v85, v10, vcc_lo
	v_cndmask_b32_e64 v10, 0, 1, vcc_lo
	s_delay_alu instid0(VALU_DEP_1)
	v_lshrrev_b64 v[10:11], v10, v[32:33]
; %bb.4022:                             ;   in Loop: Header=BB2_3151 Depth=2
	s_and_not1_saveexec_b32 s10, s10
; %bb.4023:                             ;   in Loop: Header=BB2_3151 Depth=2
	v_mov_b64_e32 v[10:11], v[32:33]
	v_bfe_u32 v82, v32, 23, 1
; %bb.4024:                             ;   in Loop: Header=BB2_3151 Depth=2
	s_or_b32 exec_lo, exec_lo, s10
	s_delay_alu instid0(VALU_DEP_2) | instskip(NEXT) | instid1(VALU_DEP_2)
	v_lshrrev_b64 v[10:11], 21, v[10:11]
	v_cmp_gt_i32_e32 vcc_lo, 32, v82
	v_min_i32_e32 v32, 31, v82
	v_cmp_eq_u32_e64 s10, 0, v82
	s_delay_alu instid0(VALU_DEP_2) | instskip(SKIP_1) | instid1(VALU_DEP_2)
	v_dual_cndmask_b32 v11, 0, v11 :: v_dual_lshlrev_b32 v32, 2, v32
	v_cndmask_b32_e32 v10, 3, v10, vcc_lo
	v_and_b32_e32 v32, 0xfc, v32
	s_delay_alu instid0(VALU_DEP_2) | instskip(NEXT) | instid1(VALU_DEP_2)
	v_cmp_eq_u64_e32 vcc_lo, 0, v[10:11]
	v_and_or_b32 v10, v10, 3, v32
	s_and_b32 s10, s10, vcc_lo
	s_delay_alu instid0(VALU_DEP_1) | instid1(SALU_CYCLE_1)
	v_cndmask_b32_e64 v10, v10, 0, s10
	s_delay_alu instid0(VALU_DEP_1)
	v_or_b32_e32 v119, v10, v84
.LBB2_4025:                             ;   in Loop: Header=BB2_3151 Depth=2
	s_or_b32 exec_lo, exec_lo, s41
                                        ; implicit-def: $vgpr84
.LBB2_4026:                             ;   in Loop: Header=BB2_3151 Depth=2
	s_and_not1_saveexec_b32 s10, s40
; %bb.4027:                             ;   in Loop: Header=BB2_3151 Depth=2
	v_or_b32_e32 v119, 0x7b, v84
; %bb.4028:                             ;   in Loop: Header=BB2_3151 Depth=2
	s_or_b32 exec_lo, exec_lo, s10
                                        ; implicit-def: $vgpr10
                                        ; implicit-def: $vgpr11
.LBB2_4029:                             ;   in Loop: Header=BB2_3151 Depth=2
	s_and_not1_saveexec_b32 s10, s29
	s_cbranch_execz .LBB2_4035
; %bb.4030:                             ;   in Loop: Header=BB2_3151 Depth=2
	s_mov_b32 s29, exec_lo
                                        ; implicit-def: $vgpr119
	v_cmpx_ne_u64_e32 0, v[32:33]
	s_xor_b32 s29, exec_lo, s29
; %bb.4031:                             ;   in Loop: Header=BB2_3151 Depth=2
	v_or_b32_e32 v119, 0x7f, v11
                                        ; implicit-def: $vgpr10
; %bb.4032:                             ;   in Loop: Header=BB2_3151 Depth=2
	s_and_not1_saveexec_b32 s29, s29
; %bb.4033:                             ;   in Loop: Header=BB2_3151 Depth=2
	v_cmp_lt_i32_e32 vcc_lo, -1, v10
	v_cndmask_b32_e32 v119, 0xfc, v46, vcc_lo
; %bb.4034:                             ;   in Loop: Header=BB2_3151 Depth=2
	s_or_b32 exec_lo, exec_lo, s29
.LBB2_4035:                             ;   in Loop: Header=BB2_3151 Depth=2
	s_delay_alu instid0(SALU_CYCLE_1) | instskip(SKIP_4) | instid1(VALU_DEP_2)
	s_or_b32 exec_lo, exec_lo, s10
	v_dual_lshlrev_b32 v10, 24, v116 :: v_dual_lshlrev_b32 v11, 16, v113
	v_lshl_or_b32 v103, v103, 8, v100
	v_mov_b32_e32 v82, 0
	s_mov_b32 s10, exec_lo
	v_or3_b32 v32, v11, v10, v103
	v_cmpx_ne_u32_e32 0, v100
	s_cbranch_execz .LBB2_4045
; %bb.4036:                             ;   in Loop: Header=BB2_3151 Depth=2
	v_bfrev_b32_e32 v82, 1
	s_mov_b32 s29, exec_lo
	v_cmpx_ne_u32_e32 0x80, v100
	s_cbranch_execz .LBB2_4044
; %bb.4037:                             ;   in Loop: Header=BB2_3151 Depth=2
	v_and_b32_e32 v11, 0x7c, v100
	v_and_b32_e32 v10, 3, v100
	s_mov_b32 s40, exec_lo
                                        ; implicit-def: $vgpr82
	s_delay_alu instid0(VALU_DEP_2)
	v_cmpx_ne_u32_e32 0x7c, v11
	s_xor_b32 s40, exec_lo, s40
	s_cbranch_execz .LBB2_4041
; %bb.4038:                             ;   in Loop: Header=BB2_3151 Depth=2
	v_bfe_u32 v11, v100, 2, 5
	s_mov_b32 s41, exec_lo
	s_delay_alu instid0(VALU_DEP_1)
	v_cmpx_eq_u32_e32 0, v11
; %bb.4039:                             ;   in Loop: Header=BB2_3151 Depth=2
	v_clz_i32_u32_e32 v10, v10
	s_delay_alu instid0(VALU_DEP_1) | instskip(NEXT) | instid1(VALU_DEP_1)
	v_min_u32_e32 v82, 32, v10
	v_subrev_nc_u32_e32 v10, 29, v82
	s_delay_alu instid0(VALU_DEP_1) | instskip(SKIP_1) | instid1(VALU_DEP_2)
	v_lshlrev_b64_e32 v[10:11], v10, v[32:33]
	v_sub_nc_u32_e32 v11, 30, v82
	v_and_b32_e32 v10, 3, v10
; %bb.4040:                             ;   in Loop: Header=BB2_3151 Depth=2
	s_or_b32 exec_lo, exec_lo, s41
	v_lshlrev_b32_e32 v82, 24, v100
                                        ; implicit-def: $vgpr100
	s_delay_alu instid0(VALU_DEP_1) | instskip(NEXT) | instid1(VALU_DEP_1)
	v_and_b32_e32 v82, 0x80000000, v82
	v_lshl_add_u32 v11, v11, 23, v82
	s_delay_alu instid0(VALU_DEP_1) | instskip(NEXT) | instid1(VALU_DEP_1)
	v_lshl_or_b32 v10, v10, 21, v11
	v_add_nc_u32_e32 v82, 0x38000000, v10
                                        ; implicit-def: $vgpr10
.LBB2_4041:                             ;   in Loop: Header=BB2_3151 Depth=2
	s_and_not1_saveexec_b32 s40, s40
; %bb.4042:                             ;   in Loop: Header=BB2_3151 Depth=2
	v_and_b32_e32 v11, 0x80, v100
	s_delay_alu instid0(VALU_DEP_1) | instskip(SKIP_2) | instid1(VALU_DEP_2)
	v_cmp_eq_u32_e32 vcc_lo, 0, v11
	v_cndmask_b32_e32 v11, 0xff800000, v45, vcc_lo
	v_cmp_eq_u32_e32 vcc_lo, 0, v10
	v_cndmask_b32_e32 v82, 0x7f800001, v11, vcc_lo
; %bb.4043:                             ;   in Loop: Header=BB2_3151 Depth=2
	s_or_b32 exec_lo, exec_lo, s40
.LBB2_4044:                             ;   in Loop: Header=BB2_3151 Depth=2
	s_delay_alu instid0(SALU_CYCLE_1)
	s_or_b32 exec_lo, exec_lo, s29
.LBB2_4045:                             ;   in Loop: Header=BB2_3151 Depth=2
	s_delay_alu instid0(SALU_CYCLE_1) | instskip(SKIP_4) | instid1(VALU_DEP_2)
	s_or_b32 exec_lo, exec_lo, s10
	v_and_b32_e32 v11, 0xff, v13
	v_mov_b32_e32 v10, v13
	s_mov_b32 s29, 0
	s_mov_b32 s10, exec_lo
	v_cmpx_lt_i16_e32 0x7f, v11
	s_xor_b32 s10, exec_lo, s10
	s_cbranch_execnz .LBB2_4202
; %bb.4046:                             ;   in Loop: Header=BB2_3151 Depth=2
	s_or_saveexec_b32 s10, s10
	v_bfrev_b32_e32 v83, 1
	s_xor_b32 exec_lo, exec_lo, s10
	s_cbranch_execnz .LBB2_4205
.LBB2_4047:                             ;   in Loop: Header=BB2_3151 Depth=2
	s_or_b32 exec_lo, exec_lo, s10
	v_mov_b32_e32 v11, v33
	s_and_saveexec_b32 s10, s29
	s_cbranch_execz .LBB2_4049
.LBB2_4048:                             ;   in Loop: Header=BB2_3151 Depth=2
	v_and_b32_e32 v83, 3, v13
	s_delay_alu instid0(VALU_DEP_1) | instskip(NEXT) | instid1(VALU_DEP_1)
	v_clz_i32_u32_e32 v84, v83
	v_min_u32_e32 v100, 32, v84
	s_delay_alu instid0(VALU_DEP_1) | instskip(SKIP_1) | instid1(VALU_DEP_2)
	v_subrev_nc_u32_e32 v84, 29, v100
	v_sub_nc_u32_e32 v100, 30, v100
	v_lshlrev_b64_e32 v[84:85], v84, v[10:11]
	v_bfe_u32 v85, v13, 2, 5
	v_lshlrev_b32_e32 v11, 24, v13
	s_delay_alu instid0(VALU_DEP_2) | instskip(NEXT) | instid1(VALU_DEP_2)
	v_cmp_eq_u32_e32 vcc_lo, 0, v85
	v_and_b32_e32 v11, 0x80000000, v11
	v_and_b32_e32 v84, 3, v84
	v_cndmask_b32_e32 v85, v85, v100, vcc_lo
	v_bfe_i32 v100, v13, 0, 8
	s_delay_alu instid0(VALU_DEP_3) | instskip(NEXT) | instid1(VALU_DEP_3)
	v_cndmask_b32_e32 v84, v83, v84, vcc_lo
	v_lshl_add_u32 v11, v85, 23, v11
	s_delay_alu instid0(VALU_DEP_3) | instskip(NEXT) | instid1(VALU_DEP_2)
	v_cmp_lt_i16_e32 vcc_lo, -1, v100
	v_lshl_or_b32 v11, v84, 21, v11
	v_cndmask_b32_e32 v85, 0xff800000, v45, vcc_lo
	v_and_b32_e32 v84, 0x7c, v13
	v_cmp_eq_u32_e32 vcc_lo, 0, v83
	s_delay_alu instid0(VALU_DEP_4) | instskip(NEXT) | instid1(VALU_DEP_4)
	v_add_nc_u32_e32 v11, 0x38000000, v11
	v_cndmask_b32_e32 v83, 0x7f800001, v85, vcc_lo
	s_delay_alu instid0(VALU_DEP_4) | instskip(NEXT) | instid1(VALU_DEP_2)
	v_cmp_eq_u32_e32 vcc_lo, 0x7c, v84
	v_cndmask_b32_e32 v83, v11, v83, vcc_lo
.LBB2_4049:                             ;   in Loop: Header=BB2_3151 Depth=2
	s_or_b32 exec_lo, exec_lo, s10
	s_delay_alu instid0(VALU_DEP_1) | instskip(SKIP_2) | instid1(VALU_DEP_2)
	v_dual_add_f32 v85, v82, v83 :: v_dual_mov_b32 v41, v33
	v_mov_b32_e32 v83, v33
                                        ; implicit-def: $vgpr84
	s_mov_b32 s10, exec_lo
	v_and_b32_e32 v40, 0x7f800000, v85
	v_and_b32_e32 v82, 0x7fffff, v85
	v_lshrrev_b32_e32 v11, 24, v85
	s_delay_alu instid0(VALU_DEP_3)
	v_cmpx_ne_u64_e32 0x7f800000, v[40:41]
	s_xor_b32 s29, exec_lo, s10
	s_cbranch_execz .LBB2_4063
; %bb.4050:                             ;   in Loop: Header=BB2_3151 Depth=2
	v_and_b32_e32 v40, 0x7fffffff, v85
	v_mov_b32_e32 v41, v33
	v_and_b32_e32 v11, 0x80, v11
                                        ; implicit-def: $vgpr84
	s_mov_b32 s10, exec_lo
	s_delay_alu instid0(VALU_DEP_2)
	v_cmpx_gt_u64_e32 0x47600001, v[40:41]
	s_xor_b32 s40, exec_lo, s10
	s_cbranch_execz .LBB2_4060
; %bb.4051:                             ;   in Loop: Header=BB2_3151 Depth=2
	v_mov_b32_e32 v84, 0
	s_mov_b32 s41, exec_lo
	v_cmpx_ne_u32_e32 0, v85
	s_cbranch_execz .LBB2_4059
; %bb.4052:                             ;   in Loop: Header=BB2_3151 Depth=2
	v_bfe_u32 v100, v85, 23, 8
	v_or_b32_e32 v116, 0x800000, v82
	s_delay_alu instid0(VALU_DEP_2) | instskip(SKIP_1) | instid1(VALU_DEP_2)
	v_sub_nc_u32_e32 v84, 0x71, v100
	v_cmp_gt_u32_e32 vcc_lo, 0x72, v100
	v_cndmask_b32_e32 v84, 0, v84, vcc_lo
	v_cmp_eq_u32_e32 vcc_lo, 0, v100
	s_delay_alu instid0(VALU_DEP_2) | instskip(NEXT) | instid1(VALU_DEP_1)
	v_cndmask_b32_e64 v113, v84, 0x70, vcc_lo
	v_dual_cndmask_b32 v82, v116, v82, vcc_lo :: v_dual_add_nc_u32 v84, 21, v113
	v_add_nc_u32_e32 v40, 20, v113
	s_delay_alu instid0(VALU_DEP_2) | instskip(NEXT) | instid1(VALU_DEP_2)
	v_lshlrev_b64_e64 v[84:85], v84, -1
	v_lshlrev_b64_e64 v[40:41], v40, 1
	s_delay_alu instid0(VALU_DEP_2) | instskip(SKIP_1) | instid1(VALU_DEP_4)
	v_bfi_b32 v84, v84, 0, v82
	v_lshrrev_b64 v[82:83], v113, v[82:83]
	v_bfi_b32 v85, v85, 0, 0
	s_delay_alu instid0(VALU_DEP_1) | instskip(NEXT) | instid1(VALU_DEP_3)
	v_cmp_eq_u64_e64 s10, v[84:85], v[40:41]
	v_mov_b64_e32 v[84:85], v[82:83]
	s_and_saveexec_b32 s42, s10
; %bb.4053:                             ;   in Loop: Header=BB2_3151 Depth=2
	v_bfe_u32 v84, v82, 21, 1
	v_mov_b32_e32 v85, v33
	s_delay_alu instid0(VALU_DEP_1) | instskip(NEXT) | instid1(VALU_DEP_1)
	v_add_nc_u64_e32 v[84:85], v[82:83], v[84:85]
	v_add_nc_u64_e32 v[84:85], -1, v[84:85]
; %bb.4054:                             ;   in Loop: Header=BB2_3151 Depth=2
	s_or_b32 exec_lo, exec_lo, s42
	v_add_nc_u32_e32 v83, 0xffffff81, v100
	v_lshrrev_b32_e32 v85, 23, v82
	s_mov_b32 s10, exec_lo
	s_delay_alu instid0(VALU_DEP_2) | instskip(NEXT) | instid1(VALU_DEP_1)
	v_cndmask_b32_e64 v83, v83, 0xffffff82, vcc_lo
	v_add3_u32 v85, v113, v83, v85
	v_and_b32_e32 v83, 0x1fffff, v84
                                        ; implicit-def: $vgpr84
	s_delay_alu instid0(VALU_DEP_1) | instskip(SKIP_1) | instid1(VALU_DEP_2)
	v_dual_add_nc_u32 v100, 14, v85 :: v_dual_add_nc_u32 v82, v83, v82
	v_mov_b32_e32 v83, v33
	v_cmpx_ne_u32_e32 0, v100
	s_xor_b32 s10, exec_lo, s10
; %bb.4055:                             ;   in Loop: Header=BB2_3151 Depth=2
	s_delay_alu instid0(VALU_DEP_2) | instskip(SKIP_2) | instid1(VALU_DEP_2)
	v_cmp_lt_u64_e32 vcc_lo, 0xffffff, v[82:83]
	v_add_nc_u32_e32 v84, 15, v85
	v_cndmask_b32_e64 v85, 0, 1, vcc_lo
	v_cndmask_b32_e32 v84, v100, v84, vcc_lo
	s_delay_alu instid0(VALU_DEP_2)
	v_lshrrev_b64 v[82:83], v85, v[82:83]
; %bb.4056:                             ;   in Loop: Header=BB2_3151 Depth=2
	s_and_not1_saveexec_b32 s10, s10
; %bb.4057:                             ;   in Loop: Header=BB2_3151 Depth=2
	s_delay_alu instid0(VALU_DEP_1)
	v_bfe_u32 v84, v82, 23, 1
; %bb.4058:                             ;   in Loop: Header=BB2_3151 Depth=2
	s_or_b32 exec_lo, exec_lo, s10
	s_delay_alu instid0(VALU_DEP_2) | instskip(NEXT) | instid1(VALU_DEP_2)
	v_lshrrev_b64 v[82:83], 21, v[82:83]
	v_cmp_gt_i32_e32 vcc_lo, 32, v84
	v_min_i32_e32 v85, 31, v84
	v_cmp_eq_u32_e64 s10, 0, v84
	s_delay_alu instid0(VALU_DEP_2) | instskip(SKIP_1) | instid1(VALU_DEP_2)
	v_dual_cndmask_b32 v83, 0, v83, vcc_lo :: v_dual_lshlrev_b32 v85, 2, v85
	v_cndmask_b32_e32 v82, 3, v82, vcc_lo
	v_and_b32_e32 v85, 0xfc, v85
	s_delay_alu instid0(VALU_DEP_2) | instskip(NEXT) | instid1(VALU_DEP_2)
	v_cmp_eq_u64_e32 vcc_lo, 0, v[82:83]
	v_and_or_b32 v82, v82, 3, v85
	s_and_b32 s10, s10, vcc_lo
	s_delay_alu instid0(VALU_DEP_1) | instid1(SALU_CYCLE_1)
	v_cndmask_b32_e64 v82, v82, 0, s10
	s_delay_alu instid0(VALU_DEP_1)
	v_or_b32_e32 v84, v82, v11
.LBB2_4059:                             ;   in Loop: Header=BB2_3151 Depth=2
	s_or_b32 exec_lo, exec_lo, s41
                                        ; implicit-def: $vgpr11
.LBB2_4060:                             ;   in Loop: Header=BB2_3151 Depth=2
	s_and_not1_saveexec_b32 s10, s40
; %bb.4061:                             ;   in Loop: Header=BB2_3151 Depth=2
	v_or_b32_e32 v84, 0x7b, v11
; %bb.4062:                             ;   in Loop: Header=BB2_3151 Depth=2
	s_or_b32 exec_lo, exec_lo, s10
                                        ; implicit-def: $vgpr85
                                        ; implicit-def: $vgpr82_vgpr83
                                        ; implicit-def: $vgpr11
.LBB2_4063:                             ;   in Loop: Header=BB2_3151 Depth=2
	s_and_not1_saveexec_b32 s10, s29
	s_cbranch_execz .LBB2_4069
; %bb.4064:                             ;   in Loop: Header=BB2_3151 Depth=2
	s_mov_b32 s29, exec_lo
                                        ; implicit-def: $vgpr84
	v_cmpx_ne_u64_e32 0, v[82:83]
	s_xor_b32 s29, exec_lo, s29
; %bb.4065:                             ;   in Loop: Header=BB2_3151 Depth=2
	v_or_b32_e32 v84, 0x7f, v11
                                        ; implicit-def: $vgpr85
; %bb.4066:                             ;   in Loop: Header=BB2_3151 Depth=2
	s_and_not1_saveexec_b32 s29, s29
; %bb.4067:                             ;   in Loop: Header=BB2_3151 Depth=2
	v_cmp_lt_i32_e32 vcc_lo, -1, v85
	v_cndmask_b32_e32 v84, 0xfc, v46, vcc_lo
; %bb.4068:                             ;   in Loop: Header=BB2_3151 Depth=2
	s_or_b32 exec_lo, exec_lo, s29
.LBB2_4069:                             ;   in Loop: Header=BB2_3151 Depth=2
	s_delay_alu instid0(SALU_CYCLE_1) | instskip(SKIP_3) | instid1(VALU_DEP_2)
	s_or_b32 exec_lo, exec_lo, s10
	v_lshrrev_b16 v82, 8, v103
	v_mov_b32_e32 v11, 0
	s_mov_b32 s10, exec_lo
	v_cmpx_ne_u16_e32 0, v82
	s_cbranch_execz .LBB2_4079
; %bb.4070:                             ;   in Loop: Header=BB2_3151 Depth=2
	v_bfrev_b32_e32 v11, 1
	s_mov_b32 s29, exec_lo
	v_cmpx_ne_u16_e32 0x80, v82
	s_cbranch_execz .LBB2_4078
; %bb.4071:                             ;   in Loop: Header=BB2_3151 Depth=2
	v_and_b32_e32 v85, 0xffff, v82
	s_delay_alu instid0(VALU_DEP_1) | instskip(SKIP_1) | instid1(VALU_DEP_2)
	v_and_b32_e32 v11, 0x7c, v85
	v_and_b32_e32 v83, 3, v85
	v_cmp_ne_u32_e32 vcc_lo, 0x7c, v11
                                        ; implicit-def: $vgpr11
	s_and_saveexec_b32 s40, vcc_lo
	s_delay_alu instid0(SALU_CYCLE_1)
	s_xor_b32 s40, exec_lo, s40
	s_cbranch_execz .LBB2_4075
; %bb.4072:                             ;   in Loop: Header=BB2_3151 Depth=2
	v_bfe_u32 v11, v85, 2, 5
	s_mov_b32 s41, exec_lo
	s_delay_alu instid0(VALU_DEP_1)
	v_cmpx_eq_u32_e32 0, v11
	s_cbranch_execz .LBB2_4074
; %bb.4073:                             ;   in Loop: Header=BB2_3151 Depth=2
	v_clz_i32_u32_e32 v11, v83
	s_delay_alu instid0(VALU_DEP_1) | instskip(SKIP_1) | instid1(VALU_DEP_2)
	v_min_u32_e32 v11, 32, v11
	v_mov_b32_e32 v83, v33
	v_subrev_nc_u32_e32 v85, 29, v11
	v_sub_nc_u32_e32 v11, 30, v11
	s_delay_alu instid0(VALU_DEP_2) | instskip(NEXT) | instid1(VALU_DEP_1)
	v_lshlrev_b64_e32 v[82:83], v85, v[82:83]
	v_and_b32_e32 v83, 3, v82
.LBB2_4074:                             ;   in Loop: Header=BB2_3151 Depth=2
	s_or_b32 exec_lo, exec_lo, s41
	v_lshlrev_b32_e32 v82, 16, v103
                                        ; implicit-def: $vgpr103
	s_delay_alu instid0(VALU_DEP_1) | instskip(NEXT) | instid1(VALU_DEP_1)
	v_and_b32_e32 v82, 0x80000000, v82
	v_lshl_add_u32 v11, v11, 23, v82
	s_delay_alu instid0(VALU_DEP_1) | instskip(NEXT) | instid1(VALU_DEP_1)
	v_lshl_or_b32 v11, v83, 21, v11
                                        ; implicit-def: $vgpr83
	v_add_nc_u32_e32 v11, 0x38000000, v11
.LBB2_4075:                             ;   in Loop: Header=BB2_3151 Depth=2
	s_and_not1_saveexec_b32 s40, s40
; %bb.4076:                             ;   in Loop: Header=BB2_3151 Depth=2
	v_cmp_lt_i16_e32 vcc_lo, -1, v103
	v_cndmask_b32_e32 v11, 0xff800000, v45, vcc_lo
	v_cmp_eq_u32_e32 vcc_lo, 0, v83
	s_delay_alu instid0(VALU_DEP_2)
	v_cndmask_b32_e32 v11, 0x7f800001, v11, vcc_lo
; %bb.4077:                             ;   in Loop: Header=BB2_3151 Depth=2
	s_or_b32 exec_lo, exec_lo, s40
.LBB2_4078:                             ;   in Loop: Header=BB2_3151 Depth=2
	s_delay_alu instid0(SALU_CYCLE_1)
	s_or_b32 exec_lo, exec_lo, s29
.LBB2_4079:                             ;   in Loop: Header=BB2_3151 Depth=2
	s_delay_alu instid0(SALU_CYCLE_1) | instskip(SKIP_3) | instid1(VALU_DEP_1)
	s_or_b32 exec_lo, exec_lo, s10
	v_lshrrev_b16 v82, 8, v10
	s_mov_b32 s29, 0
	s_mov_b32 s10, exec_lo
	v_cmpx_lt_i16_e32 0x7f, v82
	s_xor_b32 s10, exec_lo, s10
	s_cbranch_execnz .LBB2_4206
; %bb.4080:                             ;   in Loop: Header=BB2_3151 Depth=2
	s_or_saveexec_b32 s10, s10
	v_bfrev_b32_e32 v83, 1
	s_xor_b32 exec_lo, exec_lo, s10
	s_cbranch_execnz .LBB2_4209
.LBB2_4081:                             ;   in Loop: Header=BB2_3151 Depth=2
	s_or_b32 exec_lo, exec_lo, s10
	s_and_saveexec_b32 s10, s29
	s_cbranch_execz .LBB2_4083
.LBB2_4082:                             ;   in Loop: Header=BB2_3151 Depth=2
	v_and_b32_e32 v85, 0xffff, v82
	s_delay_alu instid0(VALU_DEP_1) | instskip(NEXT) | instid1(VALU_DEP_1)
	v_and_b32_e32 v100, 3, v85
	v_clz_i32_u32_e32 v83, v100
	s_delay_alu instid0(VALU_DEP_1) | instskip(SKIP_1) | instid1(VALU_DEP_2)
	v_min_u32_e32 v103, 32, v83
	v_mov_b32_e32 v83, v33
	v_subrev_nc_u32_e32 v113, 29, v103
	v_sub_nc_u32_e32 v103, 30, v103
	s_delay_alu instid0(VALU_DEP_2) | instskip(SKIP_2) | instid1(VALU_DEP_2)
	v_lshlrev_b64_e32 v[40:41], v113, v[82:83]
	v_bfe_u32 v83, v85, 2, 5
	v_lshlrev_b32_e32 v82, 24, v82
	v_cmp_eq_u32_e32 vcc_lo, 0, v83
	s_delay_alu instid0(VALU_DEP_2) | instskip(SKIP_1) | instid1(VALU_DEP_1)
	v_and_b32_e32 v82, 0x80000000, v82
	v_dual_cndmask_b32 v83, v83, v103, vcc_lo :: v_dual_bitop2_b32 v113, 3, v40 bitop3:0x40
	v_cndmask_b32_e32 v103, v100, v113, vcc_lo
	v_cmp_lt_i16_e32 vcc_lo, -1, v10
	s_delay_alu instid0(VALU_DEP_3) | instskip(SKIP_3) | instid1(VALU_DEP_4)
	v_lshl_add_u32 v82, v83, 23, v82
	v_and_b32_e32 v83, 0x7c, v85
	v_cndmask_b32_e32 v10, 0xff800000, v45, vcc_lo
	v_cmp_eq_u32_e32 vcc_lo, 0, v100
	v_lshl_or_b32 v82, v103, 21, v82
	s_delay_alu instid0(VALU_DEP_3) | instskip(NEXT) | instid1(VALU_DEP_2)
	v_cndmask_b32_e32 v10, 0x7f800001, v10, vcc_lo
	v_add_nc_u32_e32 v82, 0x38000000, v82
	v_cmp_eq_u32_e32 vcc_lo, 0x7c, v83
	s_delay_alu instid0(VALU_DEP_2)
	v_cndmask_b32_e32 v83, v82, v10, vcc_lo
.LBB2_4083:                             ;   in Loop: Header=BB2_3151 Depth=2
	s_or_b32 exec_lo, exec_lo, s10
	s_delay_alu instid0(VALU_DEP_1) | instskip(SKIP_2) | instid1(VALU_DEP_2)
	v_dual_add_f32 v82, v11, v83 :: v_dual_mov_b32 v41, v33
	v_mov_b32_e32 v11, v33
                                        ; implicit-def: $vgpr85
	s_mov_b32 s10, exec_lo
	v_and_b32_e32 v40, 0x7f800000, v82
	v_and_b32_e32 v10, 0x7fffff, v82
	v_lshrrev_b32_e32 v83, 24, v82
	s_delay_alu instid0(VALU_DEP_3)
	v_cmpx_ne_u64_e32 0x7f800000, v[40:41]
	s_xor_b32 s29, exec_lo, s10
	s_cbranch_execz .LBB2_4097
; %bb.4084:                             ;   in Loop: Header=BB2_3151 Depth=2
	v_and_b32_e32 v40, 0x7fffffff, v82
	v_mov_b32_e32 v41, v33
	v_and_b32_e32 v100, 0x80, v83
                                        ; implicit-def: $vgpr85
	s_mov_b32 s10, exec_lo
	s_delay_alu instid0(VALU_DEP_2)
	v_cmpx_gt_u64_e32 0x47600001, v[40:41]
	s_xor_b32 s40, exec_lo, s10
	s_cbranch_execz .LBB2_4094
; %bb.4085:                             ;   in Loop: Header=BB2_3151 Depth=2
	v_mov_b32_e32 v85, 0
	s_mov_b32 s41, exec_lo
	v_cmpx_ne_u32_e32 0, v82
	s_cbranch_execz .LBB2_4093
; %bb.4086:                             ;   in Loop: Header=BB2_3151 Depth=2
	v_bfe_u32 v85, v82, 23, 8
	v_or_b32_e32 v113, 0x800000, v10
	s_delay_alu instid0(VALU_DEP_2) | instskip(SKIP_1) | instid1(VALU_DEP_2)
	v_sub_nc_u32_e32 v82, 0x71, v85
	v_cmp_gt_u32_e32 vcc_lo, 0x72, v85
	v_cndmask_b32_e32 v82, 0, v82, vcc_lo
	v_cmp_eq_u32_e32 vcc_lo, 0, v85
	s_delay_alu instid0(VALU_DEP_2) | instskip(NEXT) | instid1(VALU_DEP_1)
	v_cndmask_b32_e64 v103, v82, 0x70, vcc_lo
	v_dual_cndmask_b32 v10, v113, v10, vcc_lo :: v_dual_add_nc_u32 v82, 21, v103
	v_add_nc_u32_e32 v116, 20, v103
	s_delay_alu instid0(VALU_DEP_2) | instskip(NEXT) | instid1(VALU_DEP_2)
	v_lshlrev_b64_e64 v[82:83], v82, -1
	v_lshlrev_b64_e64 v[40:41], v116, 1
	s_delay_alu instid0(VALU_DEP_2) | instskip(SKIP_1) | instid1(VALU_DEP_4)
	v_bfi_b32 v82, v82, 0, v10
	v_lshrrev_b64 v[10:11], v103, v[10:11]
	v_bfi_b32 v83, v83, 0, 0
	s_delay_alu instid0(VALU_DEP_1) | instskip(NEXT) | instid1(VALU_DEP_3)
	v_cmp_eq_u64_e64 s10, v[82:83], v[40:41]
	v_mov_b64_e32 v[82:83], v[10:11]
	s_and_saveexec_b32 s42, s10
; %bb.4087:                             ;   in Loop: Header=BB2_3151 Depth=2
	v_bfe_u32 v82, v10, 21, 1
	v_mov_b32_e32 v83, v33
	s_delay_alu instid0(VALU_DEP_1) | instskip(NEXT) | instid1(VALU_DEP_1)
	v_add_nc_u64_e32 v[82:83], v[10:11], v[82:83]
	v_add_nc_u64_e32 v[82:83], -1, v[82:83]
; %bb.4088:                             ;   in Loop: Header=BB2_3151 Depth=2
	s_or_b32 exec_lo, exec_lo, s42
	v_add_nc_u32_e32 v11, 0xffffff81, v85
	v_lshrrev_b32_e32 v83, 23, v10
	s_mov_b32 s10, exec_lo
	s_delay_alu instid0(VALU_DEP_2) | instskip(NEXT) | instid1(VALU_DEP_1)
	v_cndmask_b32_e64 v11, v11, 0xffffff82, vcc_lo
	v_add3_u32 v83, v103, v11, v83
	v_and_b32_e32 v11, 0x1fffff, v82
                                        ; implicit-def: $vgpr82
	s_delay_alu instid0(VALU_DEP_1) | instskip(SKIP_1) | instid1(VALU_DEP_2)
	v_dual_add_nc_u32 v85, 14, v83 :: v_dual_add_nc_u32 v10, v11, v10
	v_mov_b32_e32 v11, v33
	v_cmpx_ne_u32_e32 0, v85
	s_xor_b32 s10, exec_lo, s10
; %bb.4089:                             ;   in Loop: Header=BB2_3151 Depth=2
	s_delay_alu instid0(VALU_DEP_2) | instskip(SKIP_2) | instid1(VALU_DEP_2)
	v_cmp_lt_u64_e32 vcc_lo, 0xffffff, v[10:11]
	v_add_nc_u32_e32 v82, 15, v83
	v_cndmask_b32_e64 v83, 0, 1, vcc_lo
	v_cndmask_b32_e32 v82, v85, v82, vcc_lo
	s_delay_alu instid0(VALU_DEP_2)
	v_lshrrev_b64 v[10:11], v83, v[10:11]
; %bb.4090:                             ;   in Loop: Header=BB2_3151 Depth=2
	s_and_not1_saveexec_b32 s10, s10
; %bb.4091:                             ;   in Loop: Header=BB2_3151 Depth=2
	s_delay_alu instid0(VALU_DEP_1)
	v_bfe_u32 v82, v10, 23, 1
; %bb.4092:                             ;   in Loop: Header=BB2_3151 Depth=2
	s_or_b32 exec_lo, exec_lo, s10
	s_delay_alu instid0(VALU_DEP_2) | instskip(NEXT) | instid1(VALU_DEP_2)
	v_lshrrev_b64 v[10:11], 21, v[10:11]
	v_cmp_gt_i32_e32 vcc_lo, 32, v82
	v_min_i32_e32 v83, 31, v82
	v_cmp_eq_u32_e64 s10, 0, v82
	s_delay_alu instid0(VALU_DEP_4) | instskip(NEXT) | instid1(VALU_DEP_3)
	v_cndmask_b32_e32 v11, 0, v11, vcc_lo
	v_dual_cndmask_b32 v10, 3, v10 :: v_dual_lshlrev_b32 v83, 2, v83
	s_delay_alu instid0(VALU_DEP_1) | instskip(NEXT) | instid1(VALU_DEP_2)
	v_and_b32_e32 v83, 0xfc, v83
	v_cmp_eq_u64_e32 vcc_lo, 0, v[10:11]
	s_delay_alu instid0(VALU_DEP_2)
	v_and_or_b32 v10, v10, 3, v83
	s_and_b32 s10, s10, vcc_lo
	s_delay_alu instid0(VALU_DEP_1) | instid1(SALU_CYCLE_1)
	v_cndmask_b32_e64 v10, v10, 0, s10
	s_delay_alu instid0(VALU_DEP_1)
	v_or_b32_e32 v85, v10, v100
.LBB2_4093:                             ;   in Loop: Header=BB2_3151 Depth=2
	s_or_b32 exec_lo, exec_lo, s41
                                        ; implicit-def: $vgpr100
.LBB2_4094:                             ;   in Loop: Header=BB2_3151 Depth=2
	s_and_not1_saveexec_b32 s10, s40
; %bb.4095:                             ;   in Loop: Header=BB2_3151 Depth=2
	v_or_b32_e32 v85, 0x7b, v100
; %bb.4096:                             ;   in Loop: Header=BB2_3151 Depth=2
	s_or_b32 exec_lo, exec_lo, s10
                                        ; implicit-def: $vgpr82
                                        ; implicit-def: $vgpr10_vgpr11
                                        ; implicit-def: $vgpr83
.LBB2_4097:                             ;   in Loop: Header=BB2_3151 Depth=2
	s_and_not1_saveexec_b32 s10, s29
	s_cbranch_execz .LBB2_4103
; %bb.4098:                             ;   in Loop: Header=BB2_3151 Depth=2
	s_mov_b32 s29, exec_lo
                                        ; implicit-def: $vgpr85
	v_cmpx_ne_u64_e32 0, v[10:11]
	s_xor_b32 s29, exec_lo, s29
; %bb.4099:                             ;   in Loop: Header=BB2_3151 Depth=2
	v_or_b32_e32 v85, 0x7f, v83
                                        ; implicit-def: $vgpr82
; %bb.4100:                             ;   in Loop: Header=BB2_3151 Depth=2
	s_and_not1_saveexec_b32 s29, s29
; %bb.4101:                             ;   in Loop: Header=BB2_3151 Depth=2
	v_cmp_lt_i32_e32 vcc_lo, -1, v82
	v_cndmask_b32_e32 v85, 0xfc, v46, vcc_lo
; %bb.4102:                             ;   in Loop: Header=BB2_3151 Depth=2
	s_or_b32 exec_lo, exec_lo, s29
.LBB2_4103:                             ;   in Loop: Header=BB2_3151 Depth=2
	s_delay_alu instid0(SALU_CYCLE_1) | instskip(SKIP_2) | instid1(VALU_DEP_1)
	s_or_b32 exec_lo, exec_lo, s10
	v_dual_mov_b32 v11, 0 :: v_dual_lshrrev_b32 v10, 16, v32
	s_mov_b32 s10, exec_lo
	v_and_b32_e32 v82, 0xff, v10
	s_delay_alu instid0(VALU_DEP_1)
	v_cmpx_ne_u16_e32 0, v82
	s_cbranch_execz .LBB2_4113
; %bb.4104:                             ;   in Loop: Header=BB2_3151 Depth=2
	v_bfrev_b32_e32 v11, 1
	s_mov_b32 s29, exec_lo
	v_cmpx_ne_u16_e32 0x80, v82
	s_cbranch_execz .LBB2_4112
; %bb.4105:                             ;   in Loop: Header=BB2_3151 Depth=2
	v_and_b32_e32 v11, 0x7c0000, v32
	v_bfe_u32 v82, v32, 16, 2
	s_delay_alu instid0(VALU_DEP_2) | instskip(SKIP_1) | instid1(SALU_CYCLE_1)
	v_cmp_ne_u32_e32 vcc_lo, 0x7c0000, v11
                                        ; implicit-def: $vgpr11
	s_and_saveexec_b32 s40, vcc_lo
	s_xor_b32 s40, exec_lo, s40
	s_cbranch_execz .LBB2_4109
; %bb.4106:                             ;   in Loop: Header=BB2_3151 Depth=2
	v_bfe_u32 v11, v32, 18, 5
	s_mov_b32 s41, exec_lo
	s_delay_alu instid0(VALU_DEP_1)
	v_cmpx_eq_u32_e32 0, v11
; %bb.4107:                             ;   in Loop: Header=BB2_3151 Depth=2
	v_clz_i32_u32_e32 v11, v82
	s_delay_alu instid0(VALU_DEP_1) | instskip(NEXT) | instid1(VALU_DEP_1)
	v_min_u32_e32 v11, 32, v11
	v_subrev_nc_u32_e32 v82, 29, v11
	s_delay_alu instid0(VALU_DEP_1) | instskip(NEXT) | instid1(VALU_DEP_1)
	v_lshlrev_b64_e32 v[82:83], v82, v[10:11]
	v_dual_sub_nc_u32 v11, 30, v11 :: v_dual_bitop2_b32 v82, 3, v82 bitop3:0x40
; %bb.4108:                             ;   in Loop: Header=BB2_3151 Depth=2
	s_or_b32 exec_lo, exec_lo, s41
	v_lshlrev_b32_e32 v10, 24, v10
	s_delay_alu instid0(VALU_DEP_1) | instskip(NEXT) | instid1(VALU_DEP_1)
	v_and_b32_e32 v10, 0x80000000, v10
	v_lshl_add_u32 v10, v11, 23, v10
	s_delay_alu instid0(VALU_DEP_1) | instskip(NEXT) | instid1(VALU_DEP_1)
	v_lshl_or_b32 v10, v82, 21, v10
                                        ; implicit-def: $vgpr82
	v_add_nc_u32_e32 v11, 0x38000000, v10
                                        ; implicit-def: $vgpr10
.LBB2_4109:                             ;   in Loop: Header=BB2_3151 Depth=2
	s_and_not1_saveexec_b32 s40, s40
; %bb.4110:                             ;   in Loop: Header=BB2_3151 Depth=2
	v_bfe_i32 v10, v10, 0, 8
	s_delay_alu instid0(VALU_DEP_1) | instskip(SKIP_2) | instid1(VALU_DEP_2)
	v_cmp_lt_i16_e32 vcc_lo, -1, v10
	v_cndmask_b32_e32 v10, 0xff800000, v45, vcc_lo
	v_cmp_eq_u32_e32 vcc_lo, 0, v82
	v_cndmask_b32_e32 v11, 0x7f800001, v10, vcc_lo
; %bb.4111:                             ;   in Loop: Header=BB2_3151 Depth=2
	s_or_b32 exec_lo, exec_lo, s40
.LBB2_4112:                             ;   in Loop: Header=BB2_3151 Depth=2
	s_delay_alu instid0(SALU_CYCLE_1)
	s_or_b32 exec_lo, exec_lo, s29
.LBB2_4113:                             ;   in Loop: Header=BB2_3151 Depth=2
	s_delay_alu instid0(SALU_CYCLE_1) | instskip(SKIP_3) | instid1(VALU_DEP_1)
	s_or_b32 exec_lo, exec_lo, s10
	v_lshrrev_b32_e32 v10, 16, v13
	s_mov_b32 s29, 0
	s_mov_b32 s10, exec_lo
	v_and_b32_e32 v83, 0xff, v10
	s_delay_alu instid0(VALU_DEP_1)
	v_cmpx_lt_i16_e32 0x7f, v83
	s_xor_b32 s10, exec_lo, s10
	s_cbranch_execnz .LBB2_4210
; %bb.4114:                             ;   in Loop: Header=BB2_3151 Depth=2
	s_or_saveexec_b32 s10, s10
	v_bfrev_b32_e32 v82, 1
	s_xor_b32 exec_lo, exec_lo, s10
	s_cbranch_execnz .LBB2_4213
.LBB2_4115:                             ;   in Loop: Header=BB2_3151 Depth=2
	s_or_b32 exec_lo, exec_lo, s10
	s_and_saveexec_b32 s10, s29
	s_cbranch_execz .LBB2_4117
.LBB2_4116:                             ;   in Loop: Header=BB2_3151 Depth=2
	v_and_b32_e32 v100, 3, v10
	v_bfe_u32 v113, v13, 18, 5
	s_delay_alu instid0(VALU_DEP_2) | instskip(NEXT) | instid1(VALU_DEP_2)
	v_clz_i32_u32_e32 v82, v100
	v_cmp_eq_u32_e32 vcc_lo, 0, v113
	s_delay_alu instid0(VALU_DEP_2) | instskip(NEXT) | instid1(VALU_DEP_1)
	v_min_u32_e32 v103, 32, v82
	v_subrev_nc_u32_e32 v82, 29, v103
	s_delay_alu instid0(VALU_DEP_1) | instskip(SKIP_2) | instid1(VALU_DEP_2)
	v_lshlrev_b64_e32 v[82:83], v82, v[10:11]
	v_dual_lshlrev_b32 v83, 24, v10 :: v_dual_sub_nc_u32 v103, 30, v103
	v_bfe_i32 v10, v10, 0, 8
	v_and_b32_e32 v83, 0x80000000, v83
	s_delay_alu instid0(VALU_DEP_3) | instskip(NEXT) | instid1(VALU_DEP_1)
	v_dual_cndmask_b32 v103, v113, v103, vcc_lo :: v_dual_bitop2_b32 v82, 3, v82 bitop3:0x40
	v_cndmask_b32_e32 v82, v100, v82, vcc_lo
	s_delay_alu instid0(VALU_DEP_2) | instskip(SKIP_1) | instid1(VALU_DEP_2)
	v_lshl_add_u32 v83, v103, 23, v83
	v_cmp_lt_i16_e32 vcc_lo, -1, v10
	v_lshl_or_b32 v82, v82, 21, v83
	v_cndmask_b32_e32 v10, 0xff800000, v45, vcc_lo
	v_and_b32_e32 v83, 0x7c0000, v13
	v_cmp_eq_u32_e32 vcc_lo, 0, v100
	s_delay_alu instid0(VALU_DEP_4) | instskip(NEXT) | instid1(VALU_DEP_4)
	v_add_nc_u32_e32 v82, 0x38000000, v82
	v_cndmask_b32_e32 v10, 0x7f800001, v10, vcc_lo
	s_delay_alu instid0(VALU_DEP_4) | instskip(NEXT) | instid1(VALU_DEP_2)
	v_cmp_eq_u32_e32 vcc_lo, 0x7c0000, v83
	v_cndmask_b32_e32 v82, v82, v10, vcc_lo
.LBB2_4117:                             ;   in Loop: Header=BB2_3151 Depth=2
	s_or_b32 exec_lo, exec_lo, s10
	s_delay_alu instid0(VALU_DEP_1) | instskip(SKIP_2) | instid1(VALU_DEP_2)
	v_dual_add_f32 v83, v11, v82 :: v_dual_mov_b32 v41, v33
	v_mov_b32_e32 v11, v33
                                        ; implicit-def: $vgpr82
	s_mov_b32 s10, exec_lo
	v_and_b32_e32 v40, 0x7f800000, v83
	v_and_b32_e32 v10, 0x7fffff, v83
	v_lshrrev_b32_e32 v100, 24, v83
	s_delay_alu instid0(VALU_DEP_3)
	v_cmpx_ne_u64_e32 0x7f800000, v[40:41]
	s_xor_b32 s29, exec_lo, s10
	s_cbranch_execz .LBB2_4131
; %bb.4118:                             ;   in Loop: Header=BB2_3151 Depth=2
	v_and_b32_e32 v40, 0x7fffffff, v83
	v_mov_b32_e32 v41, v33
	v_and_b32_e32 v100, 0x80, v100
                                        ; implicit-def: $vgpr82
	s_mov_b32 s10, exec_lo
	s_delay_alu instid0(VALU_DEP_2)
	v_cmpx_gt_u64_e32 0x47600001, v[40:41]
	s_xor_b32 s40, exec_lo, s10
	s_cbranch_execz .LBB2_4128
; %bb.4119:                             ;   in Loop: Header=BB2_3151 Depth=2
	v_mov_b32_e32 v82, 0
	s_mov_b32 s41, exec_lo
	v_cmpx_ne_u32_e32 0, v83
	s_cbranch_execz .LBB2_4127
; %bb.4120:                             ;   in Loop: Header=BB2_3151 Depth=2
	v_bfe_u32 v103, v83, 23, 8
	v_or_b32_e32 v116, 0x800000, v10
	s_delay_alu instid0(VALU_DEP_2) | instskip(SKIP_1) | instid1(VALU_DEP_2)
	v_sub_nc_u32_e32 v82, 0x71, v103
	v_cmp_gt_u32_e32 vcc_lo, 0x72, v103
	v_cndmask_b32_e32 v82, 0, v82, vcc_lo
	v_cmp_eq_u32_e32 vcc_lo, 0, v103
	s_delay_alu instid0(VALU_DEP_2) | instskip(NEXT) | instid1(VALU_DEP_1)
	v_cndmask_b32_e64 v113, v82, 0x70, vcc_lo
	v_dual_cndmask_b32 v10, v116, v10, vcc_lo :: v_dual_add_nc_u32 v82, 21, v113
	v_add_nc_u32_e32 v40, 20, v113
	s_delay_alu instid0(VALU_DEP_2) | instskip(NEXT) | instid1(VALU_DEP_2)
	v_lshlrev_b64_e64 v[82:83], v82, -1
	v_lshlrev_b64_e64 v[40:41], v40, 1
	s_delay_alu instid0(VALU_DEP_2) | instskip(SKIP_1) | instid1(VALU_DEP_4)
	v_bfi_b32 v82, v82, 0, v10
	v_lshrrev_b64 v[10:11], v113, v[10:11]
	v_bfi_b32 v83, v83, 0, 0
	s_delay_alu instid0(VALU_DEP_1) | instskip(NEXT) | instid1(VALU_DEP_3)
	v_cmp_eq_u64_e64 s10, v[82:83], v[40:41]
	v_mov_b64_e32 v[82:83], v[10:11]
	s_and_saveexec_b32 s42, s10
; %bb.4121:                             ;   in Loop: Header=BB2_3151 Depth=2
	v_bfe_u32 v82, v10, 21, 1
	v_mov_b32_e32 v83, v33
	s_delay_alu instid0(VALU_DEP_1) | instskip(NEXT) | instid1(VALU_DEP_1)
	v_add_nc_u64_e32 v[82:83], v[10:11], v[82:83]
	v_add_nc_u64_e32 v[82:83], -1, v[82:83]
; %bb.4122:                             ;   in Loop: Header=BB2_3151 Depth=2
	s_or_b32 exec_lo, exec_lo, s42
	v_add_nc_u32_e32 v11, 0xffffff81, v103
	v_lshrrev_b32_e32 v83, 23, v10
	s_mov_b32 s10, exec_lo
	s_delay_alu instid0(VALU_DEP_2) | instskip(NEXT) | instid1(VALU_DEP_1)
	v_cndmask_b32_e64 v11, v11, 0xffffff82, vcc_lo
	v_add3_u32 v83, v113, v11, v83
	v_and_b32_e32 v11, 0x1fffff, v82
                                        ; implicit-def: $vgpr82
	s_delay_alu instid0(VALU_DEP_1) | instskip(SKIP_1) | instid1(VALU_DEP_2)
	v_dual_add_nc_u32 v103, 14, v83 :: v_dual_add_nc_u32 v10, v11, v10
	v_mov_b32_e32 v11, v33
	v_cmpx_ne_u32_e32 0, v103
	s_xor_b32 s10, exec_lo, s10
; %bb.4123:                             ;   in Loop: Header=BB2_3151 Depth=2
	s_delay_alu instid0(VALU_DEP_2) | instskip(SKIP_2) | instid1(VALU_DEP_2)
	v_cmp_lt_u64_e32 vcc_lo, 0xffffff, v[10:11]
	v_add_nc_u32_e32 v82, 15, v83
	v_cndmask_b32_e64 v83, 0, 1, vcc_lo
	v_cndmask_b32_e32 v82, v103, v82, vcc_lo
	s_delay_alu instid0(VALU_DEP_2)
	v_lshrrev_b64 v[10:11], v83, v[10:11]
; %bb.4124:                             ;   in Loop: Header=BB2_3151 Depth=2
	s_and_not1_saveexec_b32 s10, s10
; %bb.4125:                             ;   in Loop: Header=BB2_3151 Depth=2
	s_delay_alu instid0(VALU_DEP_1)
	v_bfe_u32 v82, v10, 23, 1
; %bb.4126:                             ;   in Loop: Header=BB2_3151 Depth=2
	s_or_b32 exec_lo, exec_lo, s10
	s_delay_alu instid0(VALU_DEP_2) | instskip(NEXT) | instid1(VALU_DEP_2)
	v_lshrrev_b64 v[10:11], 21, v[10:11]
	v_cmp_gt_i32_e32 vcc_lo, 32, v82
	v_min_i32_e32 v83, 31, v82
	v_cmp_eq_u32_e64 s10, 0, v82
	s_delay_alu instid0(VALU_DEP_4) | instskip(NEXT) | instid1(VALU_DEP_3)
	v_cndmask_b32_e32 v11, 0, v11, vcc_lo
	v_dual_cndmask_b32 v10, 3, v10 :: v_dual_lshlrev_b32 v83, 2, v83
	s_delay_alu instid0(VALU_DEP_1) | instskip(NEXT) | instid1(VALU_DEP_2)
	v_and_b32_e32 v83, 0xfc, v83
	v_cmp_eq_u64_e32 vcc_lo, 0, v[10:11]
	s_delay_alu instid0(VALU_DEP_2)
	v_and_or_b32 v10, v10, 3, v83
	s_and_b32 s10, s10, vcc_lo
	s_delay_alu instid0(VALU_DEP_1) | instid1(SALU_CYCLE_1)
	v_cndmask_b32_e64 v10, v10, 0, s10
	s_delay_alu instid0(VALU_DEP_1)
	v_or_b32_e32 v82, v10, v100
.LBB2_4127:                             ;   in Loop: Header=BB2_3151 Depth=2
	s_or_b32 exec_lo, exec_lo, s41
                                        ; implicit-def: $vgpr100
.LBB2_4128:                             ;   in Loop: Header=BB2_3151 Depth=2
	s_and_not1_saveexec_b32 s10, s40
; %bb.4129:                             ;   in Loop: Header=BB2_3151 Depth=2
	v_or_b32_e32 v82, 0x7b, v100
; %bb.4130:                             ;   in Loop: Header=BB2_3151 Depth=2
	s_or_b32 exec_lo, exec_lo, s10
                                        ; implicit-def: $vgpr83
                                        ; implicit-def: $vgpr10_vgpr11
                                        ; implicit-def: $vgpr100
.LBB2_4131:                             ;   in Loop: Header=BB2_3151 Depth=2
	s_and_not1_saveexec_b32 s10, s29
	s_cbranch_execz .LBB2_4137
; %bb.4132:                             ;   in Loop: Header=BB2_3151 Depth=2
	s_mov_b32 s29, exec_lo
                                        ; implicit-def: $vgpr82
	v_cmpx_ne_u64_e32 0, v[10:11]
	s_xor_b32 s29, exec_lo, s29
; %bb.4133:                             ;   in Loop: Header=BB2_3151 Depth=2
	v_or_b32_e32 v82, 0x7f, v100
                                        ; implicit-def: $vgpr83
; %bb.4134:                             ;   in Loop: Header=BB2_3151 Depth=2
	s_and_not1_saveexec_b32 s29, s29
; %bb.4135:                             ;   in Loop: Header=BB2_3151 Depth=2
	v_cmp_lt_i32_e32 vcc_lo, -1, v83
	v_cndmask_b32_e32 v82, 0xfc, v46, vcc_lo
; %bb.4136:                             ;   in Loop: Header=BB2_3151 Depth=2
	s_or_b32 exec_lo, exec_lo, s29
.LBB2_4137:                             ;   in Loop: Header=BB2_3151 Depth=2
	s_delay_alu instid0(SALU_CYCLE_1)
	s_or_b32 exec_lo, exec_lo, s10
	v_mov_b32_e32 v11, 0
	s_mov_b32 s10, exec_lo
	v_cmpx_lt_u32_e32 0xffffff, v32
	s_cbranch_execz .LBB2_4147
; %bb.4138:                             ;   in Loop: Header=BB2_3151 Depth=2
	v_lshrrev_b32_e32 v10, 24, v32
	v_bfrev_b32_e32 v11, 1
	s_mov_b32 s29, exec_lo
	s_delay_alu instid0(VALU_DEP_2)
	v_cmpx_ne_u32_e32 0x80, v10
	s_cbranch_execz .LBB2_4146
; %bb.4139:                             ;   in Loop: Header=BB2_3151 Depth=2
	v_and_b32_e32 v11, 0x7c000000, v32
	v_bfe_u32 v83, v32, 24, 2
	s_delay_alu instid0(VALU_DEP_2) | instskip(SKIP_1) | instid1(SALU_CYCLE_1)
	v_cmp_ne_u32_e32 vcc_lo, 0x7c000000, v11
                                        ; implicit-def: $vgpr11
	s_and_saveexec_b32 s40, vcc_lo
	s_xor_b32 s40, exec_lo, s40
	s_cbranch_execz .LBB2_4143
; %bb.4140:                             ;   in Loop: Header=BB2_3151 Depth=2
	v_bfe_u32 v11, v32, 26, 5
	s_mov_b32 s41, exec_lo
	s_delay_alu instid0(VALU_DEP_1)
	v_cmpx_eq_u32_e32 0, v11
; %bb.4141:                             ;   in Loop: Header=BB2_3151 Depth=2
	v_clz_i32_u32_e32 v11, v83
	s_delay_alu instid0(VALU_DEP_1) | instskip(NEXT) | instid1(VALU_DEP_1)
	v_min_u32_e32 v83, 32, v11
	v_subrev_nc_u32_e32 v11, 29, v83
	s_delay_alu instid0(VALU_DEP_1) | instskip(NEXT) | instid1(VALU_DEP_1)
	v_lshlrev_b64_e32 v[10:11], v11, v[10:11]
	v_dual_sub_nc_u32 v11, 30, v83 :: v_dual_bitop2_b32 v83, 3, v10 bitop3:0x40
; %bb.4142:                             ;   in Loop: Header=BB2_3151 Depth=2
	s_or_b32 exec_lo, exec_lo, s41
	v_and_b32_e32 v10, 0x80000000, v32
	s_delay_alu instid0(VALU_DEP_1) | instskip(NEXT) | instid1(VALU_DEP_1)
	v_lshl_add_u32 v10, v11, 23, v10
	v_lshl_or_b32 v10, v83, 21, v10
                                        ; implicit-def: $vgpr83
	s_delay_alu instid0(VALU_DEP_1)
	v_add_nc_u32_e32 v11, 0x38000000, v10
.LBB2_4143:                             ;   in Loop: Header=BB2_3151 Depth=2
	s_and_not1_saveexec_b32 s40, s40
; %bb.4144:                             ;   in Loop: Header=BB2_3151 Depth=2
	v_cmp_lt_i32_e32 vcc_lo, -1, v32
	v_cndmask_b32_e32 v10, 0xff800000, v45, vcc_lo
	v_cmp_eq_u32_e32 vcc_lo, 0, v83
	s_delay_alu instid0(VALU_DEP_2)
	v_cndmask_b32_e32 v11, 0x7f800001, v10, vcc_lo
; %bb.4145:                             ;   in Loop: Header=BB2_3151 Depth=2
	s_or_b32 exec_lo, exec_lo, s40
.LBB2_4146:                             ;   in Loop: Header=BB2_3151 Depth=2
	s_delay_alu instid0(SALU_CYCLE_1)
	s_or_b32 exec_lo, exec_lo, s29
.LBB2_4147:                             ;   in Loop: Header=BB2_3151 Depth=2
	s_delay_alu instid0(SALU_CYCLE_1) | instskip(SKIP_2) | instid1(VALU_DEP_2)
	s_or_b32 exec_lo, exec_lo, s10
	v_bfe_u32 v32, v13, 24, 2
	v_bfe_u32 v103, v13, 26, 5
	v_clz_i32_u32_e32 v10, v32
	s_delay_alu instid0(VALU_DEP_2) | instskip(NEXT) | instid1(VALU_DEP_2)
	v_cmp_eq_u32_e32 vcc_lo, 0, v103
	v_min_u32_e32 v83, 32, v10
	v_lshrrev_b32_e32 v10, 24, v13
	s_delay_alu instid0(VALU_DEP_2) | instskip(SKIP_1) | instid1(VALU_DEP_2)
	v_subrev_nc_u32_e32 v100, 29, v83
	v_sub_nc_u32_e32 v83, 30, v83
	v_lshlrev_b64_e32 v[40:41], v100, v[10:11]
	v_and_b32_e32 v100, 0x80000000, v13
	s_delay_alu instid0(VALU_DEP_2) | instskip(NEXT) | instid1(VALU_DEP_1)
	v_dual_cndmask_b32 v83, v103, v83, vcc_lo :: v_dual_bitop2_b32 v103, 3, v40 bitop3:0x40
	v_lshl_add_u32 v83, v83, 23, v100
	s_delay_alu instid0(VALU_DEP_2) | instskip(SKIP_1) | instid1(VALU_DEP_2)
	v_cndmask_b32_e32 v100, v32, v103, vcc_lo
	v_cmp_lt_i64_e32 vcc_lo, -1, v[12:13]
	v_lshl_or_b32 v83, v100, 21, v83
	v_and_b32_e32 v100, 0x7c000000, v13
	v_cndmask_b32_e32 v103, 0xff800000, v45, vcc_lo
	v_cmp_eq_u32_e32 vcc_lo, 0, v32
	s_delay_alu instid0(VALU_DEP_4) | instskip(NEXT) | instid1(VALU_DEP_3)
	v_add_nc_u32_e32 v83, 0x38000000, v83
	v_cndmask_b32_e32 v32, 0x7f800001, v103, vcc_lo
	v_cmp_eq_u32_e32 vcc_lo, 0x7c000000, v100
	s_delay_alu instid0(VALU_DEP_2) | instskip(SKIP_1) | instid1(VALU_DEP_2)
	v_cndmask_b32_e32 v32, v83, v32, vcc_lo
	v_cmp_ne_u32_e32 vcc_lo, 0x80, v10
	v_cndmask_b32_e32 v10, 0x80000000, v32, vcc_lo
	v_cmp_lt_u64_e32 vcc_lo, s[12:13], v[12:13]
	s_delay_alu instid0(VALU_DEP_2) | instskip(NEXT) | instid1(VALU_DEP_1)
	v_dual_mov_b32 v13, v33 :: v_dual_cndmask_b32 v10, 0, v10
	v_add_f32_e32 v11, v10, v11
                                        ; implicit-def: $vgpr10
	s_delay_alu instid0(VALU_DEP_1) | instskip(SKIP_1) | instid1(VALU_DEP_2)
	v_and_b32_e32 v12, 0x7f800000, v11
	v_and_b32_e32 v32, 0x7fffff, v11
	v_cmp_ne_u64_e32 vcc_lo, 0x7f800000, v[12:13]
	v_lshrrev_b32_e32 v12, 24, v11
	s_and_saveexec_b32 s10, vcc_lo
	s_delay_alu instid0(SALU_CYCLE_1)
	s_xor_b32 s29, exec_lo, s10
	s_cbranch_execz .LBB2_4161
; %bb.4148:                             ;   in Loop: Header=BB2_3151 Depth=2
	v_and_b32_e32 v40, 0x7fffffff, v11
	v_mov_b32_e32 v41, v33
	v_and_b32_e32 v83, 0x80, v12
                                        ; implicit-def: $vgpr10
	s_mov_b32 s10, exec_lo
	s_delay_alu instid0(VALU_DEP_2)
	v_cmpx_gt_u64_e32 0x47600001, v[40:41]
	s_xor_b32 s40, exec_lo, s10
	s_cbranch_execz .LBB2_4158
; %bb.4149:                             ;   in Loop: Header=BB2_3151 Depth=2
	v_mov_b32_e32 v10, 0
	s_mov_b32 s41, exec_lo
	v_cmpx_ne_u32_e32 0, v11
	s_cbranch_execz .LBB2_4157
; %bb.4150:                             ;   in Loop: Header=BB2_3151 Depth=2
	v_bfe_u32 v100, v11, 23, 8
	v_or_b32_e32 v12, 0x800000, v32
	s_delay_alu instid0(VALU_DEP_2) | instskip(SKIP_1) | instid1(VALU_DEP_2)
	v_sub_nc_u32_e32 v10, 0x71, v100
	v_cmp_gt_u32_e32 vcc_lo, 0x72, v100
	v_cndmask_b32_e32 v10, 0, v10, vcc_lo
	v_cmp_eq_u32_e32 vcc_lo, 0, v100
	s_delay_alu instid0(VALU_DEP_2) | instskip(NEXT) | instid1(VALU_DEP_1)
	v_cndmask_b32_e64 v103, v10, 0x70, vcc_lo
	v_dual_cndmask_b32 v32, v12, v32, vcc_lo :: v_dual_add_nc_u32 v10, 21, v103
	v_add_nc_u32_e32 v13, 20, v103
	s_delay_alu instid0(VALU_DEP_2) | instskip(NEXT) | instid1(VALU_DEP_2)
	v_lshlrev_b64_e64 v[10:11], v10, -1
	v_lshlrev_b64_e64 v[12:13], v13, 1
	s_delay_alu instid0(VALU_DEP_2) | instskip(NEXT) | instid1(VALU_DEP_3)
	v_bfi_b32 v41, v11, 0, 0
	v_bfi_b32 v40, v10, 0, v32
	v_lshrrev_b64 v[10:11], v103, v[32:33]
	s_delay_alu instid0(VALU_DEP_2) | instskip(NEXT) | instid1(VALU_DEP_2)
	v_cmp_eq_u64_e64 s10, v[40:41], v[12:13]
	v_mov_b64_e32 v[12:13], v[10:11]
	s_and_saveexec_b32 s42, s10
; %bb.4151:                             ;   in Loop: Header=BB2_3151 Depth=2
	v_bfe_u32 v32, v10, 21, 1
	s_delay_alu instid0(VALU_DEP_1) | instskip(NEXT) | instid1(VALU_DEP_1)
	v_add_nc_u64_e32 v[12:13], v[10:11], v[32:33]
	v_add_nc_u64_e32 v[12:13], -1, v[12:13]
; %bb.4152:                             ;   in Loop: Header=BB2_3151 Depth=2
	s_or_b32 exec_lo, exec_lo, s42
	v_add_nc_u32_e32 v11, 0xffffff81, v100
	v_lshrrev_b32_e32 v13, 23, v10
	s_mov_b32 s10, exec_lo
	s_delay_alu instid0(VALU_DEP_2) | instskip(NEXT) | instid1(VALU_DEP_1)
	v_cndmask_b32_e64 v11, v11, 0xffffff82, vcc_lo
	v_add3_u32 v13, v103, v11, v13
	v_and_b32_e32 v11, 0x1fffff, v12
                                        ; implicit-def: $vgpr12
	s_delay_alu instid0(VALU_DEP_1) | instskip(NEXT) | instid1(VALU_DEP_1)
	v_dual_add_nc_u32 v100, 14, v13 :: v_dual_add_nc_u32 v32, v11, v10
                                        ; implicit-def: $vgpr10_vgpr11
	v_cmpx_ne_u32_e32 0, v100
	s_xor_b32 s10, exec_lo, s10
; %bb.4153:                             ;   in Loop: Header=BB2_3151 Depth=2
	s_delay_alu instid0(VALU_DEP_2) | instskip(SKIP_1) | instid1(VALU_DEP_1)
	v_cmp_lt_u64_e32 vcc_lo, 0xffffff, v[32:33]
	v_add_nc_u32_e32 v10, 15, v13
	v_cndmask_b32_e32 v12, v100, v10, vcc_lo
	v_cndmask_b32_e64 v10, 0, 1, vcc_lo
	s_delay_alu instid0(VALU_DEP_1)
	v_lshrrev_b64 v[10:11], v10, v[32:33]
; %bb.4154:                             ;   in Loop: Header=BB2_3151 Depth=2
	s_and_not1_saveexec_b32 s10, s10
; %bb.4155:                             ;   in Loop: Header=BB2_3151 Depth=2
	v_mov_b64_e32 v[10:11], v[32:33]
	v_bfe_u32 v12, v32, 23, 1
; %bb.4156:                             ;   in Loop: Header=BB2_3151 Depth=2
	s_or_b32 exec_lo, exec_lo, s10
	s_delay_alu instid0(VALU_DEP_2) | instskip(NEXT) | instid1(VALU_DEP_2)
	v_lshrrev_b64 v[10:11], 21, v[10:11]
	v_cmp_gt_i32_e32 vcc_lo, 32, v12
	v_min_i32_e32 v13, 31, v12
	v_cmp_eq_u32_e64 s10, 0, v12
	s_delay_alu instid0(VALU_DEP_2) | instskip(SKIP_1) | instid1(VALU_DEP_2)
	v_dual_cndmask_b32 v11, 0, v11, vcc_lo :: v_dual_lshlrev_b32 v13, 2, v13
	v_cndmask_b32_e32 v10, 3, v10, vcc_lo
	v_and_b32_e32 v13, 0xfc, v13
	s_delay_alu instid0(VALU_DEP_2) | instskip(NEXT) | instid1(VALU_DEP_2)
	v_cmp_eq_u64_e32 vcc_lo, 0, v[10:11]
	v_and_or_b32 v10, v10, 3, v13
	s_and_b32 s10, s10, vcc_lo
	s_delay_alu instid0(VALU_DEP_1) | instid1(SALU_CYCLE_1)
	v_cndmask_b32_e64 v10, v10, 0, s10
	s_delay_alu instid0(VALU_DEP_1)
	v_or_b32_e32 v10, v10, v83
.LBB2_4157:                             ;   in Loop: Header=BB2_3151 Depth=2
	s_or_b32 exec_lo, exec_lo, s41
                                        ; implicit-def: $vgpr83
.LBB2_4158:                             ;   in Loop: Header=BB2_3151 Depth=2
	s_and_not1_saveexec_b32 s10, s40
; %bb.4159:                             ;   in Loop: Header=BB2_3151 Depth=2
	v_or_b32_e32 v10, 0x7b, v83
; %bb.4160:                             ;   in Loop: Header=BB2_3151 Depth=2
	s_or_b32 exec_lo, exec_lo, s10
                                        ; implicit-def: $vgpr11
                                        ; implicit-def: $vgpr12
.LBB2_4161:                             ;   in Loop: Header=BB2_3151 Depth=2
	s_and_not1_saveexec_b32 s10, s29
	s_cbranch_execz .LBB2_3150
; %bb.4162:                             ;   in Loop: Header=BB2_3151 Depth=2
	s_mov_b32 s29, exec_lo
                                        ; implicit-def: $vgpr10
	v_cmpx_ne_u64_e32 0, v[32:33]
	s_xor_b32 s29, exec_lo, s29
; %bb.4163:                             ;   in Loop: Header=BB2_3151 Depth=2
	v_or_b32_e32 v10, 0x7f, v12
                                        ; implicit-def: $vgpr11
; %bb.4164:                             ;   in Loop: Header=BB2_3151 Depth=2
	s_and_not1_saveexec_b32 s29, s29
	s_cbranch_execz .LBB2_3149
; %bb.4165:                             ;   in Loop: Header=BB2_3151 Depth=2
	v_cmp_lt_i32_e32 vcc_lo, -1, v11
	v_cndmask_b32_e32 v10, 0xfc, v46, vcc_lo
	s_branch .LBB2_3149
.LBB2_4166:                             ;   in Loop: Header=BB2_3151 Depth=2
	s_mov_b32 s29, -1
	s_mov_b32 s40, exec_lo
	v_cmpx_eq_u16_e32 0x80, v84
; %bb.4167:                             ;   in Loop: Header=BB2_3151 Depth=2
	s_xor_b32 s29, exec_lo, -1
; %bb.4168:                             ;   in Loop: Header=BB2_3151 Depth=2
	s_or_b32 exec_lo, exec_lo, s40
	s_delay_alu instid0(SALU_CYCLE_1)
	s_and_b32 s29, s29, exec_lo
                                        ; implicit-def: $vgpr84
	s_or_saveexec_b32 s10, s10
	v_bfrev_b32_e32 v83, 1
	s_xor_b32 exec_lo, exec_lo, s10
	s_cbranch_execz .LBB2_3651
.LBB2_4169:                             ;   in Loop: Header=BB2_3151 Depth=2
	v_cmp_ne_u16_e32 vcc_lo, 0, v84
	v_mov_b32_e32 v83, 0
	s_and_not1_b32 s29, s29, exec_lo
	s_and_b32 s40, vcc_lo, exec_lo
	s_delay_alu instid0(SALU_CYCLE_1)
	s_or_b32 s29, s29, s40
	s_or_b32 exec_lo, exec_lo, s10
	s_and_saveexec_b32 s10, s29
	s_cbranch_execnz .LBB2_3652
	s_branch .LBB2_3653
.LBB2_4170:                             ;   in Loop: Header=BB2_3151 Depth=2
	s_mov_b32 s29, -1
	s_mov_b32 s40, exec_lo
	v_cmpx_eq_u16_e32 0x80, v82
; %bb.4171:                             ;   in Loop: Header=BB2_3151 Depth=2
	s_xor_b32 s29, exec_lo, -1
; %bb.4172:                             ;   in Loop: Header=BB2_3151 Depth=2
	s_or_b32 exec_lo, exec_lo, s40
	s_delay_alu instid0(SALU_CYCLE_1)
	s_and_b32 s29, s29, exec_lo
	s_or_saveexec_b32 s10, s10
	v_bfrev_b32_e32 v30, 1
	s_xor_b32 exec_lo, exec_lo, s10
	s_cbranch_execz .LBB2_3685
.LBB2_4173:                             ;   in Loop: Header=BB2_3151 Depth=2
	v_cmp_ne_u16_e32 vcc_lo, 0, v82
	v_mov_b32_e32 v30, 0
	s_and_not1_b32 s29, s29, exec_lo
	s_and_b32 s40, vcc_lo, exec_lo
	s_delay_alu instid0(SALU_CYCLE_1)
	s_or_b32 s29, s29, s40
	s_or_b32 exec_lo, exec_lo, s10
	s_and_saveexec_b32 s10, s29
	s_cbranch_execnz .LBB2_3686
	s_branch .LBB2_3687
.LBB2_4174:                             ;   in Loop: Header=BB2_3151 Depth=2
	s_mov_b32 s29, -1
	s_mov_b32 s40, exec_lo
	v_cmpx_eq_u16_e32 0x80, v84
; %bb.4175:                             ;   in Loop: Header=BB2_3151 Depth=2
	s_xor_b32 s29, exec_lo, -1
; %bb.4176:                             ;   in Loop: Header=BB2_3151 Depth=2
	s_or_b32 exec_lo, exec_lo, s40
	s_delay_alu instid0(SALU_CYCLE_1)
	s_and_b32 s29, s29, exec_lo
                                        ; implicit-def: $vgpr84
	s_or_saveexec_b32 s10, s10
	v_bfrev_b32_e32 v83, 1
	s_xor_b32 exec_lo, exec_lo, s10
	s_cbranch_execz .LBB2_3719
.LBB2_4177:                             ;   in Loop: Header=BB2_3151 Depth=2
	v_cmp_ne_u16_e32 vcc_lo, 0, v84
	v_mov_b32_e32 v83, 0
	s_and_not1_b32 s29, s29, exec_lo
	s_and_b32 s40, vcc_lo, exec_lo
	s_delay_alu instid0(SALU_CYCLE_1)
	s_or_b32 s29, s29, s40
	s_or_b32 exec_lo, exec_lo, s10
	s_and_saveexec_b32 s10, s29
	s_cbranch_execnz .LBB2_3720
	s_branch .LBB2_3721
.LBB2_4178:                             ;   in Loop: Header=BB2_3151 Depth=2
	s_mov_b32 s29, -1
	s_mov_b32 s40, exec_lo
	v_cmpx_eq_u16_e32 0x80, v83
; %bb.4179:                             ;   in Loop: Header=BB2_3151 Depth=2
	s_xor_b32 s29, exec_lo, -1
; %bb.4180:                             ;   in Loop: Header=BB2_3151 Depth=2
	s_or_b32 exec_lo, exec_lo, s40
	s_delay_alu instid0(SALU_CYCLE_1)
	s_and_b32 s29, s29, exec_lo
                                        ; implicit-def: $vgpr83
	s_or_saveexec_b32 s10, s10
	v_bfrev_b32_e32 v85, 1
	s_xor_b32 exec_lo, exec_lo, s10
	s_cbranch_execz .LBB2_3783
.LBB2_4181:                             ;   in Loop: Header=BB2_3151 Depth=2
	v_cmp_ne_u16_e32 vcc_lo, 0, v83
	v_mov_b32_e32 v85, 0
	s_and_not1_b32 s29, s29, exec_lo
	s_and_b32 s40, vcc_lo, exec_lo
	s_delay_alu instid0(SALU_CYCLE_1)
	s_or_b32 s29, s29, s40
	s_or_b32 exec_lo, exec_lo, s10
	v_mov_b32_e32 v83, v33
	s_and_saveexec_b32 s10, s29
	s_cbranch_execnz .LBB2_3784
	s_branch .LBB2_3785
.LBB2_4182:                             ;   in Loop: Header=BB2_3151 Depth=2
	s_mov_b32 s29, -1
	s_mov_b32 s40, exec_lo
	v_cmpx_eq_u16_e32 0x80, v84
; %bb.4183:                             ;   in Loop: Header=BB2_3151 Depth=2
	s_xor_b32 s29, exec_lo, -1
; %bb.4184:                             ;   in Loop: Header=BB2_3151 Depth=2
	s_or_b32 exec_lo, exec_lo, s40
	s_delay_alu instid0(SALU_CYCLE_1)
	s_and_b32 s29, s29, exec_lo
	s_or_saveexec_b32 s10, s10
	v_bfrev_b32_e32 v30, 1
	s_xor_b32 exec_lo, exec_lo, s10
	s_cbranch_execz .LBB2_3817
.LBB2_4185:                             ;   in Loop: Header=BB2_3151 Depth=2
	v_cmp_ne_u16_e32 vcc_lo, 0, v84
	v_mov_b32_e32 v30, 0
	s_and_not1_b32 s29, s29, exec_lo
	s_and_b32 s40, vcc_lo, exec_lo
	s_delay_alu instid0(SALU_CYCLE_1)
	s_or_b32 s29, s29, s40
	s_or_b32 exec_lo, exec_lo, s10
	s_and_saveexec_b32 s10, s29
	s_cbranch_execnz .LBB2_3818
	s_branch .LBB2_3819
.LBB2_4186:                             ;   in Loop: Header=BB2_3151 Depth=2
	s_mov_b32 s29, -1
	s_mov_b32 s40, exec_lo
	v_cmpx_eq_u16_e32 0x80, v84
; %bb.4187:                             ;   in Loop: Header=BB2_3151 Depth=2
	s_xor_b32 s29, exec_lo, -1
; %bb.4188:                             ;   in Loop: Header=BB2_3151 Depth=2
	s_or_b32 exec_lo, exec_lo, s40
	s_delay_alu instid0(SALU_CYCLE_1)
	s_and_b32 s29, s29, exec_lo
                                        ; implicit-def: $vgpr84
	s_or_saveexec_b32 s10, s10
	v_bfrev_b32_e32 v83, 1
	s_xor_b32 exec_lo, exec_lo, s10
	s_cbranch_execz .LBB2_3851
.LBB2_4189:                             ;   in Loop: Header=BB2_3151 Depth=2
	v_cmp_ne_u16_e32 vcc_lo, 0, v84
	v_mov_b32_e32 v83, 0
	s_and_not1_b32 s29, s29, exec_lo
	s_and_b32 s40, vcc_lo, exec_lo
	s_delay_alu instid0(SALU_CYCLE_1)
	s_or_b32 s29, s29, s40
	s_or_b32 exec_lo, exec_lo, s10
	s_and_saveexec_b32 s10, s29
	s_cbranch_execnz .LBB2_3852
	s_branch .LBB2_3853
.LBB2_4190:                             ;   in Loop: Header=BB2_3151 Depth=2
	s_mov_b32 s29, -1
	s_mov_b32 s40, exec_lo
	v_cmpx_eq_u16_e32 0x80, v82
; %bb.4191:                             ;   in Loop: Header=BB2_3151 Depth=2
	s_xor_b32 s29, exec_lo, -1
; %bb.4192:                             ;   in Loop: Header=BB2_3151 Depth=2
	s_or_b32 exec_lo, exec_lo, s40
	s_delay_alu instid0(SALU_CYCLE_1)
	s_and_b32 s29, s29, exec_lo
                                        ; implicit-def: $vgpr82
	s_or_saveexec_b32 s10, s10
	v_bfrev_b32_e32 v11, 1
	s_xor_b32 exec_lo, exec_lo, s10
	s_cbranch_execz .LBB2_3915
.LBB2_4193:                             ;   in Loop: Header=BB2_3151 Depth=2
	v_cmp_ne_u16_e32 vcc_lo, 0, v82
	v_mov_b32_e32 v11, 0
	s_and_not1_b32 s29, s29, exec_lo
	s_and_b32 s40, vcc_lo, exec_lo
	s_delay_alu instid0(SALU_CYCLE_1)
	s_or_b32 s29, s29, s40
	s_or_b32 exec_lo, exec_lo, s10
	s_and_saveexec_b32 s10, s29
	s_cbranch_execnz .LBB2_3916
	s_branch .LBB2_3917
.LBB2_4194:                             ;   in Loop: Header=BB2_3151 Depth=2
	s_mov_b32 s29, -1
	s_mov_b32 s40, exec_lo
	v_cmpx_eq_u16_e32 0x80, v10
; %bb.4195:                             ;   in Loop: Header=BB2_3151 Depth=2
	s_xor_b32 s29, exec_lo, -1
; %bb.4196:                             ;   in Loop: Header=BB2_3151 Depth=2
	s_or_b32 exec_lo, exec_lo, s40
	s_delay_alu instid0(SALU_CYCLE_1)
	s_and_b32 s29, s29, exec_lo
	s_or_saveexec_b32 s10, s10
	v_bfrev_b32_e32 v11, 1
	s_xor_b32 exec_lo, exec_lo, s10
	s_cbranch_execz .LBB2_3949
.LBB2_4197:                             ;   in Loop: Header=BB2_3151 Depth=2
	v_cmp_ne_u16_e32 vcc_lo, 0, v10
	v_mov_b32_e32 v11, 0
	s_and_not1_b32 s29, s29, exec_lo
	s_and_b32 s40, vcc_lo, exec_lo
	s_delay_alu instid0(SALU_CYCLE_1)
	s_or_b32 s29, s29, s40
	s_or_b32 exec_lo, exec_lo, s10
	s_and_saveexec_b32 s10, s29
	s_cbranch_execnz .LBB2_3950
	s_branch .LBB2_3951
.LBB2_4198:                             ;   in Loop: Header=BB2_3151 Depth=2
	s_mov_b32 s29, -1
	s_mov_b32 s40, exec_lo
	v_cmpx_eq_u16_e32 0x80, v83
; %bb.4199:                             ;   in Loop: Header=BB2_3151 Depth=2
	s_xor_b32 s29, exec_lo, -1
; %bb.4200:                             ;   in Loop: Header=BB2_3151 Depth=2
	s_or_b32 exec_lo, exec_lo, s40
	s_delay_alu instid0(SALU_CYCLE_1)
	s_and_b32 s29, s29, exec_lo
                                        ; implicit-def: $vgpr83
	s_or_saveexec_b32 s10, s10
	v_bfrev_b32_e32 v82, 1
	s_xor_b32 exec_lo, exec_lo, s10
	s_cbranch_execz .LBB2_3983
.LBB2_4201:                             ;   in Loop: Header=BB2_3151 Depth=2
	v_cmp_ne_u16_e32 vcc_lo, 0, v83
	v_mov_b32_e32 v82, 0
	s_and_not1_b32 s29, s29, exec_lo
	s_and_b32 s40, vcc_lo, exec_lo
	s_delay_alu instid0(SALU_CYCLE_1)
	s_or_b32 s29, s29, s40
	s_or_b32 exec_lo, exec_lo, s10
	s_and_saveexec_b32 s10, s29
	s_cbranch_execnz .LBB2_3984
	s_branch .LBB2_3985
.LBB2_4202:                             ;   in Loop: Header=BB2_3151 Depth=2
	s_mov_b32 s29, -1
	s_mov_b32 s40, exec_lo
	v_cmpx_eq_u16_e32 0x80, v11
; %bb.4203:                             ;   in Loop: Header=BB2_3151 Depth=2
	s_xor_b32 s29, exec_lo, -1
; %bb.4204:                             ;   in Loop: Header=BB2_3151 Depth=2
	s_or_b32 exec_lo, exec_lo, s40
	s_delay_alu instid0(SALU_CYCLE_1)
	s_and_b32 s29, s29, exec_lo
                                        ; implicit-def: $vgpr11
	s_or_saveexec_b32 s10, s10
	v_bfrev_b32_e32 v83, 1
	s_xor_b32 exec_lo, exec_lo, s10
	s_cbranch_execz .LBB2_4047
.LBB2_4205:                             ;   in Loop: Header=BB2_3151 Depth=2
	v_cmp_ne_u16_e32 vcc_lo, 0, v11
	v_mov_b32_e32 v83, 0
	s_and_not1_b32 s29, s29, exec_lo
	s_and_b32 s40, vcc_lo, exec_lo
	s_delay_alu instid0(SALU_CYCLE_1)
	s_or_b32 s29, s29, s40
	s_or_b32 exec_lo, exec_lo, s10
	v_mov_b32_e32 v11, v33
	s_and_saveexec_b32 s10, s29
	s_cbranch_execnz .LBB2_4048
	s_branch .LBB2_4049
.LBB2_4206:                             ;   in Loop: Header=BB2_3151 Depth=2
	s_mov_b32 s29, -1
	s_mov_b32 s40, exec_lo
	v_cmpx_eq_u16_e32 0x80, v82
; %bb.4207:                             ;   in Loop: Header=BB2_3151 Depth=2
	s_xor_b32 s29, exec_lo, -1
; %bb.4208:                             ;   in Loop: Header=BB2_3151 Depth=2
	s_or_b32 exec_lo, exec_lo, s40
	s_delay_alu instid0(SALU_CYCLE_1)
	s_and_b32 s29, s29, exec_lo
	s_or_saveexec_b32 s10, s10
	v_bfrev_b32_e32 v83, 1
	s_xor_b32 exec_lo, exec_lo, s10
	s_cbranch_execz .LBB2_4081
.LBB2_4209:                             ;   in Loop: Header=BB2_3151 Depth=2
	v_cmp_ne_u16_e32 vcc_lo, 0, v82
	v_mov_b32_e32 v83, 0
	s_and_not1_b32 s29, s29, exec_lo
	s_and_b32 s40, vcc_lo, exec_lo
	s_delay_alu instid0(SALU_CYCLE_1)
	s_or_b32 s29, s29, s40
	s_or_b32 exec_lo, exec_lo, s10
	s_and_saveexec_b32 s10, s29
	s_cbranch_execnz .LBB2_4082
	s_branch .LBB2_4083
.LBB2_4210:                             ;   in Loop: Header=BB2_3151 Depth=2
	s_mov_b32 s29, -1
	s_mov_b32 s40, exec_lo
	v_cmpx_eq_u16_e32 0x80, v83
; %bb.4211:                             ;   in Loop: Header=BB2_3151 Depth=2
	s_xor_b32 s29, exec_lo, -1
; %bb.4212:                             ;   in Loop: Header=BB2_3151 Depth=2
	s_or_b32 exec_lo, exec_lo, s40
	s_delay_alu instid0(SALU_CYCLE_1)
	s_and_b32 s29, s29, exec_lo
                                        ; implicit-def: $vgpr83
	s_or_saveexec_b32 s10, s10
	v_bfrev_b32_e32 v82, 1
	s_xor_b32 exec_lo, exec_lo, s10
	s_cbranch_execz .LBB2_4115
.LBB2_4213:                             ;   in Loop: Header=BB2_3151 Depth=2
	v_cmp_ne_u16_e32 vcc_lo, 0, v83
	v_mov_b32_e32 v82, 0
	s_and_not1_b32 s29, s29, exec_lo
	s_and_b32 s40, vcc_lo, exec_lo
	s_delay_alu instid0(SALU_CYCLE_1)
	s_or_b32 s29, s29, s40
	s_or_b32 exec_lo, exec_lo, s10
	s_and_saveexec_b32 s10, s29
	s_cbranch_execnz .LBB2_4116
	s_branch .LBB2_4117
.LBB2_4214:                             ;   in Loop: Header=BB2_3075 Depth=1
	s_or_b32 exec_lo, exec_lo, s26
.LBB2_4215:                             ;   in Loop: Header=BB2_3075 Depth=1
	s_delay_alu instid0(SALU_CYCLE_1) | instskip(SKIP_3) | instid1(VALU_DEP_1)
	s_or_b32 exec_lo, exec_lo, s11
	v_dual_mov_b32 v58, 0 :: v_dual_bitop2_b32 v10, 15, v47 bitop3:0x40
	s_mov_b32 s11, 0
	s_mov_b32 s10, exec_lo
                                        ; implicit-def: $vgpr30
	v_cndmask_b32_e64 v59, v97, v10, s7
	s_delay_alu instid0(VALU_DEP_1)
	v_cmpx_ne_u32_e32 0, v59
	s_cbranch_execz .LBB2_5285
; %bb.4216:                             ;   in Loop: Header=BB2_3075 Depth=1
	v_cmp_lt_i32_e32 vcc_lo, 0, v96
	s_mov_b32 s11, exec_lo
	v_cndmask_b32_e32 v10, 0, v34, vcc_lo
	s_delay_alu instid0(VALU_DEP_1) | instskip(NEXT) | instid1(VALU_DEP_1)
	v_sub_nc_u32_e32 v10, v10, v96
	v_lshl_or_b32 v10, v10, 5, v42
	s_delay_alu instid0(VALU_DEP_1) | instskip(NEXT) | instid1(VALU_DEP_1)
	v_ashrrev_i32_e32 v11, 31, v10
	v_lshrrev_b32_e32 v11, 27, v11
	s_delay_alu instid0(VALU_DEP_1) | instskip(NEXT) | instid1(VALU_DEP_1)
	v_add_nc_u32_e32 v11, v10, v11
	v_and_b32_e32 v12, 0xffffffe0, v11
	s_delay_alu instid0(VALU_DEP_1) | instskip(SKIP_1) | instid1(VALU_DEP_2)
	v_sub_nc_u32_e32 v96, v10, v12
	v_and_b32_e32 v12, 0x1f0, v47
	v_dual_lshlrev_b32 v10, 4, v96 :: v_dual_ashrrev_i32 v11, 5, v11
	s_delay_alu instid0(VALU_DEP_1) | instskip(NEXT) | instid1(VALU_DEP_3)
	v_lshl_add_u32 v10, v11, 9, v10
	v_dual_cndmask_b32 v12, 0, v12, s7 :: v_dual_sub_nc_u32 v97, 0, v11
	s_delay_alu instid0(VALU_DEP_2) | instskip(NEXT) | instid1(VALU_DEP_2)
	v_sub_nc_u32_e32 v98, v59, v10
	v_and_or_b32 v58, 0x3ffffe00, v47, v12
	s_delay_alu instid0(VALU_DEP_2)
	v_cmpx_lt_i32_e32 15, v98
	s_cbranch_execz .LBB2_5284
; %bb.4217:                             ;   in Loop: Header=BB2_3075 Depth=1
	s_trap 2
	ds_load_b64 v[12:13], v0
	v_add_nc_u32_e32 v10, v10, v58
	s_delay_alu instid0(VALU_DEP_1) | instskip(NEXT) | instid1(VALU_DEP_1)
	v_ashrrev_i32_e32 v11, 31, v10
	v_add_nc_u64_e32 v[68:69], v[10:11], v[64:65]
	v_add_nc_u64_e32 v[70:71], v[10:11], v[66:67]
	s_wait_dscnt 0x0
	v_readfirstlane_b32 s26, v12
	v_readfirstlane_b32 s27, v13
	v_add_nc_u64_e32 v[80:81], v[12:13], v[10:11]
	s_and_b32 s25, s26, 3
	s_bfe_i32 s7, s26, 0x80000
	s_clz_i32_u32 s40, s25
	s_bfe_u32 s28, s26, 0x50002
	s_min_u32 s40, s40, 32
	s_and_b32 s29, s26, 0x7c
	s_sub_co_i32 s43, s40, 29
	s_lshl_b32 s41, s26, 24
	s_sext_i32_i8 s42, s26
	s_lshl_b64 s[26:27], s[26:27], s43
	s_and_b32 s41, s41, 0x80000000
	s_sub_co_i32 s27, 30, s40
	s_and_b32 s26, s26, 3
	s_cmp_gt_i32 s42, -1
	s_cselect_b32 s40, s22, 0xff800000
	s_cmp_eq_u32 s25, 0
	s_cselect_b32 s40, s40, 0x7f800001
	s_cmp_eq_u32 s28, 0
	s_cselect_b32 s27, s27, s28
	s_cselect_b32 s25, s26, s25
	s_lshl_b32 s26, s27, 23
	s_lshl_b32 s25, s25, 21
	s_add_co_i32 s26, s26, s41
	s_delay_alu instid0(SALU_CYCLE_1) | instskip(NEXT) | instid1(SALU_CYCLE_1)
	s_or_b32 s25, s26, s25
	s_add_co_i32 s26, s25, 0x38000000
	s_cmp_eq_u32 s29, 0x7c
	s_mov_b32 s25, 0
	s_cselect_b32 s26, s40, s26
	s_and_b32 s27, s7, 0xff
	s_branch .LBB2_4220
.LBB2_4218:                             ;   in Loop: Header=BB2_4220 Depth=2
	s_or_b32 exec_lo, exec_lo, s28
.LBB2_4219:                             ;   in Loop: Header=BB2_4220 Depth=2
	s_delay_alu instid0(SALU_CYCLE_1)
	s_or_b32 exec_lo, exec_lo, s7
	v_lshl_or_b32 v11, v87, 8, v86
	v_dual_lshlrev_b32 v12, 16, v118 :: v_dual_lshlrev_b32 v32, 16, v112
	v_dual_lshlrev_b32 v13, 24, v30 :: v_dual_lshlrev_b32 v83, 24, v115
	v_lshl_or_b32 v30, v101, 8, v99
	v_lshl_or_b32 v86, v114, 8, v102
	v_dual_lshlrev_b32 v87, 16, v117 :: v_dual_lshlrev_b32 v99, 24, v119
	v_lshlrev_b32_e32 v100, 24, v10
	v_lshlrev_b32_e32 v82, 16, v82
	v_lshl_or_b32 v84, v85, 8, v84
	v_or3_b32 v11, v11, v12, v13
	v_or3_b32 v10, v30, v32, v83
	;; [unrolled: 1-line block ×3, first 2 shown]
	v_sub_nc_u32_e32 v98, v98, v38
	v_or3_b32 v13, v84, v82, v100
	v_add_nc_u64_e32 v[68:69], v[68:69], v[38:39]
	v_add_nc_u64_e32 v[80:81], v[80:81], v[38:39]
	v_sub_nc_u32_e32 v97, v97, v34
	v_cmp_gt_i32_e32 vcc_lo, 16, v98
	global_store_b128 v[70:71], v[10:13], off th:TH_STORE_NT
	s_wait_xcnt 0x0
	v_add_nc_u64_e32 v[70:71], v[70:71], v[38:39]
	s_or_b32 s25, vcc_lo, s25
	s_delay_alu instid0(SALU_CYCLE_1)
	s_and_not1_b32 exec_lo, exec_lo, s25
	s_cbranch_execz .LBB2_5283
.LBB2_4220:                             ;   Parent Loop BB2_3075 Depth=1
                                        ; =>  This Inner Loop Header: Depth=2
	s_cmp_lt_i32 s27, 0x80
	s_cbranch_scc1 .LBB2_4224
; %bb.4221:                             ;   in Loop: Header=BB2_4220 Depth=2
	s_and_b32 s7, 0xffff, s27
	s_delay_alu instid0(SALU_CYCLE_1)
	s_cmp_eq_u32 s7, 0x80
	s_mov_b32 s7, -1
	s_cbranch_scc0 .LBB2_4223
; %bb.4222:                             ;   in Loop: Header=BB2_4220 Depth=2
	s_mov_b32 s7, 0
.LBB2_4223:                             ;   in Loop: Header=BB2_4220 Depth=2
	s_brev_b32 s28, 1
	s_branch .LBB2_4226
.LBB2_4224:                             ;   in Loop: Header=BB2_4220 Depth=2
	s_mov_b32 s7, 0
	s_brev_b32 s28, 1
	s_cbranch_execz .LBB2_4226
; %bb.4225:                             ;   in Loop: Header=BB2_4220 Depth=2
	s_and_b32 s7, 0xffff, s27
	s_mov_b32 s28, 0
	s_cmp_lg_u32 s7, 0
	s_cselect_b32 s7, -1, 0
.LBB2_4226:                             ;   in Loop: Header=BB2_4220 Depth=2
	s_delay_alu instid0(SALU_CYCLE_1)
	s_and_not1_b32 vcc_lo, exec_lo, s7
	s_cbranch_vccnz .LBB2_4228
; %bb.4227:                             ;   in Loop: Header=BB2_4220 Depth=2
	s_mov_b32 s28, s26
.LBB2_4228:                             ;   in Loop: Header=BB2_4220 Depth=2
	global_load_b128 v[10:13], v[68:69], off th:TH_LOAD_NT
	s_wait_loadcnt 0x0
	v_and_b32_e32 v30, 0xff, v10
	s_delay_alu instid0(VALU_DEP_1)
	v_cmp_ne_u16_e32 vcc_lo, 0, v30
	v_mov_b32_e32 v30, 0
	s_wait_xcnt 0x0
	s_and_saveexec_b32 s7, vcc_lo
	s_cbranch_execz .LBB2_4238
; %bb.4229:                             ;   in Loop: Header=BB2_4220 Depth=2
	v_bfe_i32 v82, v10, 0, 8
	v_bfrev_b32_e32 v30, 1
	s_mov_b32 s29, exec_lo
	s_delay_alu instid0(VALU_DEP_2)
	v_cmpx_ne_u16_e32 0xff80, v82
	s_cbranch_execz .LBB2_4237
; %bb.4230:                             ;   in Loop: Header=BB2_4220 Depth=2
	v_and_b32_e32 v30, 0x7c, v10
	v_and_b32_e32 v32, 3, v10
	s_delay_alu instid0(VALU_DEP_2) | instskip(SKIP_1) | instid1(SALU_CYCLE_1)
	v_cmp_ne_u32_e32 vcc_lo, 0x7c, v30
                                        ; implicit-def: $vgpr30
	s_and_saveexec_b32 s40, vcc_lo
	s_xor_b32 s40, exec_lo, s40
	s_cbranch_execz .LBB2_4234
; %bb.4231:                             ;   in Loop: Header=BB2_4220 Depth=2
	v_bfe_u32 v30, v10, 2, 5
	s_mov_b32 s41, exec_lo
	s_delay_alu instid0(VALU_DEP_1)
	v_cmpx_eq_u32_e32 0, v30
; %bb.4232:                             ;   in Loop: Header=BB2_4220 Depth=2
	v_clz_i32_u32_e32 v30, v32
	s_delay_alu instid0(VALU_DEP_1) | instskip(NEXT) | instid1(VALU_DEP_1)
	v_min_u32_e32 v30, 32, v30
	v_subrev_nc_u32_e32 v32, 29, v30
	v_sub_nc_u32_e32 v30, 30, v30
	s_delay_alu instid0(VALU_DEP_2) | instskip(NEXT) | instid1(VALU_DEP_1)
	v_lshlrev_b64_e32 v[82:83], v32, v[10:11]
	v_and_b32_e32 v32, 3, v82
; %bb.4233:                             ;   in Loop: Header=BB2_4220 Depth=2
	s_or_b32 exec_lo, exec_lo, s41
	v_lshlrev_b32_e32 v82, 24, v10
	s_delay_alu instid0(VALU_DEP_1) | instskip(NEXT) | instid1(VALU_DEP_1)
	v_and_b32_e32 v82, 0x80000000, v82
	v_lshl_add_u32 v30, v30, 23, v82
                                        ; implicit-def: $vgpr82
	s_delay_alu instid0(VALU_DEP_1) | instskip(NEXT) | instid1(VALU_DEP_1)
	v_lshl_or_b32 v30, v32, 21, v30
                                        ; implicit-def: $vgpr32
	v_add_nc_u32_e32 v30, 0x38000000, v30
.LBB2_4234:                             ;   in Loop: Header=BB2_4220 Depth=2
	s_and_not1_saveexec_b32 s40, s40
; %bb.4235:                             ;   in Loop: Header=BB2_4220 Depth=2
	v_cmp_lt_i16_e32 vcc_lo, -1, v82
	v_cndmask_b32_e32 v30, 0xff800000, v45, vcc_lo
	v_cmp_eq_u32_e32 vcc_lo, 0, v32
	s_delay_alu instid0(VALU_DEP_2)
	v_cndmask_b32_e32 v30, 0x7f800001, v30, vcc_lo
; %bb.4236:                             ;   in Loop: Header=BB2_4220 Depth=2
	s_or_b32 exec_lo, exec_lo, s40
.LBB2_4237:                             ;   in Loop: Header=BB2_4220 Depth=2
	s_delay_alu instid0(SALU_CYCLE_1)
	s_or_b32 exec_lo, exec_lo, s29
.LBB2_4238:                             ;   in Loop: Header=BB2_4220 Depth=2
	s_delay_alu instid0(SALU_CYCLE_1) | instskip(NEXT) | instid1(VALU_DEP_1)
	s_or_b32 exec_lo, exec_lo, s7
	v_dual_mul_f32 v82, s28, v30 :: v_dual_mov_b32 v85, v33
                                        ; implicit-def: $vgpr87
	s_mov_b32 s7, exec_lo
	s_delay_alu instid0(VALU_DEP_1) | instskip(SKIP_2) | instid1(VALU_DEP_3)
	v_and_b32_e32 v84, 0x7f800000, v82
	v_and_b32_e32 v32, 0x7fffff, v82
	v_lshrrev_b32_e32 v30, 24, v82
	v_cmpx_ne_u64_e32 0x7f800000, v[84:85]
	s_xor_b32 s29, exec_lo, s7
	s_cbranch_execz .LBB2_4252
; %bb.4239:                             ;   in Loop: Header=BB2_4220 Depth=2
	v_and_b32_e32 v84, 0x7fffffff, v82
	v_mov_b32_e32 v85, v33
	v_and_b32_e32 v30, 0x80, v30
                                        ; implicit-def: $vgpr87
	s_mov_b32 s7, exec_lo
	s_delay_alu instid0(VALU_DEP_2)
	v_cmpx_gt_u64_e32 0x47600001, v[84:85]
	s_xor_b32 s40, exec_lo, s7
	s_cbranch_execz .LBB2_4249
; %bb.4240:                             ;   in Loop: Header=BB2_4220 Depth=2
	v_mov_b32_e32 v87, 0
	s_mov_b32 s41, exec_lo
	v_cmpx_ne_u32_e32 0, v82
	s_cbranch_execz .LBB2_4248
; %bb.4241:                             ;   in Loop: Header=BB2_4220 Depth=2
	v_bfe_u32 v86, v82, 23, 8
	v_or_b32_e32 v84, 0x800000, v32
	s_delay_alu instid0(VALU_DEP_2) | instskip(SKIP_1) | instid1(VALU_DEP_2)
	v_sub_nc_u32_e32 v82, 0x71, v86
	v_cmp_gt_u32_e32 vcc_lo, 0x72, v86
	v_cndmask_b32_e32 v82, 0, v82, vcc_lo
	v_cmp_eq_u32_e32 vcc_lo, 0, v86
	s_delay_alu instid0(VALU_DEP_2) | instskip(NEXT) | instid1(VALU_DEP_1)
	v_cndmask_b32_e64 v87, v82, 0x70, vcc_lo
	v_dual_cndmask_b32 v32, v84, v32, vcc_lo :: v_dual_add_nc_u32 v82, 21, v87
	v_add_nc_u32_e32 v85, 20, v87
	s_delay_alu instid0(VALU_DEP_2) | instskip(NEXT) | instid1(VALU_DEP_2)
	v_lshlrev_b64_e64 v[82:83], v82, -1
	v_lshlrev_b64_e64 v[84:85], v85, 1
	s_delay_alu instid0(VALU_DEP_2) | instskip(NEXT) | instid1(VALU_DEP_3)
	v_bfi_b32 v101, v83, 0, 0
	v_bfi_b32 v100, v82, 0, v32
	v_lshrrev_b64 v[82:83], v87, v[32:33]
	s_delay_alu instid0(VALU_DEP_2) | instskip(NEXT) | instid1(VALU_DEP_2)
	v_cmp_eq_u64_e64 s7, v[100:101], v[84:85]
	v_mov_b64_e32 v[84:85], v[82:83]
	s_and_saveexec_b32 s42, s7
; %bb.4242:                             ;   in Loop: Header=BB2_4220 Depth=2
	v_bfe_u32 v32, v82, 21, 1
	s_delay_alu instid0(VALU_DEP_1) | instskip(NEXT) | instid1(VALU_DEP_1)
	v_add_nc_u64_e32 v[84:85], v[82:83], v[32:33]
	v_add_nc_u64_e32 v[84:85], -1, v[84:85]
; %bb.4243:                             ;   in Loop: Header=BB2_4220 Depth=2
	s_or_b32 exec_lo, exec_lo, s42
	v_add_nc_u32_e32 v32, 0xffffff81, v86
	v_lshrrev_b32_e32 v83, 23, v82
	s_mov_b32 s7, exec_lo
	s_delay_alu instid0(VALU_DEP_2) | instskip(NEXT) | instid1(VALU_DEP_1)
	v_cndmask_b32_e64 v32, v32, 0xffffff82, vcc_lo
	v_add3_u32 v85, v87, v32, v83
	v_and_b32_e32 v32, 0x1fffff, v84
                                        ; implicit-def: $vgpr84
	s_delay_alu instid0(VALU_DEP_1) | instskip(NEXT) | instid1(VALU_DEP_1)
	v_dual_add_nc_u32 v86, 14, v85 :: v_dual_add_nc_u32 v32, v32, v82
                                        ; implicit-def: $vgpr82_vgpr83
	v_cmpx_ne_u32_e32 0, v86
	s_xor_b32 s7, exec_lo, s7
; %bb.4244:                             ;   in Loop: Header=BB2_4220 Depth=2
	s_delay_alu instid0(VALU_DEP_2) | instskip(SKIP_1) | instid1(VALU_DEP_1)
	v_cmp_lt_u64_e32 vcc_lo, 0xffffff, v[32:33]
	v_add_nc_u32_e32 v82, 15, v85
	v_cndmask_b32_e32 v84, v86, v82, vcc_lo
	v_cndmask_b32_e64 v82, 0, 1, vcc_lo
	s_delay_alu instid0(VALU_DEP_1)
	v_lshrrev_b64 v[82:83], v82, v[32:33]
; %bb.4245:                             ;   in Loop: Header=BB2_4220 Depth=2
	s_and_not1_saveexec_b32 s7, s7
; %bb.4246:                             ;   in Loop: Header=BB2_4220 Depth=2
	v_mov_b64_e32 v[82:83], v[32:33]
	v_bfe_u32 v84, v32, 23, 1
; %bb.4247:                             ;   in Loop: Header=BB2_4220 Depth=2
	s_or_b32 exec_lo, exec_lo, s7
	s_delay_alu instid0(VALU_DEP_2) | instskip(NEXT) | instid1(VALU_DEP_2)
	v_lshrrev_b64 v[82:83], 21, v[82:83]
	v_cmp_gt_i32_e32 vcc_lo, 32, v84
	v_min_i32_e32 v32, 31, v84
	v_cmp_eq_u32_e64 s7, 0, v84
	s_delay_alu instid0(VALU_DEP_2) | instskip(SKIP_1) | instid1(VALU_DEP_2)
	v_dual_cndmask_b32 v83, 0, v83 :: v_dual_lshlrev_b32 v32, 2, v32
	v_cndmask_b32_e32 v82, 3, v82, vcc_lo
	v_and_b32_e32 v32, 0xfc, v32
	s_delay_alu instid0(VALU_DEP_2) | instskip(NEXT) | instid1(VALU_DEP_2)
	v_cmp_eq_u64_e32 vcc_lo, 0, v[82:83]
	v_and_or_b32 v32, v82, 3, v32
	s_and_b32 s7, s7, vcc_lo
	s_delay_alu instid0(VALU_DEP_1) | instid1(SALU_CYCLE_1)
	v_cndmask_b32_e64 v32, v32, 0, s7
	s_delay_alu instid0(VALU_DEP_1)
	v_or_b32_e32 v87, v32, v30
.LBB2_4248:                             ;   in Loop: Header=BB2_4220 Depth=2
	s_or_b32 exec_lo, exec_lo, s41
                                        ; implicit-def: $vgpr30
.LBB2_4249:                             ;   in Loop: Header=BB2_4220 Depth=2
	s_and_not1_saveexec_b32 s7, s40
; %bb.4250:                             ;   in Loop: Header=BB2_4220 Depth=2
	v_or_b32_e32 v87, 0x7b, v30
; %bb.4251:                             ;   in Loop: Header=BB2_4220 Depth=2
	s_or_b32 exec_lo, exec_lo, s7
                                        ; implicit-def: $vgpr82
                                        ; implicit-def: $vgpr30
.LBB2_4252:                             ;   in Loop: Header=BB2_4220 Depth=2
	s_and_not1_saveexec_b32 s7, s29
	s_cbranch_execz .LBB2_4258
; %bb.4253:                             ;   in Loop: Header=BB2_4220 Depth=2
	s_mov_b32 s29, exec_lo
                                        ; implicit-def: $vgpr87
	v_cmpx_ne_u64_e32 0, v[32:33]
	s_xor_b32 s29, exec_lo, s29
; %bb.4254:                             ;   in Loop: Header=BB2_4220 Depth=2
	v_or_b32_e32 v87, 0x7f, v30
                                        ; implicit-def: $vgpr82
; %bb.4255:                             ;   in Loop: Header=BB2_4220 Depth=2
	s_and_not1_saveexec_b32 s29, s29
; %bb.4256:                             ;   in Loop: Header=BB2_4220 Depth=2
	v_cmp_lt_i32_e32 vcc_lo, -1, v82
	v_cndmask_b32_e32 v87, 0xfc, v46, vcc_lo
; %bb.4257:                             ;   in Loop: Header=BB2_4220 Depth=2
	s_or_b32 exec_lo, exec_lo, s29
.LBB2_4258:                             ;   in Loop: Header=BB2_4220 Depth=2
	s_delay_alu instid0(SALU_CYCLE_1) | instskip(SKIP_3) | instid1(VALU_DEP_2)
	s_or_b32 exec_lo, exec_lo, s7
	v_lshrrev_b16 v32, 8, v10
	v_mov_b32_e32 v82, 0
	s_mov_b32 s7, exec_lo
	v_cmpx_ne_u16_e32 0, v32
	s_cbranch_execz .LBB2_4268
; %bb.4259:                             ;   in Loop: Header=BB2_4220 Depth=2
	v_bfrev_b32_e32 v82, 1
	s_mov_b32 s29, exec_lo
	v_cmpx_ne_u16_e32 0x80, v32
	s_cbranch_execz .LBB2_4267
; %bb.4260:                             ;   in Loop: Header=BB2_4220 Depth=2
	v_and_b32_e32 v83, 0xffff, v32
	s_delay_alu instid0(VALU_DEP_1) | instskip(SKIP_1) | instid1(VALU_DEP_2)
	v_and_b32_e32 v82, 0x7c, v83
	v_and_b32_e32 v30, 3, v83
	v_cmp_ne_u32_e32 vcc_lo, 0x7c, v82
                                        ; implicit-def: $vgpr82
	s_and_saveexec_b32 s40, vcc_lo
	s_delay_alu instid0(SALU_CYCLE_1)
	s_xor_b32 s40, exec_lo, s40
	s_cbranch_execz .LBB2_4264
; %bb.4261:                             ;   in Loop: Header=BB2_4220 Depth=2
	v_bfe_u32 v82, v83, 2, 5
	s_mov_b32 s41, exec_lo
	s_delay_alu instid0(VALU_DEP_1)
	v_cmpx_eq_u32_e32 0, v82
; %bb.4262:                             ;   in Loop: Header=BB2_4220 Depth=2
	v_clz_i32_u32_e32 v30, v30
	s_delay_alu instid0(VALU_DEP_1) | instskip(NEXT) | instid1(VALU_DEP_1)
	v_min_u32_e32 v30, 32, v30
	v_subrev_nc_u32_e32 v82, 29, v30
	s_delay_alu instid0(VALU_DEP_1) | instskip(NEXT) | instid1(VALU_DEP_1)
	v_lshlrev_b64_e32 v[84:85], v82, v[32:33]
	v_dual_sub_nc_u32 v82, 30, v30 :: v_dual_bitop2_b32 v30, 3, v84 bitop3:0x40
; %bb.4263:                             ;   in Loop: Header=BB2_4220 Depth=2
	s_or_b32 exec_lo, exec_lo, s41
	v_lshlrev_b32_e32 v32, 16, v10
	s_delay_alu instid0(VALU_DEP_1) | instskip(NEXT) | instid1(VALU_DEP_1)
	v_and_b32_e32 v32, 0x80000000, v32
	v_lshl_add_u32 v32, v82, 23, v32
	s_delay_alu instid0(VALU_DEP_1) | instskip(NEXT) | instid1(VALU_DEP_1)
	v_lshl_or_b32 v30, v30, 21, v32
	v_add_nc_u32_e32 v82, 0x38000000, v30
                                        ; implicit-def: $vgpr30
.LBB2_4264:                             ;   in Loop: Header=BB2_4220 Depth=2
	s_and_not1_saveexec_b32 s40, s40
; %bb.4265:                             ;   in Loop: Header=BB2_4220 Depth=2
	v_cmp_lt_i16_e32 vcc_lo, -1, v10
	v_cndmask_b32_e32 v32, 0xff800000, v45, vcc_lo
	v_cmp_eq_u32_e32 vcc_lo, 0, v30
	s_delay_alu instid0(VALU_DEP_2)
	v_cndmask_b32_e32 v82, 0x7f800001, v32, vcc_lo
; %bb.4266:                             ;   in Loop: Header=BB2_4220 Depth=2
	s_or_b32 exec_lo, exec_lo, s40
.LBB2_4267:                             ;   in Loop: Header=BB2_4220 Depth=2
	s_delay_alu instid0(SALU_CYCLE_1)
	s_or_b32 exec_lo, exec_lo, s29
.LBB2_4268:                             ;   in Loop: Header=BB2_4220 Depth=2
	s_delay_alu instid0(SALU_CYCLE_1) | instskip(NEXT) | instid1(VALU_DEP_1)
	s_or_b32 exec_lo, exec_lo, s7
	v_dual_mul_f32 v82, s28, v82 :: v_dual_mov_b32 v85, v33
                                        ; implicit-def: $vgpr99
	s_mov_b32 s7, exec_lo
	s_delay_alu instid0(VALU_DEP_1) | instskip(SKIP_2) | instid1(VALU_DEP_3)
	v_and_b32_e32 v84, 0x7f800000, v82
	v_and_b32_e32 v32, 0x7fffff, v82
	v_lshrrev_b32_e32 v30, 24, v82
	v_cmpx_ne_u64_e32 0x7f800000, v[84:85]
	s_xor_b32 s29, exec_lo, s7
	s_cbranch_execz .LBB2_4282
; %bb.4269:                             ;   in Loop: Header=BB2_4220 Depth=2
	v_and_b32_e32 v84, 0x7fffffff, v82
	v_mov_b32_e32 v85, v33
	v_and_b32_e32 v30, 0x80, v30
                                        ; implicit-def: $vgpr99
	s_mov_b32 s7, exec_lo
	s_delay_alu instid0(VALU_DEP_2)
	v_cmpx_gt_u64_e32 0x47600001, v[84:85]
	s_xor_b32 s40, exec_lo, s7
	s_cbranch_execz .LBB2_4279
; %bb.4270:                             ;   in Loop: Header=BB2_4220 Depth=2
	v_mov_b32_e32 v99, 0
	s_mov_b32 s41, exec_lo
	v_cmpx_ne_u32_e32 0, v82
	s_cbranch_execz .LBB2_4278
; %bb.4271:                             ;   in Loop: Header=BB2_4220 Depth=2
	v_bfe_u32 v86, v82, 23, 8
	v_or_b32_e32 v84, 0x800000, v32
	s_delay_alu instid0(VALU_DEP_2) | instskip(SKIP_1) | instid1(VALU_DEP_2)
	v_sub_nc_u32_e32 v82, 0x71, v86
	v_cmp_gt_u32_e32 vcc_lo, 0x72, v86
	v_cndmask_b32_e32 v82, 0, v82, vcc_lo
	v_cmp_eq_u32_e32 vcc_lo, 0, v86
	s_delay_alu instid0(VALU_DEP_2) | instskip(NEXT) | instid1(VALU_DEP_1)
	v_cndmask_b32_e64 v99, v82, 0x70, vcc_lo
	v_dual_cndmask_b32 v32, v84, v32, vcc_lo :: v_dual_add_nc_u32 v82, 21, v99
	v_add_nc_u32_e32 v85, 20, v99
	s_delay_alu instid0(VALU_DEP_2) | instskip(NEXT) | instid1(VALU_DEP_2)
	v_lshlrev_b64_e64 v[82:83], v82, -1
	v_lshlrev_b64_e64 v[84:85], v85, 1
	s_delay_alu instid0(VALU_DEP_2) | instskip(NEXT) | instid1(VALU_DEP_3)
	v_bfi_b32 v101, v83, 0, 0
	v_bfi_b32 v100, v82, 0, v32
	v_lshrrev_b64 v[82:83], v99, v[32:33]
	s_delay_alu instid0(VALU_DEP_2) | instskip(NEXT) | instid1(VALU_DEP_2)
	v_cmp_eq_u64_e64 s7, v[100:101], v[84:85]
	v_mov_b64_e32 v[84:85], v[82:83]
	s_and_saveexec_b32 s42, s7
; %bb.4272:                             ;   in Loop: Header=BB2_4220 Depth=2
	v_bfe_u32 v32, v82, 21, 1
	s_delay_alu instid0(VALU_DEP_1) | instskip(NEXT) | instid1(VALU_DEP_1)
	v_add_nc_u64_e32 v[84:85], v[82:83], v[32:33]
	v_add_nc_u64_e32 v[84:85], -1, v[84:85]
; %bb.4273:                             ;   in Loop: Header=BB2_4220 Depth=2
	s_or_b32 exec_lo, exec_lo, s42
	v_add_nc_u32_e32 v32, 0xffffff81, v86
	v_lshrrev_b32_e32 v83, 23, v82
	s_mov_b32 s7, exec_lo
	s_delay_alu instid0(VALU_DEP_2) | instskip(NEXT) | instid1(VALU_DEP_1)
	v_cndmask_b32_e64 v32, v32, 0xffffff82, vcc_lo
	v_add3_u32 v85, v99, v32, v83
	v_and_b32_e32 v32, 0x1fffff, v84
                                        ; implicit-def: $vgpr84
	s_delay_alu instid0(VALU_DEP_1) | instskip(NEXT) | instid1(VALU_DEP_1)
	v_dual_add_nc_u32 v86, 14, v85 :: v_dual_add_nc_u32 v32, v32, v82
                                        ; implicit-def: $vgpr82_vgpr83
	v_cmpx_ne_u32_e32 0, v86
	s_xor_b32 s7, exec_lo, s7
; %bb.4274:                             ;   in Loop: Header=BB2_4220 Depth=2
	s_delay_alu instid0(VALU_DEP_2) | instskip(SKIP_1) | instid1(VALU_DEP_1)
	v_cmp_lt_u64_e32 vcc_lo, 0xffffff, v[32:33]
	v_add_nc_u32_e32 v82, 15, v85
	v_cndmask_b32_e32 v84, v86, v82, vcc_lo
	v_cndmask_b32_e64 v82, 0, 1, vcc_lo
	s_delay_alu instid0(VALU_DEP_1)
	v_lshrrev_b64 v[82:83], v82, v[32:33]
; %bb.4275:                             ;   in Loop: Header=BB2_4220 Depth=2
	s_and_not1_saveexec_b32 s7, s7
; %bb.4276:                             ;   in Loop: Header=BB2_4220 Depth=2
	v_mov_b64_e32 v[82:83], v[32:33]
	v_bfe_u32 v84, v32, 23, 1
; %bb.4277:                             ;   in Loop: Header=BB2_4220 Depth=2
	s_or_b32 exec_lo, exec_lo, s7
	s_delay_alu instid0(VALU_DEP_2) | instskip(NEXT) | instid1(VALU_DEP_2)
	v_lshrrev_b64 v[82:83], 21, v[82:83]
	v_cmp_gt_i32_e32 vcc_lo, 32, v84
	v_min_i32_e32 v32, 31, v84
	v_cmp_eq_u32_e64 s7, 0, v84
	s_delay_alu instid0(VALU_DEP_2) | instskip(SKIP_1) | instid1(VALU_DEP_2)
	v_dual_cndmask_b32 v83, 0, v83 :: v_dual_lshlrev_b32 v32, 2, v32
	v_cndmask_b32_e32 v82, 3, v82, vcc_lo
	v_and_b32_e32 v32, 0xfc, v32
	s_delay_alu instid0(VALU_DEP_2) | instskip(NEXT) | instid1(VALU_DEP_2)
	v_cmp_eq_u64_e32 vcc_lo, 0, v[82:83]
	v_and_or_b32 v32, v82, 3, v32
	s_and_b32 s7, s7, vcc_lo
	s_delay_alu instid0(VALU_DEP_1) | instid1(SALU_CYCLE_1)
	v_cndmask_b32_e64 v32, v32, 0, s7
	s_delay_alu instid0(VALU_DEP_1)
	v_or_b32_e32 v99, v32, v30
.LBB2_4278:                             ;   in Loop: Header=BB2_4220 Depth=2
	s_or_b32 exec_lo, exec_lo, s41
                                        ; implicit-def: $vgpr30
.LBB2_4279:                             ;   in Loop: Header=BB2_4220 Depth=2
	s_and_not1_saveexec_b32 s7, s40
; %bb.4280:                             ;   in Loop: Header=BB2_4220 Depth=2
	v_or_b32_e32 v99, 0x7b, v30
; %bb.4281:                             ;   in Loop: Header=BB2_4220 Depth=2
	s_or_b32 exec_lo, exec_lo, s7
                                        ; implicit-def: $vgpr82
                                        ; implicit-def: $vgpr30
.LBB2_4282:                             ;   in Loop: Header=BB2_4220 Depth=2
	s_and_not1_saveexec_b32 s7, s29
	s_cbranch_execz .LBB2_4288
; %bb.4283:                             ;   in Loop: Header=BB2_4220 Depth=2
	s_mov_b32 s29, exec_lo
                                        ; implicit-def: $vgpr99
	v_cmpx_ne_u64_e32 0, v[32:33]
	s_xor_b32 s29, exec_lo, s29
; %bb.4284:                             ;   in Loop: Header=BB2_4220 Depth=2
	v_or_b32_e32 v99, 0x7f, v30
                                        ; implicit-def: $vgpr82
; %bb.4285:                             ;   in Loop: Header=BB2_4220 Depth=2
	s_and_not1_saveexec_b32 s29, s29
; %bb.4286:                             ;   in Loop: Header=BB2_4220 Depth=2
	v_cmp_lt_i32_e32 vcc_lo, -1, v82
	v_cndmask_b32_e32 v99, 0xfc, v46, vcc_lo
; %bb.4287:                             ;   in Loop: Header=BB2_4220 Depth=2
	s_or_b32 exec_lo, exec_lo, s29
.LBB2_4288:                             ;   in Loop: Header=BB2_4220 Depth=2
	s_delay_alu instid0(SALU_CYCLE_1) | instskip(SKIP_2) | instid1(VALU_DEP_1)
	s_or_b32 exec_lo, exec_lo, s7
	v_dual_lshrrev_b32 v30, 16, v10 :: v_dual_mov_b32 v32, 0
	s_mov_b32 s7, exec_lo
	v_and_b32_e32 v82, 0xff, v30
	s_delay_alu instid0(VALU_DEP_1)
	v_cmpx_ne_u16_e32 0, v82
	s_cbranch_execz .LBB2_4298
; %bb.4289:                             ;   in Loop: Header=BB2_4220 Depth=2
	v_bfrev_b32_e32 v32, 1
	s_mov_b32 s29, exec_lo
	v_cmpx_ne_u16_e32 0x80, v82
	s_cbranch_execz .LBB2_4297
; %bb.4290:                             ;   in Loop: Header=BB2_4220 Depth=2
	v_and_b32_e32 v32, 0x7c0000, v10
	v_bfe_u32 v82, v10, 16, 2
	s_delay_alu instid0(VALU_DEP_2) | instskip(SKIP_1) | instid1(SALU_CYCLE_1)
	v_cmp_ne_u32_e32 vcc_lo, 0x7c0000, v32
                                        ; implicit-def: $vgpr32
	s_and_saveexec_b32 s40, vcc_lo
	s_xor_b32 s40, exec_lo, s40
	s_cbranch_execz .LBB2_4294
; %bb.4291:                             ;   in Loop: Header=BB2_4220 Depth=2
	v_bfe_u32 v32, v10, 18, 5
	s_mov_b32 s41, exec_lo
	s_delay_alu instid0(VALU_DEP_1)
	v_cmpx_eq_u32_e32 0, v32
; %bb.4292:                             ;   in Loop: Header=BB2_4220 Depth=2
	v_clz_i32_u32_e32 v32, v82
	s_delay_alu instid0(VALU_DEP_1) | instskip(NEXT) | instid1(VALU_DEP_1)
	v_min_u32_e32 v32, 32, v32
	v_subrev_nc_u32_e32 v82, 29, v32
	s_delay_alu instid0(VALU_DEP_1) | instskip(NEXT) | instid1(VALU_DEP_1)
	v_lshlrev_b64_e32 v[82:83], v82, v[30:31]
	v_dual_sub_nc_u32 v32, 30, v32 :: v_dual_bitop2_b32 v82, 3, v82 bitop3:0x40
; %bb.4293:                             ;   in Loop: Header=BB2_4220 Depth=2
	s_or_b32 exec_lo, exec_lo, s41
	v_lshlrev_b32_e32 v30, 24, v30
	s_delay_alu instid0(VALU_DEP_1) | instskip(NEXT) | instid1(VALU_DEP_1)
	v_and_b32_e32 v30, 0x80000000, v30
	v_lshl_add_u32 v30, v32, 23, v30
	s_delay_alu instid0(VALU_DEP_1) | instskip(NEXT) | instid1(VALU_DEP_1)
	v_lshl_or_b32 v30, v82, 21, v30
                                        ; implicit-def: $vgpr82
	v_add_nc_u32_e32 v32, 0x38000000, v30
                                        ; implicit-def: $vgpr30
.LBB2_4294:                             ;   in Loop: Header=BB2_4220 Depth=2
	s_and_not1_saveexec_b32 s40, s40
; %bb.4295:                             ;   in Loop: Header=BB2_4220 Depth=2
	v_bfe_i32 v30, v30, 0, 8
	s_delay_alu instid0(VALU_DEP_1) | instskip(SKIP_2) | instid1(VALU_DEP_2)
	v_cmp_lt_i16_e32 vcc_lo, -1, v30
	v_cndmask_b32_e32 v30, 0xff800000, v45, vcc_lo
	v_cmp_eq_u32_e32 vcc_lo, 0, v82
	v_cndmask_b32_e32 v32, 0x7f800001, v30, vcc_lo
; %bb.4296:                             ;   in Loop: Header=BB2_4220 Depth=2
	s_or_b32 exec_lo, exec_lo, s40
.LBB2_4297:                             ;   in Loop: Header=BB2_4220 Depth=2
	s_delay_alu instid0(SALU_CYCLE_1)
	s_or_b32 exec_lo, exec_lo, s29
.LBB2_4298:                             ;   in Loop: Header=BB2_4220 Depth=2
	s_delay_alu instid0(SALU_CYCLE_1) | instskip(NEXT) | instid1(VALU_DEP_1)
	s_or_b32 exec_lo, exec_lo, s7
	v_dual_mul_f32 v82, s28, v32 :: v_dual_mov_b32 v85, v33
                                        ; implicit-def: $vgpr101
	s_mov_b32 s7, exec_lo
	s_delay_alu instid0(VALU_DEP_1) | instskip(SKIP_2) | instid1(VALU_DEP_3)
	v_and_b32_e32 v84, 0x7f800000, v82
	v_and_b32_e32 v32, 0x7fffff, v82
	v_lshrrev_b32_e32 v30, 24, v82
	v_cmpx_ne_u64_e32 0x7f800000, v[84:85]
	s_xor_b32 s29, exec_lo, s7
	s_cbranch_execz .LBB2_4312
; %bb.4299:                             ;   in Loop: Header=BB2_4220 Depth=2
	v_and_b32_e32 v84, 0x7fffffff, v82
	v_mov_b32_e32 v85, v33
	v_and_b32_e32 v30, 0x80, v30
                                        ; implicit-def: $vgpr101
	s_mov_b32 s7, exec_lo
	s_delay_alu instid0(VALU_DEP_2)
	v_cmpx_gt_u64_e32 0x47600001, v[84:85]
	s_xor_b32 s40, exec_lo, s7
	s_cbranch_execz .LBB2_4309
; %bb.4300:                             ;   in Loop: Header=BB2_4220 Depth=2
	v_mov_b32_e32 v101, 0
	s_mov_b32 s41, exec_lo
	v_cmpx_ne_u32_e32 0, v82
	s_cbranch_execz .LBB2_4308
; %bb.4301:                             ;   in Loop: Header=BB2_4220 Depth=2
	v_bfe_u32 v86, v82, 23, 8
	v_or_b32_e32 v84, 0x800000, v32
	s_delay_alu instid0(VALU_DEP_2) | instskip(SKIP_1) | instid1(VALU_DEP_2)
	v_sub_nc_u32_e32 v82, 0x71, v86
	v_cmp_gt_u32_e32 vcc_lo, 0x72, v86
	v_cndmask_b32_e32 v82, 0, v82, vcc_lo
	v_cmp_eq_u32_e32 vcc_lo, 0, v86
	s_delay_alu instid0(VALU_DEP_2) | instskip(SKIP_1) | instid1(VALU_DEP_2)
	v_cndmask_b32_e64 v100, v82, 0x70, vcc_lo
	v_cndmask_b32_e32 v32, v84, v32, vcc_lo
	v_dual_add_nc_u32 v82, 21, v100 :: v_dual_add_nc_u32 v85, 20, v100
	s_delay_alu instid0(VALU_DEP_1) | instskip(NEXT) | instid1(VALU_DEP_2)
	v_lshlrev_b64_e64 v[82:83], v82, -1
	v_lshlrev_b64_e64 v[84:85], v85, 1
	s_delay_alu instid0(VALU_DEP_2) | instskip(NEXT) | instid1(VALU_DEP_3)
	v_bfi_b32 v103, v83, 0, 0
	v_bfi_b32 v102, v82, 0, v32
	v_lshrrev_b64 v[82:83], v100, v[32:33]
	s_delay_alu instid0(VALU_DEP_2) | instskip(NEXT) | instid1(VALU_DEP_2)
	v_cmp_eq_u64_e64 s7, v[102:103], v[84:85]
	v_mov_b64_e32 v[84:85], v[82:83]
	s_and_saveexec_b32 s42, s7
; %bb.4302:                             ;   in Loop: Header=BB2_4220 Depth=2
	v_bfe_u32 v32, v82, 21, 1
	s_delay_alu instid0(VALU_DEP_1) | instskip(NEXT) | instid1(VALU_DEP_1)
	v_add_nc_u64_e32 v[84:85], v[82:83], v[32:33]
	v_add_nc_u64_e32 v[84:85], -1, v[84:85]
; %bb.4303:                             ;   in Loop: Header=BB2_4220 Depth=2
	s_or_b32 exec_lo, exec_lo, s42
	v_add_nc_u32_e32 v32, 0xffffff81, v86
	v_lshrrev_b32_e32 v83, 23, v82
	s_mov_b32 s7, exec_lo
	s_delay_alu instid0(VALU_DEP_2) | instskip(NEXT) | instid1(VALU_DEP_1)
	v_cndmask_b32_e64 v32, v32, 0xffffff82, vcc_lo
	v_add3_u32 v85, v100, v32, v83
	v_and_b32_e32 v32, 0x1fffff, v84
                                        ; implicit-def: $vgpr84
	s_delay_alu instid0(VALU_DEP_1) | instskip(NEXT) | instid1(VALU_DEP_1)
	v_dual_add_nc_u32 v86, 14, v85 :: v_dual_add_nc_u32 v32, v32, v82
                                        ; implicit-def: $vgpr82_vgpr83
	v_cmpx_ne_u32_e32 0, v86
	s_xor_b32 s7, exec_lo, s7
; %bb.4304:                             ;   in Loop: Header=BB2_4220 Depth=2
	s_delay_alu instid0(VALU_DEP_2) | instskip(SKIP_1) | instid1(VALU_DEP_1)
	v_cmp_lt_u64_e32 vcc_lo, 0xffffff, v[32:33]
	v_add_nc_u32_e32 v82, 15, v85
	v_cndmask_b32_e32 v84, v86, v82, vcc_lo
	v_cndmask_b32_e64 v82, 0, 1, vcc_lo
	s_delay_alu instid0(VALU_DEP_1)
	v_lshrrev_b64 v[82:83], v82, v[32:33]
; %bb.4305:                             ;   in Loop: Header=BB2_4220 Depth=2
	s_and_not1_saveexec_b32 s7, s7
; %bb.4306:                             ;   in Loop: Header=BB2_4220 Depth=2
	v_mov_b64_e32 v[82:83], v[32:33]
	v_bfe_u32 v84, v32, 23, 1
; %bb.4307:                             ;   in Loop: Header=BB2_4220 Depth=2
	s_or_b32 exec_lo, exec_lo, s7
	s_delay_alu instid0(VALU_DEP_2) | instskip(NEXT) | instid1(VALU_DEP_2)
	v_lshrrev_b64 v[82:83], 21, v[82:83]
	v_cmp_gt_i32_e32 vcc_lo, 32, v84
	v_min_i32_e32 v32, 31, v84
	v_cmp_eq_u32_e64 s7, 0, v84
	s_delay_alu instid0(VALU_DEP_2) | instskip(SKIP_1) | instid1(VALU_DEP_2)
	v_dual_cndmask_b32 v83, 0, v83 :: v_dual_lshlrev_b32 v32, 2, v32
	v_cndmask_b32_e32 v82, 3, v82, vcc_lo
	v_and_b32_e32 v32, 0xfc, v32
	s_delay_alu instid0(VALU_DEP_2) | instskip(NEXT) | instid1(VALU_DEP_2)
	v_cmp_eq_u64_e32 vcc_lo, 0, v[82:83]
	v_and_or_b32 v32, v82, 3, v32
	s_and_b32 s7, s7, vcc_lo
	s_delay_alu instid0(VALU_DEP_1) | instid1(SALU_CYCLE_1)
	v_cndmask_b32_e64 v32, v32, 0, s7
	s_delay_alu instid0(VALU_DEP_1)
	v_or_b32_e32 v101, v32, v30
.LBB2_4308:                             ;   in Loop: Header=BB2_4220 Depth=2
	s_or_b32 exec_lo, exec_lo, s41
                                        ; implicit-def: $vgpr30
.LBB2_4309:                             ;   in Loop: Header=BB2_4220 Depth=2
	s_and_not1_saveexec_b32 s7, s40
; %bb.4310:                             ;   in Loop: Header=BB2_4220 Depth=2
	v_or_b32_e32 v101, 0x7b, v30
; %bb.4311:                             ;   in Loop: Header=BB2_4220 Depth=2
	s_or_b32 exec_lo, exec_lo, s7
                                        ; implicit-def: $vgpr82
                                        ; implicit-def: $vgpr30
.LBB2_4312:                             ;   in Loop: Header=BB2_4220 Depth=2
	s_and_not1_saveexec_b32 s7, s29
	s_cbranch_execz .LBB2_4318
; %bb.4313:                             ;   in Loop: Header=BB2_4220 Depth=2
	s_mov_b32 s29, exec_lo
                                        ; implicit-def: $vgpr101
	v_cmpx_ne_u64_e32 0, v[32:33]
	s_xor_b32 s29, exec_lo, s29
; %bb.4314:                             ;   in Loop: Header=BB2_4220 Depth=2
	v_or_b32_e32 v101, 0x7f, v30
                                        ; implicit-def: $vgpr82
; %bb.4315:                             ;   in Loop: Header=BB2_4220 Depth=2
	s_and_not1_saveexec_b32 s29, s29
; %bb.4316:                             ;   in Loop: Header=BB2_4220 Depth=2
	v_cmp_lt_i32_e32 vcc_lo, -1, v82
	v_cndmask_b32_e32 v101, 0xfc, v46, vcc_lo
; %bb.4317:                             ;   in Loop: Header=BB2_4220 Depth=2
	s_or_b32 exec_lo, exec_lo, s29
.LBB2_4318:                             ;   in Loop: Header=BB2_4220 Depth=2
	s_delay_alu instid0(SALU_CYCLE_1)
	s_or_b32 exec_lo, exec_lo, s7
	v_mov_b32_e32 v32, 0
	s_mov_b32 s7, exec_lo
	v_cmpx_lt_u32_e32 0xffffff, v10
	s_cbranch_execz .LBB2_4328
; %bb.4319:                             ;   in Loop: Header=BB2_4220 Depth=2
	v_lshrrev_b32_e32 v30, 24, v10
	v_bfrev_b32_e32 v32, 1
	s_mov_b32 s29, exec_lo
	s_delay_alu instid0(VALU_DEP_2)
	v_cmpx_ne_u32_e32 0x80, v30
	s_cbranch_execz .LBB2_4327
; %bb.4320:                             ;   in Loop: Header=BB2_4220 Depth=2
	v_and_b32_e32 v32, 0x7c000000, v10
	v_bfe_u32 v82, v10, 24, 2
	s_delay_alu instid0(VALU_DEP_2) | instskip(SKIP_1) | instid1(SALU_CYCLE_1)
	v_cmp_ne_u32_e32 vcc_lo, 0x7c000000, v32
                                        ; implicit-def: $vgpr32
	s_and_saveexec_b32 s40, vcc_lo
	s_xor_b32 s40, exec_lo, s40
	s_cbranch_execz .LBB2_4324
; %bb.4321:                             ;   in Loop: Header=BB2_4220 Depth=2
	v_bfe_u32 v32, v10, 26, 5
	s_mov_b32 s41, exec_lo
	s_delay_alu instid0(VALU_DEP_1)
	v_cmpx_eq_u32_e32 0, v32
; %bb.4322:                             ;   in Loop: Header=BB2_4220 Depth=2
	v_clz_i32_u32_e32 v32, v82
	s_delay_alu instid0(VALU_DEP_1) | instskip(NEXT) | instid1(VALU_DEP_1)
	v_min_u32_e32 v32, 32, v32
	v_subrev_nc_u32_e32 v82, 29, v32
	s_delay_alu instid0(VALU_DEP_1) | instskip(NEXT) | instid1(VALU_DEP_1)
	v_lshlrev_b64_e32 v[82:83], v82, v[30:31]
	v_dual_sub_nc_u32 v32, 30, v32 :: v_dual_bitop2_b32 v82, 3, v82 bitop3:0x40
; %bb.4323:                             ;   in Loop: Header=BB2_4220 Depth=2
	s_or_b32 exec_lo, exec_lo, s41
	v_and_b32_e32 v30, 0x80000000, v10
	s_delay_alu instid0(VALU_DEP_1) | instskip(NEXT) | instid1(VALU_DEP_1)
	v_lshl_add_u32 v30, v32, 23, v30
	v_lshl_or_b32 v30, v82, 21, v30
                                        ; implicit-def: $vgpr82
	s_delay_alu instid0(VALU_DEP_1)
	v_add_nc_u32_e32 v32, 0x38000000, v30
.LBB2_4324:                             ;   in Loop: Header=BB2_4220 Depth=2
	s_and_not1_saveexec_b32 s40, s40
; %bb.4325:                             ;   in Loop: Header=BB2_4220 Depth=2
	v_cmp_lt_i32_e32 vcc_lo, -1, v10
	v_cndmask_b32_e32 v30, 0xff800000, v45, vcc_lo
	v_cmp_eq_u32_e32 vcc_lo, 0, v82
	s_delay_alu instid0(VALU_DEP_2)
	v_cndmask_b32_e32 v32, 0x7f800001, v30, vcc_lo
; %bb.4326:                             ;   in Loop: Header=BB2_4220 Depth=2
	s_or_b32 exec_lo, exec_lo, s40
.LBB2_4327:                             ;   in Loop: Header=BB2_4220 Depth=2
	s_delay_alu instid0(SALU_CYCLE_1)
	s_or_b32 exec_lo, exec_lo, s29
.LBB2_4328:                             ;   in Loop: Header=BB2_4220 Depth=2
	s_delay_alu instid0(SALU_CYCLE_1) | instskip(NEXT) | instid1(VALU_DEP_1)
	s_or_b32 exec_lo, exec_lo, s7
	v_dual_mul_f32 v82, s28, v32 :: v_dual_mov_b32 v85, v33
                                        ; implicit-def: $vgpr112
	s_mov_b32 s7, exec_lo
	s_delay_alu instid0(VALU_DEP_1) | instskip(SKIP_2) | instid1(VALU_DEP_3)
	v_and_b32_e32 v84, 0x7f800000, v82
	v_and_b32_e32 v32, 0x7fffff, v82
	v_lshrrev_b32_e32 v30, 24, v82
	v_cmpx_ne_u64_e32 0x7f800000, v[84:85]
	s_xor_b32 s29, exec_lo, s7
	s_cbranch_execz .LBB2_4342
; %bb.4329:                             ;   in Loop: Header=BB2_4220 Depth=2
	v_and_b32_e32 v84, 0x7fffffff, v82
	v_mov_b32_e32 v85, v33
	v_and_b32_e32 v30, 0x80, v30
                                        ; implicit-def: $vgpr112
	s_mov_b32 s7, exec_lo
	s_delay_alu instid0(VALU_DEP_2)
	v_cmpx_gt_u64_e32 0x47600001, v[84:85]
	s_xor_b32 s40, exec_lo, s7
	s_cbranch_execz .LBB2_4339
; %bb.4330:                             ;   in Loop: Header=BB2_4220 Depth=2
	v_mov_b32_e32 v112, 0
	s_mov_b32 s41, exec_lo
	v_cmpx_ne_u32_e32 0, v82
	s_cbranch_execz .LBB2_4338
; %bb.4331:                             ;   in Loop: Header=BB2_4220 Depth=2
	v_bfe_u32 v86, v82, 23, 8
	v_or_b32_e32 v84, 0x800000, v32
	s_delay_alu instid0(VALU_DEP_2) | instskip(SKIP_1) | instid1(VALU_DEP_2)
	v_sub_nc_u32_e32 v82, 0x71, v86
	v_cmp_gt_u32_e32 vcc_lo, 0x72, v86
	v_cndmask_b32_e32 v82, 0, v82, vcc_lo
	v_cmp_eq_u32_e32 vcc_lo, 0, v86
	s_delay_alu instid0(VALU_DEP_2) | instskip(SKIP_1) | instid1(VALU_DEP_2)
	v_cndmask_b32_e64 v100, v82, 0x70, vcc_lo
	v_cndmask_b32_e32 v32, v84, v32, vcc_lo
	v_dual_add_nc_u32 v82, 21, v100 :: v_dual_add_nc_u32 v85, 20, v100
	s_delay_alu instid0(VALU_DEP_1) | instskip(NEXT) | instid1(VALU_DEP_2)
	v_lshlrev_b64_e64 v[82:83], v82, -1
	v_lshlrev_b64_e64 v[84:85], v85, 1
	s_delay_alu instid0(VALU_DEP_2) | instskip(NEXT) | instid1(VALU_DEP_3)
	v_bfi_b32 v103, v83, 0, 0
	v_bfi_b32 v102, v82, 0, v32
	v_lshrrev_b64 v[82:83], v100, v[32:33]
	s_delay_alu instid0(VALU_DEP_2) | instskip(NEXT) | instid1(VALU_DEP_2)
	v_cmp_eq_u64_e64 s7, v[102:103], v[84:85]
	v_mov_b64_e32 v[84:85], v[82:83]
	s_and_saveexec_b32 s42, s7
; %bb.4332:                             ;   in Loop: Header=BB2_4220 Depth=2
	v_bfe_u32 v32, v82, 21, 1
	s_delay_alu instid0(VALU_DEP_1) | instskip(NEXT) | instid1(VALU_DEP_1)
	v_add_nc_u64_e32 v[84:85], v[82:83], v[32:33]
	v_add_nc_u64_e32 v[84:85], -1, v[84:85]
; %bb.4333:                             ;   in Loop: Header=BB2_4220 Depth=2
	s_or_b32 exec_lo, exec_lo, s42
	v_add_nc_u32_e32 v32, 0xffffff81, v86
	v_lshrrev_b32_e32 v83, 23, v82
	s_mov_b32 s7, exec_lo
	s_delay_alu instid0(VALU_DEP_2) | instskip(NEXT) | instid1(VALU_DEP_1)
	v_cndmask_b32_e64 v32, v32, 0xffffff82, vcc_lo
	v_add3_u32 v85, v100, v32, v83
	v_and_b32_e32 v32, 0x1fffff, v84
                                        ; implicit-def: $vgpr84
	s_delay_alu instid0(VALU_DEP_1) | instskip(NEXT) | instid1(VALU_DEP_1)
	v_dual_add_nc_u32 v86, 14, v85 :: v_dual_add_nc_u32 v32, v32, v82
                                        ; implicit-def: $vgpr82_vgpr83
	v_cmpx_ne_u32_e32 0, v86
	s_xor_b32 s7, exec_lo, s7
; %bb.4334:                             ;   in Loop: Header=BB2_4220 Depth=2
	s_delay_alu instid0(VALU_DEP_2) | instskip(SKIP_1) | instid1(VALU_DEP_1)
	v_cmp_lt_u64_e32 vcc_lo, 0xffffff, v[32:33]
	v_add_nc_u32_e32 v82, 15, v85
	v_cndmask_b32_e32 v84, v86, v82, vcc_lo
	v_cndmask_b32_e64 v82, 0, 1, vcc_lo
	s_delay_alu instid0(VALU_DEP_1)
	v_lshrrev_b64 v[82:83], v82, v[32:33]
; %bb.4335:                             ;   in Loop: Header=BB2_4220 Depth=2
	s_and_not1_saveexec_b32 s7, s7
; %bb.4336:                             ;   in Loop: Header=BB2_4220 Depth=2
	v_mov_b64_e32 v[82:83], v[32:33]
	v_bfe_u32 v84, v32, 23, 1
; %bb.4337:                             ;   in Loop: Header=BB2_4220 Depth=2
	s_or_b32 exec_lo, exec_lo, s7
	s_delay_alu instid0(VALU_DEP_2) | instskip(NEXT) | instid1(VALU_DEP_2)
	v_lshrrev_b64 v[82:83], 21, v[82:83]
	v_cmp_gt_i32_e32 vcc_lo, 32, v84
	v_min_i32_e32 v32, 31, v84
	v_cmp_eq_u32_e64 s7, 0, v84
	s_delay_alu instid0(VALU_DEP_2) | instskip(SKIP_1) | instid1(VALU_DEP_2)
	v_dual_cndmask_b32 v83, 0, v83 :: v_dual_lshlrev_b32 v32, 2, v32
	v_cndmask_b32_e32 v82, 3, v82, vcc_lo
	v_and_b32_e32 v32, 0xfc, v32
	s_delay_alu instid0(VALU_DEP_2) | instskip(NEXT) | instid1(VALU_DEP_2)
	v_cmp_eq_u64_e32 vcc_lo, 0, v[82:83]
	v_and_or_b32 v32, v82, 3, v32
	s_and_b32 s7, s7, vcc_lo
	s_delay_alu instid0(VALU_DEP_1) | instid1(SALU_CYCLE_1)
	v_cndmask_b32_e64 v32, v32, 0, s7
	s_delay_alu instid0(VALU_DEP_1)
	v_or_b32_e32 v112, v32, v30
.LBB2_4338:                             ;   in Loop: Header=BB2_4220 Depth=2
	s_or_b32 exec_lo, exec_lo, s41
                                        ; implicit-def: $vgpr30
.LBB2_4339:                             ;   in Loop: Header=BB2_4220 Depth=2
	s_and_not1_saveexec_b32 s7, s40
; %bb.4340:                             ;   in Loop: Header=BB2_4220 Depth=2
	v_or_b32_e32 v112, 0x7b, v30
; %bb.4341:                             ;   in Loop: Header=BB2_4220 Depth=2
	s_or_b32 exec_lo, exec_lo, s7
                                        ; implicit-def: $vgpr82
                                        ; implicit-def: $vgpr30
.LBB2_4342:                             ;   in Loop: Header=BB2_4220 Depth=2
	s_and_not1_saveexec_b32 s7, s29
	s_cbranch_execz .LBB2_4348
; %bb.4343:                             ;   in Loop: Header=BB2_4220 Depth=2
	s_mov_b32 s29, exec_lo
                                        ; implicit-def: $vgpr112
	v_cmpx_ne_u64_e32 0, v[32:33]
	s_xor_b32 s29, exec_lo, s29
; %bb.4344:                             ;   in Loop: Header=BB2_4220 Depth=2
	v_or_b32_e32 v112, 0x7f, v30
                                        ; implicit-def: $vgpr82
; %bb.4345:                             ;   in Loop: Header=BB2_4220 Depth=2
	s_and_not1_saveexec_b32 s29, s29
; %bb.4346:                             ;   in Loop: Header=BB2_4220 Depth=2
	v_cmp_lt_i32_e32 vcc_lo, -1, v82
	v_cndmask_b32_e32 v112, 0xfc, v46, vcc_lo
; %bb.4347:                             ;   in Loop: Header=BB2_4220 Depth=2
	s_or_b32 exec_lo, exec_lo, s29
.LBB2_4348:                             ;   in Loop: Header=BB2_4220 Depth=2
	s_delay_alu instid0(SALU_CYCLE_1) | instskip(SKIP_3) | instid1(VALU_DEP_2)
	s_or_b32 exec_lo, exec_lo, s7
	v_and_b32_e32 v82, 0xff, v11
	v_dual_mov_b32 v32, v11 :: v_dual_mov_b32 v30, 0
	s_mov_b32 s7, exec_lo
	v_cmpx_ne_u16_e32 0, v82
	s_cbranch_execz .LBB2_4358
; %bb.4349:                             ;   in Loop: Header=BB2_4220 Depth=2
	v_bfrev_b32_e32 v30, 1
	s_mov_b32 s29, exec_lo
	v_cmpx_ne_u16_e32 0x80, v82
	s_cbranch_execz .LBB2_4357
; %bb.4350:                             ;   in Loop: Header=BB2_4220 Depth=2
	v_and_b32_e32 v30, 0x7c, v11
	v_and_b32_e32 v82, 3, v11
	s_delay_alu instid0(VALU_DEP_2) | instskip(SKIP_1) | instid1(SALU_CYCLE_1)
	v_cmp_ne_u32_e32 vcc_lo, 0x7c, v30
                                        ; implicit-def: $vgpr30
	s_and_saveexec_b32 s40, vcc_lo
	s_xor_b32 s40, exec_lo, s40
	s_cbranch_execz .LBB2_4354
; %bb.4351:                             ;   in Loop: Header=BB2_4220 Depth=2
	v_bfe_u32 v30, v11, 2, 5
	s_mov_b32 s41, exec_lo
	s_delay_alu instid0(VALU_DEP_1)
	v_cmpx_eq_u32_e32 0, v30
; %bb.4352:                             ;   in Loop: Header=BB2_4220 Depth=2
	v_clz_i32_u32_e32 v30, v82
	s_delay_alu instid0(VALU_DEP_1) | instskip(NEXT) | instid1(VALU_DEP_1)
	v_min_u32_e32 v30, 32, v30
	v_subrev_nc_u32_e32 v82, 29, v30
	v_sub_nc_u32_e32 v30, 30, v30
	s_delay_alu instid0(VALU_DEP_2) | instskip(NEXT) | instid1(VALU_DEP_1)
	v_lshlrev_b64_e32 v[82:83], v82, v[32:33]
	v_and_b32_e32 v82, 3, v82
; %bb.4353:                             ;   in Loop: Header=BB2_4220 Depth=2
	s_or_b32 exec_lo, exec_lo, s41
	v_lshlrev_b32_e32 v83, 24, v11
	s_delay_alu instid0(VALU_DEP_1) | instskip(NEXT) | instid1(VALU_DEP_1)
	v_and_b32_e32 v83, 0x80000000, v83
	v_lshl_add_u32 v30, v30, 23, v83
	s_delay_alu instid0(VALU_DEP_1) | instskip(NEXT) | instid1(VALU_DEP_1)
	v_lshl_or_b32 v30, v82, 21, v30
                                        ; implicit-def: $vgpr82
	v_add_nc_u32_e32 v30, 0x38000000, v30
.LBB2_4354:                             ;   in Loop: Header=BB2_4220 Depth=2
	s_and_not1_saveexec_b32 s40, s40
; %bb.4355:                             ;   in Loop: Header=BB2_4220 Depth=2
	v_bfe_i32 v30, v11, 0, 8
	s_delay_alu instid0(VALU_DEP_1) | instskip(SKIP_2) | instid1(VALU_DEP_2)
	v_cmp_lt_i16_e32 vcc_lo, -1, v30
	v_cndmask_b32_e32 v30, 0xff800000, v45, vcc_lo
	v_cmp_eq_u32_e32 vcc_lo, 0, v82
	v_cndmask_b32_e32 v30, 0x7f800001, v30, vcc_lo
; %bb.4356:                             ;   in Loop: Header=BB2_4220 Depth=2
	s_or_b32 exec_lo, exec_lo, s40
.LBB2_4357:                             ;   in Loop: Header=BB2_4220 Depth=2
	s_delay_alu instid0(SALU_CYCLE_1)
	s_or_b32 exec_lo, exec_lo, s29
.LBB2_4358:                             ;   in Loop: Header=BB2_4220 Depth=2
	s_delay_alu instid0(SALU_CYCLE_1) | instskip(NEXT) | instid1(VALU_DEP_1)
	s_or_b32 exec_lo, exec_lo, s7
	v_dual_mul_f32 v84, s28, v30 :: v_dual_mov_b32 v103, v33
	v_mov_b32_e32 v83, v33
                                        ; implicit-def: $vgpr86
	s_mov_b32 s7, exec_lo
	s_delay_alu instid0(VALU_DEP_2) | instskip(SKIP_2) | instid1(VALU_DEP_3)
	v_and_b32_e32 v102, 0x7f800000, v84
	v_and_b32_e32 v82, 0x7fffff, v84
	v_lshrrev_b32_e32 v30, 24, v84
	v_cmpx_ne_u64_e32 0x7f800000, v[102:103]
	s_xor_b32 s29, exec_lo, s7
	s_cbranch_execz .LBB2_4372
; %bb.4359:                             ;   in Loop: Header=BB2_4220 Depth=2
	v_and_b32_e32 v102, 0x7fffffff, v84
	v_mov_b32_e32 v103, v33
	v_and_b32_e32 v30, 0x80, v30
                                        ; implicit-def: $vgpr86
	s_mov_b32 s7, exec_lo
	s_delay_alu instid0(VALU_DEP_2)
	v_cmpx_gt_u64_e32 0x47600001, v[102:103]
	s_xor_b32 s40, exec_lo, s7
	s_cbranch_execz .LBB2_4369
; %bb.4360:                             ;   in Loop: Header=BB2_4220 Depth=2
	v_mov_b32_e32 v86, 0
	s_mov_b32 s41, exec_lo
	v_cmpx_ne_u32_e32 0, v84
	s_cbranch_execz .LBB2_4368
; %bb.4361:                             ;   in Loop: Header=BB2_4220 Depth=2
	v_bfe_u32 v86, v84, 23, 8
	v_or_b32_e32 v102, 0x800000, v82
	s_delay_alu instid0(VALU_DEP_2) | instskip(SKIP_1) | instid1(VALU_DEP_2)
	v_sub_nc_u32_e32 v84, 0x71, v86
	v_cmp_gt_u32_e32 vcc_lo, 0x72, v86
	v_cndmask_b32_e32 v84, 0, v84, vcc_lo
	v_cmp_eq_u32_e32 vcc_lo, 0, v86
	v_cndmask_b32_e32 v82, v102, v82, vcc_lo
	s_delay_alu instid0(VALU_DEP_3) | instskip(NEXT) | instid1(VALU_DEP_1)
	v_cndmask_b32_e64 v100, v84, 0x70, vcc_lo
	v_dual_add_nc_u32 v84, 21, v100 :: v_dual_add_nc_u32 v103, 20, v100
	s_delay_alu instid0(VALU_DEP_1) | instskip(NEXT) | instid1(VALU_DEP_2)
	v_lshlrev_b64_e64 v[84:85], v84, -1
	v_lshlrev_b64_e64 v[102:103], v103, 1
	s_delay_alu instid0(VALU_DEP_2) | instskip(SKIP_1) | instid1(VALU_DEP_4)
	v_bfi_b32 v84, v84, 0, v82
	v_lshrrev_b64 v[82:83], v100, v[82:83]
	v_bfi_b32 v85, v85, 0, 0
	s_delay_alu instid0(VALU_DEP_1) | instskip(NEXT) | instid1(VALU_DEP_3)
	v_cmp_eq_u64_e64 s7, v[84:85], v[102:103]
	v_mov_b64_e32 v[84:85], v[82:83]
	s_and_saveexec_b32 s42, s7
; %bb.4362:                             ;   in Loop: Header=BB2_4220 Depth=2
	v_bfe_u32 v84, v82, 21, 1
	v_mov_b32_e32 v85, v33
	s_delay_alu instid0(VALU_DEP_1) | instskip(NEXT) | instid1(VALU_DEP_1)
	v_add_nc_u64_e32 v[84:85], v[82:83], v[84:85]
	v_add_nc_u64_e32 v[84:85], -1, v[84:85]
; %bb.4363:                             ;   in Loop: Header=BB2_4220 Depth=2
	s_or_b32 exec_lo, exec_lo, s42
	v_add_nc_u32_e32 v83, 0xffffff81, v86
	v_lshrrev_b32_e32 v85, 23, v82
	s_mov_b32 s7, exec_lo
	s_delay_alu instid0(VALU_DEP_2) | instskip(NEXT) | instid1(VALU_DEP_1)
	v_cndmask_b32_e64 v83, v83, 0xffffff82, vcc_lo
	v_add3_u32 v85, v100, v83, v85
	v_and_b32_e32 v83, 0x1fffff, v84
                                        ; implicit-def: $vgpr84
	s_delay_alu instid0(VALU_DEP_1) | instskip(SKIP_1) | instid1(VALU_DEP_2)
	v_dual_add_nc_u32 v86, 14, v85 :: v_dual_add_nc_u32 v82, v83, v82
	v_mov_b32_e32 v83, v33
	v_cmpx_ne_u32_e32 0, v86
	s_xor_b32 s7, exec_lo, s7
; %bb.4364:                             ;   in Loop: Header=BB2_4220 Depth=2
	s_delay_alu instid0(VALU_DEP_2) | instskip(SKIP_2) | instid1(VALU_DEP_2)
	v_cmp_lt_u64_e32 vcc_lo, 0xffffff, v[82:83]
	v_add_nc_u32_e32 v84, 15, v85
	v_cndmask_b32_e64 v85, 0, 1, vcc_lo
	v_cndmask_b32_e32 v84, v86, v84, vcc_lo
	s_delay_alu instid0(VALU_DEP_2)
	v_lshrrev_b64 v[82:83], v85, v[82:83]
; %bb.4365:                             ;   in Loop: Header=BB2_4220 Depth=2
	s_and_not1_saveexec_b32 s7, s7
; %bb.4366:                             ;   in Loop: Header=BB2_4220 Depth=2
	s_delay_alu instid0(VALU_DEP_1)
	v_bfe_u32 v84, v82, 23, 1
; %bb.4367:                             ;   in Loop: Header=BB2_4220 Depth=2
	s_or_b32 exec_lo, exec_lo, s7
	s_delay_alu instid0(VALU_DEP_2) | instskip(NEXT) | instid1(VALU_DEP_2)
	v_lshrrev_b64 v[82:83], 21, v[82:83]
	v_cmp_gt_i32_e32 vcc_lo, 32, v84
	v_min_i32_e32 v85, 31, v84
	v_cmp_eq_u32_e64 s7, 0, v84
	s_delay_alu instid0(VALU_DEP_2) | instskip(SKIP_1) | instid1(VALU_DEP_2)
	v_dual_cndmask_b32 v83, 0, v83, vcc_lo :: v_dual_lshlrev_b32 v85, 2, v85
	v_cndmask_b32_e32 v82, 3, v82, vcc_lo
	v_and_b32_e32 v85, 0xfc, v85
	s_delay_alu instid0(VALU_DEP_2) | instskip(NEXT) | instid1(VALU_DEP_2)
	v_cmp_eq_u64_e32 vcc_lo, 0, v[82:83]
	v_and_or_b32 v82, v82, 3, v85
	s_and_b32 s7, s7, vcc_lo
	s_delay_alu instid0(VALU_DEP_1) | instid1(SALU_CYCLE_1)
	v_cndmask_b32_e64 v82, v82, 0, s7
	s_delay_alu instid0(VALU_DEP_1)
	v_or_b32_e32 v86, v82, v30
.LBB2_4368:                             ;   in Loop: Header=BB2_4220 Depth=2
	s_or_b32 exec_lo, exec_lo, s41
                                        ; implicit-def: $vgpr30
.LBB2_4369:                             ;   in Loop: Header=BB2_4220 Depth=2
	s_and_not1_saveexec_b32 s7, s40
; %bb.4370:                             ;   in Loop: Header=BB2_4220 Depth=2
	v_or_b32_e32 v86, 0x7b, v30
; %bb.4371:                             ;   in Loop: Header=BB2_4220 Depth=2
	s_or_b32 exec_lo, exec_lo, s7
                                        ; implicit-def: $vgpr84
                                        ; implicit-def: $vgpr82_vgpr83
                                        ; implicit-def: $vgpr30
.LBB2_4372:                             ;   in Loop: Header=BB2_4220 Depth=2
	s_and_not1_saveexec_b32 s7, s29
	s_cbranch_execz .LBB2_4378
; %bb.4373:                             ;   in Loop: Header=BB2_4220 Depth=2
	s_mov_b32 s29, exec_lo
                                        ; implicit-def: $vgpr86
	v_cmpx_ne_u64_e32 0, v[82:83]
	s_xor_b32 s29, exec_lo, s29
; %bb.4374:                             ;   in Loop: Header=BB2_4220 Depth=2
	v_or_b32_e32 v86, 0x7f, v30
                                        ; implicit-def: $vgpr84
; %bb.4375:                             ;   in Loop: Header=BB2_4220 Depth=2
	s_and_not1_saveexec_b32 s29, s29
; %bb.4376:                             ;   in Loop: Header=BB2_4220 Depth=2
	v_cmp_lt_i32_e32 vcc_lo, -1, v84
	v_cndmask_b32_e32 v86, 0xfc, v46, vcc_lo
; %bb.4377:                             ;   in Loop: Header=BB2_4220 Depth=2
	s_or_b32 exec_lo, exec_lo, s29
.LBB2_4378:                             ;   in Loop: Header=BB2_4220 Depth=2
	s_delay_alu instid0(SALU_CYCLE_1) | instskip(SKIP_3) | instid1(VALU_DEP_2)
	s_or_b32 exec_lo, exec_lo, s7
	v_lshrrev_b16 v82, 8, v32
	v_mov_b32_e32 v83, 0
	s_mov_b32 s7, exec_lo
	v_cmpx_ne_u16_e32 0, v82
	s_cbranch_execz .LBB2_4388
; %bb.4379:                             ;   in Loop: Header=BB2_4220 Depth=2
	v_bfrev_b32_e32 v83, 1
	s_mov_b32 s29, exec_lo
	v_cmpx_ne_u16_e32 0x80, v82
	s_cbranch_execz .LBB2_4387
; %bb.4380:                             ;   in Loop: Header=BB2_4220 Depth=2
	v_and_b32_e32 v84, 0xffff, v82
	s_delay_alu instid0(VALU_DEP_1) | instskip(SKIP_1) | instid1(VALU_DEP_2)
	v_and_b32_e32 v83, 0x7c, v84
	v_and_b32_e32 v30, 3, v84
	v_cmp_ne_u32_e32 vcc_lo, 0x7c, v83
                                        ; implicit-def: $vgpr83
	s_and_saveexec_b32 s40, vcc_lo
	s_delay_alu instid0(SALU_CYCLE_1)
	s_xor_b32 s40, exec_lo, s40
	s_cbranch_execz .LBB2_4384
; %bb.4381:                             ;   in Loop: Header=BB2_4220 Depth=2
	v_bfe_u32 v83, v84, 2, 5
	s_mov_b32 s41, exec_lo
	s_delay_alu instid0(VALU_DEP_1)
	v_cmpx_eq_u32_e32 0, v83
	s_cbranch_execz .LBB2_4383
; %bb.4382:                             ;   in Loop: Header=BB2_4220 Depth=2
	v_clz_i32_u32_e32 v30, v30
	v_mov_b32_e32 v83, v33
	s_delay_alu instid0(VALU_DEP_2) | instskip(NEXT) | instid1(VALU_DEP_1)
	v_min_u32_e32 v30, 32, v30
	v_subrev_nc_u32_e32 v84, 29, v30
	s_delay_alu instid0(VALU_DEP_1) | instskip(SKIP_1) | instid1(VALU_DEP_2)
	v_lshlrev_b64_e32 v[82:83], v84, v[82:83]
	v_sub_nc_u32_e32 v83, 30, v30
	v_and_b32_e32 v30, 3, v82
.LBB2_4383:                             ;   in Loop: Header=BB2_4220 Depth=2
	s_or_b32 exec_lo, exec_lo, s41
	v_lshlrev_b32_e32 v32, 16, v32
	s_delay_alu instid0(VALU_DEP_1) | instskip(NEXT) | instid1(VALU_DEP_1)
	v_and_b32_e32 v32, 0x80000000, v32
	v_lshl_add_u32 v32, v83, 23, v32
	s_delay_alu instid0(VALU_DEP_1) | instskip(NEXT) | instid1(VALU_DEP_1)
	v_lshl_or_b32 v30, v30, 21, v32
	v_add_nc_u32_e32 v83, 0x38000000, v30
                                        ; implicit-def: $vgpr30
.LBB2_4384:                             ;   in Loop: Header=BB2_4220 Depth=2
	s_and_not1_saveexec_b32 s40, s40
; %bb.4385:                             ;   in Loop: Header=BB2_4220 Depth=2
	v_cmp_lt_i16_e32 vcc_lo, -1, v32
	v_cndmask_b32_e32 v32, 0xff800000, v45, vcc_lo
	v_cmp_eq_u32_e32 vcc_lo, 0, v30
	s_delay_alu instid0(VALU_DEP_2)
	v_cndmask_b32_e32 v83, 0x7f800001, v32, vcc_lo
; %bb.4386:                             ;   in Loop: Header=BB2_4220 Depth=2
	s_or_b32 exec_lo, exec_lo, s40
.LBB2_4387:                             ;   in Loop: Header=BB2_4220 Depth=2
	s_delay_alu instid0(SALU_CYCLE_1)
	s_or_b32 exec_lo, exec_lo, s29
.LBB2_4388:                             ;   in Loop: Header=BB2_4220 Depth=2
	s_delay_alu instid0(SALU_CYCLE_1) | instskip(NEXT) | instid1(VALU_DEP_1)
	s_or_b32 exec_lo, exec_lo, s7
	v_dual_mul_f32 v82, s28, v83 :: v_dual_mov_b32 v85, v33
                                        ; implicit-def: $vgpr118
	s_mov_b32 s7, exec_lo
	s_delay_alu instid0(VALU_DEP_1) | instskip(SKIP_2) | instid1(VALU_DEP_3)
	v_and_b32_e32 v84, 0x7f800000, v82
	v_and_b32_e32 v32, 0x7fffff, v82
	v_lshrrev_b32_e32 v30, 24, v82
	v_cmpx_ne_u64_e32 0x7f800000, v[84:85]
	s_xor_b32 s29, exec_lo, s7
	s_cbranch_execz .LBB2_4402
; %bb.4389:                             ;   in Loop: Header=BB2_4220 Depth=2
	v_and_b32_e32 v84, 0x7fffffff, v82
	v_mov_b32_e32 v85, v33
	v_and_b32_e32 v30, 0x80, v30
                                        ; implicit-def: $vgpr118
	s_mov_b32 s7, exec_lo
	s_delay_alu instid0(VALU_DEP_2)
	v_cmpx_gt_u64_e32 0x47600001, v[84:85]
	s_xor_b32 s40, exec_lo, s7
	s_cbranch_execz .LBB2_4399
; %bb.4390:                             ;   in Loop: Header=BB2_4220 Depth=2
	v_mov_b32_e32 v118, 0
	s_mov_b32 s41, exec_lo
	v_cmpx_ne_u32_e32 0, v82
	s_cbranch_execz .LBB2_4398
; %bb.4391:                             ;   in Loop: Header=BB2_4220 Depth=2
	v_bfe_u32 v100, v82, 23, 8
	v_or_b32_e32 v84, 0x800000, v32
	s_delay_alu instid0(VALU_DEP_2) | instskip(SKIP_1) | instid1(VALU_DEP_2)
	v_sub_nc_u32_e32 v82, 0x71, v100
	v_cmp_gt_u32_e32 vcc_lo, 0x72, v100
	v_cndmask_b32_e32 v82, 0, v82, vcc_lo
	v_cmp_eq_u32_e32 vcc_lo, 0, v100
	v_cndmask_b32_e32 v32, v84, v32, vcc_lo
	s_delay_alu instid0(VALU_DEP_3) | instskip(NEXT) | instid1(VALU_DEP_1)
	v_cndmask_b32_e64 v102, v82, 0x70, vcc_lo
	v_dual_add_nc_u32 v82, 21, v102 :: v_dual_add_nc_u32 v85, 20, v102
	s_delay_alu instid0(VALU_DEP_1) | instskip(NEXT) | instid1(VALU_DEP_2)
	v_lshlrev_b64_e64 v[82:83], v82, -1
	v_lshlrev_b64_e64 v[84:85], v85, 1
	s_delay_alu instid0(VALU_DEP_2) | instskip(NEXT) | instid1(VALU_DEP_3)
	v_bfi_b32 v115, v83, 0, 0
	v_bfi_b32 v114, v82, 0, v32
	v_lshrrev_b64 v[82:83], v102, v[32:33]
	s_delay_alu instid0(VALU_DEP_2) | instskip(NEXT) | instid1(VALU_DEP_2)
	v_cmp_eq_u64_e64 s7, v[114:115], v[84:85]
	v_mov_b64_e32 v[84:85], v[82:83]
	s_and_saveexec_b32 s42, s7
; %bb.4392:                             ;   in Loop: Header=BB2_4220 Depth=2
	v_bfe_u32 v32, v82, 21, 1
	s_delay_alu instid0(VALU_DEP_1) | instskip(NEXT) | instid1(VALU_DEP_1)
	v_add_nc_u64_e32 v[84:85], v[82:83], v[32:33]
	v_add_nc_u64_e32 v[84:85], -1, v[84:85]
; %bb.4393:                             ;   in Loop: Header=BB2_4220 Depth=2
	s_or_b32 exec_lo, exec_lo, s42
	v_add_nc_u32_e32 v32, 0xffffff81, v100
	v_lshrrev_b32_e32 v83, 23, v82
	s_mov_b32 s7, exec_lo
	s_delay_alu instid0(VALU_DEP_2) | instskip(NEXT) | instid1(VALU_DEP_1)
	v_cndmask_b32_e64 v32, v32, 0xffffff82, vcc_lo
	v_add3_u32 v85, v102, v32, v83
	v_and_b32_e32 v32, 0x1fffff, v84
                                        ; implicit-def: $vgpr84
	s_delay_alu instid0(VALU_DEP_1) | instskip(NEXT) | instid1(VALU_DEP_1)
	v_dual_add_nc_u32 v100, 14, v85 :: v_dual_add_nc_u32 v32, v32, v82
                                        ; implicit-def: $vgpr82_vgpr83
	v_cmpx_ne_u32_e32 0, v100
	s_xor_b32 s7, exec_lo, s7
; %bb.4394:                             ;   in Loop: Header=BB2_4220 Depth=2
	s_delay_alu instid0(VALU_DEP_2) | instskip(SKIP_1) | instid1(VALU_DEP_1)
	v_cmp_lt_u64_e32 vcc_lo, 0xffffff, v[32:33]
	v_add_nc_u32_e32 v82, 15, v85
	v_cndmask_b32_e32 v84, v100, v82, vcc_lo
	v_cndmask_b32_e64 v82, 0, 1, vcc_lo
	s_delay_alu instid0(VALU_DEP_1)
	v_lshrrev_b64 v[82:83], v82, v[32:33]
; %bb.4395:                             ;   in Loop: Header=BB2_4220 Depth=2
	s_and_not1_saveexec_b32 s7, s7
; %bb.4396:                             ;   in Loop: Header=BB2_4220 Depth=2
	v_mov_b64_e32 v[82:83], v[32:33]
	v_bfe_u32 v84, v32, 23, 1
; %bb.4397:                             ;   in Loop: Header=BB2_4220 Depth=2
	s_or_b32 exec_lo, exec_lo, s7
	s_delay_alu instid0(VALU_DEP_2) | instskip(NEXT) | instid1(VALU_DEP_2)
	v_lshrrev_b64 v[82:83], 21, v[82:83]
	v_cmp_gt_i32_e32 vcc_lo, 32, v84
	v_min_i32_e32 v32, 31, v84
	v_cmp_eq_u32_e64 s7, 0, v84
	s_delay_alu instid0(VALU_DEP_2) | instskip(SKIP_1) | instid1(VALU_DEP_2)
	v_dual_cndmask_b32 v83, 0, v83 :: v_dual_lshlrev_b32 v32, 2, v32
	v_cndmask_b32_e32 v82, 3, v82, vcc_lo
	v_and_b32_e32 v32, 0xfc, v32
	s_delay_alu instid0(VALU_DEP_2) | instskip(NEXT) | instid1(VALU_DEP_2)
	v_cmp_eq_u64_e32 vcc_lo, 0, v[82:83]
	v_and_or_b32 v32, v82, 3, v32
	s_and_b32 s7, s7, vcc_lo
	s_delay_alu instid0(VALU_DEP_1) | instid1(SALU_CYCLE_1)
	v_cndmask_b32_e64 v32, v32, 0, s7
	s_delay_alu instid0(VALU_DEP_1)
	v_or_b32_e32 v118, v32, v30
.LBB2_4398:                             ;   in Loop: Header=BB2_4220 Depth=2
	s_or_b32 exec_lo, exec_lo, s41
                                        ; implicit-def: $vgpr30
.LBB2_4399:                             ;   in Loop: Header=BB2_4220 Depth=2
	s_and_not1_saveexec_b32 s7, s40
; %bb.4400:                             ;   in Loop: Header=BB2_4220 Depth=2
	v_or_b32_e32 v118, 0x7b, v30
; %bb.4401:                             ;   in Loop: Header=BB2_4220 Depth=2
	s_or_b32 exec_lo, exec_lo, s7
                                        ; implicit-def: $vgpr82
                                        ; implicit-def: $vgpr30
.LBB2_4402:                             ;   in Loop: Header=BB2_4220 Depth=2
	s_and_not1_saveexec_b32 s7, s29
	s_cbranch_execz .LBB2_4408
; %bb.4403:                             ;   in Loop: Header=BB2_4220 Depth=2
	s_mov_b32 s29, exec_lo
                                        ; implicit-def: $vgpr118
	v_cmpx_ne_u64_e32 0, v[32:33]
	s_xor_b32 s29, exec_lo, s29
; %bb.4404:                             ;   in Loop: Header=BB2_4220 Depth=2
	v_or_b32_e32 v118, 0x7f, v30
                                        ; implicit-def: $vgpr82
; %bb.4405:                             ;   in Loop: Header=BB2_4220 Depth=2
	s_and_not1_saveexec_b32 s29, s29
; %bb.4406:                             ;   in Loop: Header=BB2_4220 Depth=2
	v_cmp_lt_i32_e32 vcc_lo, -1, v82
	v_cndmask_b32_e32 v118, 0xfc, v46, vcc_lo
; %bb.4407:                             ;   in Loop: Header=BB2_4220 Depth=2
	s_or_b32 exec_lo, exec_lo, s29
.LBB2_4408:                             ;   in Loop: Header=BB2_4220 Depth=2
	s_delay_alu instid0(SALU_CYCLE_1) | instskip(SKIP_2) | instid1(VALU_DEP_1)
	s_or_b32 exec_lo, exec_lo, s7
	v_dual_lshrrev_b32 v30, 16, v11 :: v_dual_mov_b32 v32, 0
	s_mov_b32 s7, exec_lo
	v_and_b32_e32 v82, 0xff, v30
	s_delay_alu instid0(VALU_DEP_1)
	v_cmpx_ne_u16_e32 0, v82
	s_cbranch_execz .LBB2_4418
; %bb.4409:                             ;   in Loop: Header=BB2_4220 Depth=2
	v_bfrev_b32_e32 v32, 1
	s_mov_b32 s29, exec_lo
	v_cmpx_ne_u16_e32 0x80, v82
	s_cbranch_execz .LBB2_4417
; %bb.4410:                             ;   in Loop: Header=BB2_4220 Depth=2
	v_and_b32_e32 v32, 0x7c0000, v11
	v_bfe_u32 v82, v11, 16, 2
	s_delay_alu instid0(VALU_DEP_2) | instskip(SKIP_1) | instid1(SALU_CYCLE_1)
	v_cmp_ne_u32_e32 vcc_lo, 0x7c0000, v32
                                        ; implicit-def: $vgpr32
	s_and_saveexec_b32 s40, vcc_lo
	s_xor_b32 s40, exec_lo, s40
	s_cbranch_execz .LBB2_4414
; %bb.4411:                             ;   in Loop: Header=BB2_4220 Depth=2
	v_bfe_u32 v32, v11, 18, 5
	s_mov_b32 s41, exec_lo
	s_delay_alu instid0(VALU_DEP_1)
	v_cmpx_eq_u32_e32 0, v32
; %bb.4412:                             ;   in Loop: Header=BB2_4220 Depth=2
	v_clz_i32_u32_e32 v32, v82
	s_delay_alu instid0(VALU_DEP_1) | instskip(NEXT) | instid1(VALU_DEP_1)
	v_min_u32_e32 v32, 32, v32
	v_subrev_nc_u32_e32 v82, 29, v32
	s_delay_alu instid0(VALU_DEP_1) | instskip(NEXT) | instid1(VALU_DEP_1)
	v_lshlrev_b64_e32 v[82:83], v82, v[30:31]
	v_dual_sub_nc_u32 v32, 30, v32 :: v_dual_bitop2_b32 v82, 3, v82 bitop3:0x40
; %bb.4413:                             ;   in Loop: Header=BB2_4220 Depth=2
	s_or_b32 exec_lo, exec_lo, s41
	v_lshlrev_b32_e32 v30, 24, v30
	s_delay_alu instid0(VALU_DEP_1) | instskip(NEXT) | instid1(VALU_DEP_1)
	v_and_b32_e32 v30, 0x80000000, v30
	v_lshl_add_u32 v30, v32, 23, v30
	s_delay_alu instid0(VALU_DEP_1) | instskip(NEXT) | instid1(VALU_DEP_1)
	v_lshl_or_b32 v30, v82, 21, v30
                                        ; implicit-def: $vgpr82
	v_add_nc_u32_e32 v32, 0x38000000, v30
                                        ; implicit-def: $vgpr30
.LBB2_4414:                             ;   in Loop: Header=BB2_4220 Depth=2
	s_and_not1_saveexec_b32 s40, s40
; %bb.4415:                             ;   in Loop: Header=BB2_4220 Depth=2
	v_bfe_i32 v30, v30, 0, 8
	s_delay_alu instid0(VALU_DEP_1) | instskip(SKIP_2) | instid1(VALU_DEP_2)
	v_cmp_lt_i16_e32 vcc_lo, -1, v30
	v_cndmask_b32_e32 v30, 0xff800000, v45, vcc_lo
	v_cmp_eq_u32_e32 vcc_lo, 0, v82
	v_cndmask_b32_e32 v32, 0x7f800001, v30, vcc_lo
; %bb.4416:                             ;   in Loop: Header=BB2_4220 Depth=2
	s_or_b32 exec_lo, exec_lo, s40
.LBB2_4417:                             ;   in Loop: Header=BB2_4220 Depth=2
	s_delay_alu instid0(SALU_CYCLE_1)
	s_or_b32 exec_lo, exec_lo, s29
.LBB2_4418:                             ;   in Loop: Header=BB2_4220 Depth=2
	s_delay_alu instid0(SALU_CYCLE_1) | instskip(NEXT) | instid1(VALU_DEP_1)
	s_or_b32 exec_lo, exec_lo, s7
	v_dual_mul_f32 v82, s28, v32 :: v_dual_mov_b32 v85, v33
                                        ; implicit-def: $vgpr40
	s_mov_b32 s7, exec_lo
	s_delay_alu instid0(VALU_DEP_1) | instskip(SKIP_2) | instid1(VALU_DEP_3)
	v_and_b32_e32 v84, 0x7f800000, v82
	v_and_b32_e32 v32, 0x7fffff, v82
	v_lshrrev_b32_e32 v30, 24, v82
	v_cmpx_ne_u64_e32 0x7f800000, v[84:85]
	s_xor_b32 s29, exec_lo, s7
	s_cbranch_execz .LBB2_4432
; %bb.4419:                             ;   in Loop: Header=BB2_4220 Depth=2
	v_and_b32_e32 v84, 0x7fffffff, v82
	v_mov_b32_e32 v85, v33
	v_and_b32_e32 v30, 0x80, v30
                                        ; implicit-def: $vgpr40
	s_mov_b32 s7, exec_lo
	s_delay_alu instid0(VALU_DEP_2)
	v_cmpx_gt_u64_e32 0x47600001, v[84:85]
	s_xor_b32 s40, exec_lo, s7
	s_cbranch_execz .LBB2_4429
; %bb.4420:                             ;   in Loop: Header=BB2_4220 Depth=2
	v_mov_b32_e32 v40, 0
	s_mov_b32 s41, exec_lo
	v_cmpx_ne_u32_e32 0, v82
	s_cbranch_execz .LBB2_4428
; %bb.4421:                             ;   in Loop: Header=BB2_4220 Depth=2
	v_bfe_u32 v100, v82, 23, 8
	v_or_b32_e32 v84, 0x800000, v32
	s_delay_alu instid0(VALU_DEP_2) | instskip(SKIP_1) | instid1(VALU_DEP_2)
	v_sub_nc_u32_e32 v82, 0x71, v100
	v_cmp_gt_u32_e32 vcc_lo, 0x72, v100
	v_cndmask_b32_e32 v82, 0, v82, vcc_lo
	v_cmp_eq_u32_e32 vcc_lo, 0, v100
	v_cndmask_b32_e32 v32, v84, v32, vcc_lo
	s_delay_alu instid0(VALU_DEP_3) | instskip(NEXT) | instid1(VALU_DEP_1)
	v_cndmask_b32_e64 v102, v82, 0x70, vcc_lo
	v_dual_add_nc_u32 v82, 21, v102 :: v_dual_add_nc_u32 v85, 20, v102
	s_delay_alu instid0(VALU_DEP_1) | instskip(NEXT) | instid1(VALU_DEP_2)
	v_lshlrev_b64_e64 v[82:83], v82, -1
	v_lshlrev_b64_e64 v[84:85], v85, 1
	s_delay_alu instid0(VALU_DEP_2) | instskip(NEXT) | instid1(VALU_DEP_3)
	v_bfi_b32 v115, v83, 0, 0
	v_bfi_b32 v114, v82, 0, v32
	v_lshrrev_b64 v[82:83], v102, v[32:33]
	s_delay_alu instid0(VALU_DEP_2) | instskip(NEXT) | instid1(VALU_DEP_2)
	v_cmp_eq_u64_e64 s7, v[114:115], v[84:85]
	v_mov_b64_e32 v[84:85], v[82:83]
	s_and_saveexec_b32 s42, s7
; %bb.4422:                             ;   in Loop: Header=BB2_4220 Depth=2
	v_bfe_u32 v32, v82, 21, 1
	s_delay_alu instid0(VALU_DEP_1) | instskip(NEXT) | instid1(VALU_DEP_1)
	v_add_nc_u64_e32 v[84:85], v[82:83], v[32:33]
	v_add_nc_u64_e32 v[84:85], -1, v[84:85]
; %bb.4423:                             ;   in Loop: Header=BB2_4220 Depth=2
	s_or_b32 exec_lo, exec_lo, s42
	v_add_nc_u32_e32 v32, 0xffffff81, v100
	v_lshrrev_b32_e32 v83, 23, v82
	s_mov_b32 s7, exec_lo
	s_delay_alu instid0(VALU_DEP_2) | instskip(NEXT) | instid1(VALU_DEP_1)
	v_cndmask_b32_e64 v32, v32, 0xffffff82, vcc_lo
	v_add3_u32 v85, v102, v32, v83
	v_and_b32_e32 v32, 0x1fffff, v84
                                        ; implicit-def: $vgpr84
	s_delay_alu instid0(VALU_DEP_1) | instskip(NEXT) | instid1(VALU_DEP_1)
	v_dual_add_nc_u32 v100, 14, v85 :: v_dual_add_nc_u32 v32, v32, v82
                                        ; implicit-def: $vgpr82_vgpr83
	v_cmpx_ne_u32_e32 0, v100
	s_xor_b32 s7, exec_lo, s7
; %bb.4424:                             ;   in Loop: Header=BB2_4220 Depth=2
	s_delay_alu instid0(VALU_DEP_2) | instskip(SKIP_1) | instid1(VALU_DEP_1)
	v_cmp_lt_u64_e32 vcc_lo, 0xffffff, v[32:33]
	v_add_nc_u32_e32 v82, 15, v85
	v_cndmask_b32_e32 v84, v100, v82, vcc_lo
	v_cndmask_b32_e64 v82, 0, 1, vcc_lo
	s_delay_alu instid0(VALU_DEP_1)
	v_lshrrev_b64 v[82:83], v82, v[32:33]
; %bb.4425:                             ;   in Loop: Header=BB2_4220 Depth=2
	s_and_not1_saveexec_b32 s7, s7
; %bb.4426:                             ;   in Loop: Header=BB2_4220 Depth=2
	v_mov_b64_e32 v[82:83], v[32:33]
	v_bfe_u32 v84, v32, 23, 1
; %bb.4427:                             ;   in Loop: Header=BB2_4220 Depth=2
	s_or_b32 exec_lo, exec_lo, s7
	s_delay_alu instid0(VALU_DEP_2) | instskip(NEXT) | instid1(VALU_DEP_2)
	v_lshrrev_b64 v[82:83], 21, v[82:83]
	v_cmp_gt_i32_e32 vcc_lo, 32, v84
	v_min_i32_e32 v32, 31, v84
	v_cmp_eq_u32_e64 s7, 0, v84
	s_delay_alu instid0(VALU_DEP_2) | instskip(SKIP_1) | instid1(VALU_DEP_2)
	v_dual_cndmask_b32 v83, 0, v83 :: v_dual_lshlrev_b32 v32, 2, v32
	v_cndmask_b32_e32 v82, 3, v82, vcc_lo
	v_and_b32_e32 v32, 0xfc, v32
	s_delay_alu instid0(VALU_DEP_2) | instskip(NEXT) | instid1(VALU_DEP_2)
	v_cmp_eq_u64_e32 vcc_lo, 0, v[82:83]
	v_and_or_b32 v32, v82, 3, v32
	s_and_b32 s7, s7, vcc_lo
	s_delay_alu instid0(VALU_DEP_1) | instid1(SALU_CYCLE_1)
	v_cndmask_b32_e64 v32, v32, 0, s7
	s_delay_alu instid0(VALU_DEP_1)
	v_or_b32_e32 v40, v32, v30
.LBB2_4428:                             ;   in Loop: Header=BB2_4220 Depth=2
	s_or_b32 exec_lo, exec_lo, s41
                                        ; implicit-def: $vgpr30
.LBB2_4429:                             ;   in Loop: Header=BB2_4220 Depth=2
	s_and_not1_saveexec_b32 s7, s40
; %bb.4430:                             ;   in Loop: Header=BB2_4220 Depth=2
	v_or_b32_e32 v40, 0x7b, v30
; %bb.4431:                             ;   in Loop: Header=BB2_4220 Depth=2
	s_or_b32 exec_lo, exec_lo, s7
                                        ; implicit-def: $vgpr82
                                        ; implicit-def: $vgpr30
.LBB2_4432:                             ;   in Loop: Header=BB2_4220 Depth=2
	s_and_not1_saveexec_b32 s7, s29
	s_cbranch_execz .LBB2_4438
; %bb.4433:                             ;   in Loop: Header=BB2_4220 Depth=2
	s_mov_b32 s29, exec_lo
                                        ; implicit-def: $vgpr40
	v_cmpx_ne_u64_e32 0, v[32:33]
	s_xor_b32 s29, exec_lo, s29
; %bb.4434:                             ;   in Loop: Header=BB2_4220 Depth=2
	v_or_b32_e32 v40, 0x7f, v30
                                        ; implicit-def: $vgpr82
; %bb.4435:                             ;   in Loop: Header=BB2_4220 Depth=2
	s_and_not1_saveexec_b32 s29, s29
; %bb.4436:                             ;   in Loop: Header=BB2_4220 Depth=2
	v_cmp_lt_i32_e32 vcc_lo, -1, v82
	v_cndmask_b32_e32 v40, 0xfc, v46, vcc_lo
; %bb.4437:                             ;   in Loop: Header=BB2_4220 Depth=2
	s_or_b32 exec_lo, exec_lo, s29
.LBB2_4438:                             ;   in Loop: Header=BB2_4220 Depth=2
	s_delay_alu instid0(SALU_CYCLE_1)
	s_or_b32 exec_lo, exec_lo, s7
	v_mov_b32_e32 v32, 0
	s_mov_b32 s7, exec_lo
	v_cmpx_lt_u64_e64 s[12:13], v[10:11]
	s_cbranch_execz .LBB2_4448
; %bb.4439:                             ;   in Loop: Header=BB2_4220 Depth=2
	v_lshrrev_b32_e32 v30, 24, v11
	v_bfrev_b32_e32 v32, 1
	s_mov_b32 s29, exec_lo
	s_delay_alu instid0(VALU_DEP_2)
	v_cmpx_ne_u32_e32 0x80, v30
	s_cbranch_execz .LBB2_4447
; %bb.4440:                             ;   in Loop: Header=BB2_4220 Depth=2
	v_and_b32_e32 v32, 0x7c000000, v11
	v_bfe_u32 v82, v11, 24, 2
	s_delay_alu instid0(VALU_DEP_2) | instskip(SKIP_1) | instid1(SALU_CYCLE_1)
	v_cmp_ne_u32_e32 vcc_lo, 0x7c000000, v32
                                        ; implicit-def: $vgpr32
	s_and_saveexec_b32 s40, vcc_lo
	s_xor_b32 s40, exec_lo, s40
	s_cbranch_execz .LBB2_4444
; %bb.4441:                             ;   in Loop: Header=BB2_4220 Depth=2
	v_bfe_u32 v32, v11, 26, 5
	s_mov_b32 s41, exec_lo
	s_delay_alu instid0(VALU_DEP_1)
	v_cmpx_eq_u32_e32 0, v32
; %bb.4442:                             ;   in Loop: Header=BB2_4220 Depth=2
	v_clz_i32_u32_e32 v32, v82
	s_delay_alu instid0(VALU_DEP_1) | instskip(NEXT) | instid1(VALU_DEP_1)
	v_min_u32_e32 v32, 32, v32
	v_subrev_nc_u32_e32 v82, 29, v32
	s_delay_alu instid0(VALU_DEP_1) | instskip(NEXT) | instid1(VALU_DEP_1)
	v_lshlrev_b64_e32 v[82:83], v82, v[30:31]
	v_dual_sub_nc_u32 v32, 30, v32 :: v_dual_bitop2_b32 v82, 3, v82 bitop3:0x40
; %bb.4443:                             ;   in Loop: Header=BB2_4220 Depth=2
	s_or_b32 exec_lo, exec_lo, s41
	v_and_b32_e32 v30, 0x80000000, v11
	s_delay_alu instid0(VALU_DEP_1) | instskip(NEXT) | instid1(VALU_DEP_1)
	v_lshl_add_u32 v30, v32, 23, v30
	v_lshl_or_b32 v30, v82, 21, v30
                                        ; implicit-def: $vgpr82
	s_delay_alu instid0(VALU_DEP_1)
	v_add_nc_u32_e32 v32, 0x38000000, v30
.LBB2_4444:                             ;   in Loop: Header=BB2_4220 Depth=2
	s_and_not1_saveexec_b32 s40, s40
; %bb.4445:                             ;   in Loop: Header=BB2_4220 Depth=2
	v_cmp_lt_i64_e32 vcc_lo, -1, v[10:11]
	v_cndmask_b32_e32 v10, 0xff800000, v45, vcc_lo
	v_cmp_eq_u32_e32 vcc_lo, 0, v82
	s_delay_alu instid0(VALU_DEP_2)
	v_cndmask_b32_e32 v32, 0x7f800001, v10, vcc_lo
; %bb.4446:                             ;   in Loop: Header=BB2_4220 Depth=2
	s_or_b32 exec_lo, exec_lo, s40
.LBB2_4447:                             ;   in Loop: Header=BB2_4220 Depth=2
	s_delay_alu instid0(SALU_CYCLE_1)
	s_or_b32 exec_lo, exec_lo, s29
.LBB2_4448:                             ;   in Loop: Header=BB2_4220 Depth=2
	s_delay_alu instid0(SALU_CYCLE_1) | instskip(NEXT) | instid1(VALU_DEP_1)
	s_or_b32 exec_lo, exec_lo, s7
	v_dual_mul_f32 v10, s28, v32 :: v_dual_mov_b32 v83, v33
                                        ; implicit-def: $vgpr41
	s_mov_b32 s7, exec_lo
	s_delay_alu instid0(VALU_DEP_1) | instskip(SKIP_2) | instid1(VALU_DEP_3)
	v_and_b32_e32 v82, 0x7f800000, v10
	v_and_b32_e32 v32, 0x7fffff, v10
	v_lshrrev_b32_e32 v11, 24, v10
	v_cmpx_ne_u64_e32 0x7f800000, v[82:83]
	s_xor_b32 s29, exec_lo, s7
	s_cbranch_execz .LBB2_4462
; %bb.4449:                             ;   in Loop: Header=BB2_4220 Depth=2
	v_and_b32_e32 v82, 0x7fffffff, v10
	v_mov_b32_e32 v83, v33
	v_and_b32_e32 v30, 0x80, v11
                                        ; implicit-def: $vgpr41
	s_mov_b32 s7, exec_lo
	s_delay_alu instid0(VALU_DEP_2)
	v_cmpx_gt_u64_e32 0x47600001, v[82:83]
	s_xor_b32 s40, exec_lo, s7
	s_cbranch_execz .LBB2_4459
; %bb.4450:                             ;   in Loop: Header=BB2_4220 Depth=2
	v_mov_b32_e32 v41, 0
	s_mov_b32 s41, exec_lo
	v_cmpx_ne_u32_e32 0, v10
	s_cbranch_execz .LBB2_4458
; %bb.4451:                             ;   in Loop: Header=BB2_4220 Depth=2
	v_bfe_u32 v84, v10, 23, 8
	v_or_b32_e32 v82, 0x800000, v32
	s_delay_alu instid0(VALU_DEP_2) | instskip(SKIP_1) | instid1(VALU_DEP_2)
	v_sub_nc_u32_e32 v10, 0x71, v84
	v_cmp_gt_u32_e32 vcc_lo, 0x72, v84
	v_cndmask_b32_e32 v10, 0, v10, vcc_lo
	v_cmp_eq_u32_e32 vcc_lo, 0, v84
	s_delay_alu instid0(VALU_DEP_2) | instskip(NEXT) | instid1(VALU_DEP_1)
	v_cndmask_b32_e64 v85, v10, 0x70, vcc_lo
	v_dual_cndmask_b32 v32, v82, v32, vcc_lo :: v_dual_add_nc_u32 v10, 21, v85
	v_add_nc_u32_e32 v83, 20, v85
	s_delay_alu instid0(VALU_DEP_2) | instskip(NEXT) | instid1(VALU_DEP_2)
	v_lshlrev_b64_e64 v[10:11], v10, -1
	v_lshlrev_b64_e64 v[82:83], v83, 1
	s_delay_alu instid0(VALU_DEP_2) | instskip(NEXT) | instid1(VALU_DEP_3)
	v_bfi_b32 v103, v11, 0, 0
	v_bfi_b32 v102, v10, 0, v32
	v_lshrrev_b64 v[10:11], v85, v[32:33]
	s_delay_alu instid0(VALU_DEP_2) | instskip(NEXT) | instid1(VALU_DEP_2)
	v_cmp_eq_u64_e64 s7, v[102:103], v[82:83]
	v_mov_b64_e32 v[82:83], v[10:11]
	s_and_saveexec_b32 s42, s7
; %bb.4452:                             ;   in Loop: Header=BB2_4220 Depth=2
	v_bfe_u32 v32, v10, 21, 1
	s_delay_alu instid0(VALU_DEP_1) | instskip(NEXT) | instid1(VALU_DEP_1)
	v_add_nc_u64_e32 v[82:83], v[10:11], v[32:33]
	v_add_nc_u64_e32 v[82:83], -1, v[82:83]
; %bb.4453:                             ;   in Loop: Header=BB2_4220 Depth=2
	s_or_b32 exec_lo, exec_lo, s42
	v_add_nc_u32_e32 v11, 0xffffff81, v84
	v_lshrrev_b32_e32 v32, 23, v10
	s_mov_b32 s7, exec_lo
	s_delay_alu instid0(VALU_DEP_2) | instskip(NEXT) | instid1(VALU_DEP_1)
	v_cndmask_b32_e64 v11, v11, 0xffffff82, vcc_lo
	v_add3_u32 v83, v85, v11, v32
	v_and_b32_e32 v11, 0x1fffff, v82
                                        ; implicit-def: $vgpr82
	s_delay_alu instid0(VALU_DEP_1) | instskip(NEXT) | instid1(VALU_DEP_1)
	v_dual_add_nc_u32 v84, 14, v83 :: v_dual_add_nc_u32 v32, v11, v10
                                        ; implicit-def: $vgpr10_vgpr11
	v_cmpx_ne_u32_e32 0, v84
	s_xor_b32 s7, exec_lo, s7
; %bb.4454:                             ;   in Loop: Header=BB2_4220 Depth=2
	s_delay_alu instid0(VALU_DEP_2) | instskip(SKIP_1) | instid1(VALU_DEP_1)
	v_cmp_lt_u64_e32 vcc_lo, 0xffffff, v[32:33]
	v_add_nc_u32_e32 v10, 15, v83
	v_cndmask_b32_e32 v82, v84, v10, vcc_lo
	v_cndmask_b32_e64 v10, 0, 1, vcc_lo
	s_delay_alu instid0(VALU_DEP_1)
	v_lshrrev_b64 v[10:11], v10, v[32:33]
; %bb.4455:                             ;   in Loop: Header=BB2_4220 Depth=2
	s_and_not1_saveexec_b32 s7, s7
; %bb.4456:                             ;   in Loop: Header=BB2_4220 Depth=2
	v_mov_b64_e32 v[10:11], v[32:33]
	v_bfe_u32 v82, v32, 23, 1
; %bb.4457:                             ;   in Loop: Header=BB2_4220 Depth=2
	s_or_b32 exec_lo, exec_lo, s7
	s_delay_alu instid0(VALU_DEP_2) | instskip(NEXT) | instid1(VALU_DEP_2)
	v_lshrrev_b64 v[10:11], 21, v[10:11]
	v_cmp_gt_i32_e32 vcc_lo, 32, v82
	v_min_i32_e32 v32, 31, v82
	v_cmp_eq_u32_e64 s7, 0, v82
	s_delay_alu instid0(VALU_DEP_2) | instskip(SKIP_1) | instid1(VALU_DEP_2)
	v_dual_cndmask_b32 v11, 0, v11 :: v_dual_lshlrev_b32 v32, 2, v32
	v_cndmask_b32_e32 v10, 3, v10, vcc_lo
	v_and_b32_e32 v32, 0xfc, v32
	s_delay_alu instid0(VALU_DEP_2) | instskip(NEXT) | instid1(VALU_DEP_2)
	v_cmp_eq_u64_e32 vcc_lo, 0, v[10:11]
	v_and_or_b32 v10, v10, 3, v32
	s_and_b32 s7, s7, vcc_lo
	s_delay_alu instid0(VALU_DEP_1) | instid1(SALU_CYCLE_1)
	v_cndmask_b32_e64 v10, v10, 0, s7
	s_delay_alu instid0(VALU_DEP_1)
	v_or_b32_e32 v41, v10, v30
.LBB2_4458:                             ;   in Loop: Header=BB2_4220 Depth=2
	s_or_b32 exec_lo, exec_lo, s41
                                        ; implicit-def: $vgpr30
.LBB2_4459:                             ;   in Loop: Header=BB2_4220 Depth=2
	s_and_not1_saveexec_b32 s7, s40
; %bb.4460:                             ;   in Loop: Header=BB2_4220 Depth=2
	v_or_b32_e32 v41, 0x7b, v30
; %bb.4461:                             ;   in Loop: Header=BB2_4220 Depth=2
	s_or_b32 exec_lo, exec_lo, s7
                                        ; implicit-def: $vgpr10
                                        ; implicit-def: $vgpr11
.LBB2_4462:                             ;   in Loop: Header=BB2_4220 Depth=2
	s_and_not1_saveexec_b32 s7, s29
	s_cbranch_execz .LBB2_4468
; %bb.4463:                             ;   in Loop: Header=BB2_4220 Depth=2
	s_mov_b32 s29, exec_lo
                                        ; implicit-def: $vgpr41
	v_cmpx_ne_u64_e32 0, v[32:33]
	s_xor_b32 s29, exec_lo, s29
; %bb.4464:                             ;   in Loop: Header=BB2_4220 Depth=2
	v_or_b32_e32 v41, 0x7f, v11
                                        ; implicit-def: $vgpr10
; %bb.4465:                             ;   in Loop: Header=BB2_4220 Depth=2
	s_and_not1_saveexec_b32 s29, s29
; %bb.4466:                             ;   in Loop: Header=BB2_4220 Depth=2
	v_cmp_lt_i32_e32 vcc_lo, -1, v10
	v_cndmask_b32_e32 v41, 0xfc, v46, vcc_lo
; %bb.4467:                             ;   in Loop: Header=BB2_4220 Depth=2
	s_or_b32 exec_lo, exec_lo, s29
.LBB2_4468:                             ;   in Loop: Header=BB2_4220 Depth=2
	s_delay_alu instid0(SALU_CYCLE_1) | instskip(SKIP_1) | instid1(VALU_DEP_1)
	s_or_b32 exec_lo, exec_lo, s7
	v_and_b32_e32 v10, 0xff, v12
	v_cmp_ne_u16_e32 vcc_lo, 0, v10
	v_mov_b32_e32 v10, 0
	s_and_saveexec_b32 s7, vcc_lo
	s_cbranch_execz .LBB2_4478
; %bb.4469:                             ;   in Loop: Header=BB2_4220 Depth=2
	v_bfe_i32 v30, v12, 0, 8
	v_bfrev_b32_e32 v10, 1
	s_mov_b32 s29, exec_lo
	s_delay_alu instid0(VALU_DEP_2)
	v_cmpx_ne_u16_e32 0xff80, v30
	s_cbranch_execz .LBB2_4477
; %bb.4470:                             ;   in Loop: Header=BB2_4220 Depth=2
	v_and_b32_e32 v10, 0x7c, v12
	v_and_b32_e32 v11, 3, v12
	s_delay_alu instid0(VALU_DEP_2) | instskip(SKIP_1) | instid1(SALU_CYCLE_1)
	v_cmp_ne_u32_e32 vcc_lo, 0x7c, v10
                                        ; implicit-def: $vgpr10
	s_and_saveexec_b32 s40, vcc_lo
	s_xor_b32 s40, exec_lo, s40
	s_cbranch_execz .LBB2_4474
; %bb.4471:                             ;   in Loop: Header=BB2_4220 Depth=2
	v_bfe_u32 v10, v12, 2, 5
	s_mov_b32 s41, exec_lo
	s_delay_alu instid0(VALU_DEP_1)
	v_cmpx_eq_u32_e32 0, v10
; %bb.4472:                             ;   in Loop: Header=BB2_4220 Depth=2
	v_clz_i32_u32_e32 v10, v11
	s_delay_alu instid0(VALU_DEP_1) | instskip(NEXT) | instid1(VALU_DEP_1)
	v_min_u32_e32 v10, 32, v10
	v_subrev_nc_u32_e32 v11, 29, v10
	v_sub_nc_u32_e32 v10, 30, v10
	s_delay_alu instid0(VALU_DEP_2) | instskip(NEXT) | instid1(VALU_DEP_1)
	v_lshlrev_b64_e32 v[82:83], v11, v[12:13]
	v_and_b32_e32 v11, 3, v82
; %bb.4473:                             ;   in Loop: Header=BB2_4220 Depth=2
	s_or_b32 exec_lo, exec_lo, s41
	v_lshlrev_b32_e32 v30, 24, v12
	s_delay_alu instid0(VALU_DEP_1) | instskip(NEXT) | instid1(VALU_DEP_1)
	v_and_b32_e32 v30, 0x80000000, v30
	v_lshl_add_u32 v10, v10, 23, v30
                                        ; implicit-def: $vgpr30
	s_delay_alu instid0(VALU_DEP_1) | instskip(NEXT) | instid1(VALU_DEP_1)
	v_lshl_or_b32 v10, v11, 21, v10
                                        ; implicit-def: $vgpr11
	v_add_nc_u32_e32 v10, 0x38000000, v10
.LBB2_4474:                             ;   in Loop: Header=BB2_4220 Depth=2
	s_and_not1_saveexec_b32 s40, s40
; %bb.4475:                             ;   in Loop: Header=BB2_4220 Depth=2
	v_cmp_lt_i16_e32 vcc_lo, -1, v30
	v_cndmask_b32_e32 v10, 0xff800000, v45, vcc_lo
	v_cmp_eq_u32_e32 vcc_lo, 0, v11
	s_delay_alu instid0(VALU_DEP_2)
	v_cndmask_b32_e32 v10, 0x7f800001, v10, vcc_lo
; %bb.4476:                             ;   in Loop: Header=BB2_4220 Depth=2
	s_or_b32 exec_lo, exec_lo, s40
.LBB2_4477:                             ;   in Loop: Header=BB2_4220 Depth=2
	s_delay_alu instid0(SALU_CYCLE_1)
	s_or_b32 exec_lo, exec_lo, s29
.LBB2_4478:                             ;   in Loop: Header=BB2_4220 Depth=2
	s_delay_alu instid0(SALU_CYCLE_1) | instskip(NEXT) | instid1(VALU_DEP_1)
	s_or_b32 exec_lo, exec_lo, s7
	v_dual_mul_f32 v10, s28, v10 :: v_dual_mov_b32 v83, v33
                                        ; implicit-def: $vgpr102
	s_mov_b32 s7, exec_lo
	s_delay_alu instid0(VALU_DEP_1) | instskip(SKIP_2) | instid1(VALU_DEP_3)
	v_and_b32_e32 v82, 0x7f800000, v10
	v_and_b32_e32 v32, 0x7fffff, v10
	v_lshrrev_b32_e32 v11, 24, v10
	v_cmpx_ne_u64_e32 0x7f800000, v[82:83]
	s_xor_b32 s29, exec_lo, s7
	s_cbranch_execz .LBB2_4492
; %bb.4479:                             ;   in Loop: Header=BB2_4220 Depth=2
	v_and_b32_e32 v82, 0x7fffffff, v10
	v_mov_b32_e32 v83, v33
	v_and_b32_e32 v30, 0x80, v11
                                        ; implicit-def: $vgpr102
	s_mov_b32 s7, exec_lo
	s_delay_alu instid0(VALU_DEP_2)
	v_cmpx_gt_u64_e32 0x47600001, v[82:83]
	s_xor_b32 s40, exec_lo, s7
	s_cbranch_execz .LBB2_4489
; %bb.4480:                             ;   in Loop: Header=BB2_4220 Depth=2
	v_mov_b32_e32 v102, 0
	s_mov_b32 s41, exec_lo
	v_cmpx_ne_u32_e32 0, v10
	s_cbranch_execz .LBB2_4488
; %bb.4481:                             ;   in Loop: Header=BB2_4220 Depth=2
	v_bfe_u32 v84, v10, 23, 8
	v_or_b32_e32 v82, 0x800000, v32
	s_delay_alu instid0(VALU_DEP_2) | instskip(SKIP_1) | instid1(VALU_DEP_2)
	v_sub_nc_u32_e32 v10, 0x71, v84
	v_cmp_gt_u32_e32 vcc_lo, 0x72, v84
	v_cndmask_b32_e32 v10, 0, v10, vcc_lo
	v_cmp_eq_u32_e32 vcc_lo, 0, v84
	s_delay_alu instid0(VALU_DEP_2) | instskip(NEXT) | instid1(VALU_DEP_1)
	v_cndmask_b32_e64 v85, v10, 0x70, vcc_lo
	v_dual_cndmask_b32 v32, v82, v32, vcc_lo :: v_dual_add_nc_u32 v10, 21, v85
	v_add_nc_u32_e32 v83, 20, v85
	s_delay_alu instid0(VALU_DEP_2) | instskip(NEXT) | instid1(VALU_DEP_2)
	v_lshlrev_b64_e64 v[10:11], v10, -1
	v_lshlrev_b64_e64 v[82:83], v83, 1
	s_delay_alu instid0(VALU_DEP_2) | instskip(NEXT) | instid1(VALU_DEP_3)
	v_bfi_b32 v103, v11, 0, 0
	v_bfi_b32 v102, v10, 0, v32
	v_lshrrev_b64 v[10:11], v85, v[32:33]
	s_delay_alu instid0(VALU_DEP_2) | instskip(NEXT) | instid1(VALU_DEP_2)
	v_cmp_eq_u64_e64 s7, v[102:103], v[82:83]
	v_mov_b64_e32 v[82:83], v[10:11]
	s_and_saveexec_b32 s42, s7
; %bb.4482:                             ;   in Loop: Header=BB2_4220 Depth=2
	v_bfe_u32 v32, v10, 21, 1
	s_delay_alu instid0(VALU_DEP_1) | instskip(NEXT) | instid1(VALU_DEP_1)
	v_add_nc_u64_e32 v[82:83], v[10:11], v[32:33]
	v_add_nc_u64_e32 v[82:83], -1, v[82:83]
; %bb.4483:                             ;   in Loop: Header=BB2_4220 Depth=2
	s_or_b32 exec_lo, exec_lo, s42
	v_add_nc_u32_e32 v11, 0xffffff81, v84
	v_lshrrev_b32_e32 v32, 23, v10
	s_mov_b32 s7, exec_lo
	s_delay_alu instid0(VALU_DEP_2) | instskip(NEXT) | instid1(VALU_DEP_1)
	v_cndmask_b32_e64 v11, v11, 0xffffff82, vcc_lo
	v_add3_u32 v83, v85, v11, v32
	v_and_b32_e32 v11, 0x1fffff, v82
                                        ; implicit-def: $vgpr82
	s_delay_alu instid0(VALU_DEP_1) | instskip(NEXT) | instid1(VALU_DEP_1)
	v_dual_add_nc_u32 v84, 14, v83 :: v_dual_add_nc_u32 v32, v11, v10
                                        ; implicit-def: $vgpr10_vgpr11
	v_cmpx_ne_u32_e32 0, v84
	s_xor_b32 s7, exec_lo, s7
; %bb.4484:                             ;   in Loop: Header=BB2_4220 Depth=2
	s_delay_alu instid0(VALU_DEP_2) | instskip(SKIP_1) | instid1(VALU_DEP_1)
	v_cmp_lt_u64_e32 vcc_lo, 0xffffff, v[32:33]
	v_add_nc_u32_e32 v10, 15, v83
	v_cndmask_b32_e32 v82, v84, v10, vcc_lo
	v_cndmask_b32_e64 v10, 0, 1, vcc_lo
	s_delay_alu instid0(VALU_DEP_1)
	v_lshrrev_b64 v[10:11], v10, v[32:33]
; %bb.4485:                             ;   in Loop: Header=BB2_4220 Depth=2
	s_and_not1_saveexec_b32 s7, s7
; %bb.4486:                             ;   in Loop: Header=BB2_4220 Depth=2
	v_mov_b64_e32 v[10:11], v[32:33]
	v_bfe_u32 v82, v32, 23, 1
; %bb.4487:                             ;   in Loop: Header=BB2_4220 Depth=2
	s_or_b32 exec_lo, exec_lo, s7
	s_delay_alu instid0(VALU_DEP_2) | instskip(NEXT) | instid1(VALU_DEP_2)
	v_lshrrev_b64 v[10:11], 21, v[10:11]
	v_cmp_gt_i32_e32 vcc_lo, 32, v82
	v_min_i32_e32 v32, 31, v82
	v_cmp_eq_u32_e64 s7, 0, v82
	s_delay_alu instid0(VALU_DEP_2) | instskip(SKIP_1) | instid1(VALU_DEP_2)
	v_dual_cndmask_b32 v11, 0, v11 :: v_dual_lshlrev_b32 v32, 2, v32
	v_cndmask_b32_e32 v10, 3, v10, vcc_lo
	v_and_b32_e32 v32, 0xfc, v32
	s_delay_alu instid0(VALU_DEP_2) | instskip(NEXT) | instid1(VALU_DEP_2)
	v_cmp_eq_u64_e32 vcc_lo, 0, v[10:11]
	v_and_or_b32 v10, v10, 3, v32
	s_and_b32 s7, s7, vcc_lo
	s_delay_alu instid0(VALU_DEP_1) | instid1(SALU_CYCLE_1)
	v_cndmask_b32_e64 v10, v10, 0, s7
	s_delay_alu instid0(VALU_DEP_1)
	v_or_b32_e32 v102, v10, v30
.LBB2_4488:                             ;   in Loop: Header=BB2_4220 Depth=2
	s_or_b32 exec_lo, exec_lo, s41
                                        ; implicit-def: $vgpr30
.LBB2_4489:                             ;   in Loop: Header=BB2_4220 Depth=2
	s_and_not1_saveexec_b32 s7, s40
; %bb.4490:                             ;   in Loop: Header=BB2_4220 Depth=2
	v_or_b32_e32 v102, 0x7b, v30
; %bb.4491:                             ;   in Loop: Header=BB2_4220 Depth=2
	s_or_b32 exec_lo, exec_lo, s7
                                        ; implicit-def: $vgpr10
                                        ; implicit-def: $vgpr11
.LBB2_4492:                             ;   in Loop: Header=BB2_4220 Depth=2
	s_and_not1_saveexec_b32 s7, s29
	s_cbranch_execz .LBB2_4498
; %bb.4493:                             ;   in Loop: Header=BB2_4220 Depth=2
	s_mov_b32 s29, exec_lo
                                        ; implicit-def: $vgpr102
	v_cmpx_ne_u64_e32 0, v[32:33]
	s_xor_b32 s29, exec_lo, s29
; %bb.4494:                             ;   in Loop: Header=BB2_4220 Depth=2
	v_or_b32_e32 v102, 0x7f, v11
                                        ; implicit-def: $vgpr10
; %bb.4495:                             ;   in Loop: Header=BB2_4220 Depth=2
	s_and_not1_saveexec_b32 s29, s29
; %bb.4496:                             ;   in Loop: Header=BB2_4220 Depth=2
	v_cmp_lt_i32_e32 vcc_lo, -1, v10
	v_cndmask_b32_e32 v102, 0xfc, v46, vcc_lo
; %bb.4497:                             ;   in Loop: Header=BB2_4220 Depth=2
	s_or_b32 exec_lo, exec_lo, s29
.LBB2_4498:                             ;   in Loop: Header=BB2_4220 Depth=2
	s_delay_alu instid0(SALU_CYCLE_1) | instskip(SKIP_3) | instid1(VALU_DEP_2)
	s_or_b32 exec_lo, exec_lo, s7
	v_lshrrev_b16 v32, 8, v12
	v_mov_b32_e32 v11, 0
	s_mov_b32 s7, exec_lo
	v_cmpx_ne_u16_e32 0, v32
	s_cbranch_execz .LBB2_4508
; %bb.4499:                             ;   in Loop: Header=BB2_4220 Depth=2
	v_bfrev_b32_e32 v11, 1
	s_mov_b32 s29, exec_lo
	v_cmpx_ne_u16_e32 0x80, v32
	s_cbranch_execz .LBB2_4507
; %bb.4500:                             ;   in Loop: Header=BB2_4220 Depth=2
	v_and_b32_e32 v30, 0xffff, v32
	s_delay_alu instid0(VALU_DEP_1) | instskip(SKIP_1) | instid1(VALU_DEP_2)
	v_and_b32_e32 v11, 0x7c, v30
	v_and_b32_e32 v10, 3, v30
	v_cmp_ne_u32_e32 vcc_lo, 0x7c, v11
                                        ; implicit-def: $vgpr11
	s_and_saveexec_b32 s40, vcc_lo
	s_delay_alu instid0(SALU_CYCLE_1)
	s_xor_b32 s40, exec_lo, s40
	s_cbranch_execz .LBB2_4504
; %bb.4501:                             ;   in Loop: Header=BB2_4220 Depth=2
	v_bfe_u32 v11, v30, 2, 5
	s_mov_b32 s41, exec_lo
	s_delay_alu instid0(VALU_DEP_1)
	v_cmpx_eq_u32_e32 0, v11
; %bb.4502:                             ;   in Loop: Header=BB2_4220 Depth=2
	v_clz_i32_u32_e32 v10, v10
	s_delay_alu instid0(VALU_DEP_1) | instskip(NEXT) | instid1(VALU_DEP_1)
	v_min_u32_e32 v30, 32, v10
	v_subrev_nc_u32_e32 v10, 29, v30
	s_delay_alu instid0(VALU_DEP_1) | instskip(SKIP_1) | instid1(VALU_DEP_2)
	v_lshlrev_b64_e32 v[10:11], v10, v[32:33]
	v_sub_nc_u32_e32 v11, 30, v30
	v_and_b32_e32 v10, 3, v10
; %bb.4503:                             ;   in Loop: Header=BB2_4220 Depth=2
	s_or_b32 exec_lo, exec_lo, s41
	v_lshlrev_b32_e32 v30, 16, v12
	s_delay_alu instid0(VALU_DEP_1) | instskip(NEXT) | instid1(VALU_DEP_1)
	v_and_b32_e32 v30, 0x80000000, v30
	v_lshl_add_u32 v11, v11, 23, v30
	s_delay_alu instid0(VALU_DEP_1) | instskip(NEXT) | instid1(VALU_DEP_1)
	v_lshl_or_b32 v10, v10, 21, v11
	v_add_nc_u32_e32 v11, 0x38000000, v10
                                        ; implicit-def: $vgpr10
.LBB2_4504:                             ;   in Loop: Header=BB2_4220 Depth=2
	s_and_not1_saveexec_b32 s40, s40
; %bb.4505:                             ;   in Loop: Header=BB2_4220 Depth=2
	v_cmp_lt_i16_e32 vcc_lo, -1, v12
	v_cndmask_b32_e32 v11, 0xff800000, v45, vcc_lo
	v_cmp_eq_u32_e32 vcc_lo, 0, v10
	s_delay_alu instid0(VALU_DEP_2)
	v_cndmask_b32_e32 v11, 0x7f800001, v11, vcc_lo
; %bb.4506:                             ;   in Loop: Header=BB2_4220 Depth=2
	s_or_b32 exec_lo, exec_lo, s40
.LBB2_4507:                             ;   in Loop: Header=BB2_4220 Depth=2
	s_delay_alu instid0(SALU_CYCLE_1)
	s_or_b32 exec_lo, exec_lo, s29
.LBB2_4508:                             ;   in Loop: Header=BB2_4220 Depth=2
	s_delay_alu instid0(SALU_CYCLE_1) | instskip(NEXT) | instid1(VALU_DEP_1)
	s_or_b32 exec_lo, exec_lo, s7
	v_dual_mul_f32 v10, s28, v11 :: v_dual_mov_b32 v83, v33
                                        ; implicit-def: $vgpr114
	s_mov_b32 s7, exec_lo
	s_delay_alu instid0(VALU_DEP_1) | instskip(SKIP_2) | instid1(VALU_DEP_3)
	v_and_b32_e32 v82, 0x7f800000, v10
	v_and_b32_e32 v32, 0x7fffff, v10
	v_lshrrev_b32_e32 v11, 24, v10
	v_cmpx_ne_u64_e32 0x7f800000, v[82:83]
	s_xor_b32 s29, exec_lo, s7
	s_cbranch_execz .LBB2_4522
; %bb.4509:                             ;   in Loop: Header=BB2_4220 Depth=2
	v_and_b32_e32 v82, 0x7fffffff, v10
	v_mov_b32_e32 v83, v33
	v_and_b32_e32 v30, 0x80, v11
                                        ; implicit-def: $vgpr114
	s_mov_b32 s7, exec_lo
	s_delay_alu instid0(VALU_DEP_2)
	v_cmpx_gt_u64_e32 0x47600001, v[82:83]
	s_xor_b32 s40, exec_lo, s7
	s_cbranch_execz .LBB2_4519
; %bb.4510:                             ;   in Loop: Header=BB2_4220 Depth=2
	v_mov_b32_e32 v114, 0
	s_mov_b32 s41, exec_lo
	v_cmpx_ne_u32_e32 0, v10
	s_cbranch_execz .LBB2_4518
; %bb.4511:                             ;   in Loop: Header=BB2_4220 Depth=2
	v_bfe_u32 v84, v10, 23, 8
	v_or_b32_e32 v82, 0x800000, v32
	s_delay_alu instid0(VALU_DEP_2) | instskip(SKIP_1) | instid1(VALU_DEP_2)
	v_sub_nc_u32_e32 v10, 0x71, v84
	v_cmp_gt_u32_e32 vcc_lo, 0x72, v84
	v_cndmask_b32_e32 v10, 0, v10, vcc_lo
	v_cmp_eq_u32_e32 vcc_lo, 0, v84
	s_delay_alu instid0(VALU_DEP_2) | instskip(NEXT) | instid1(VALU_DEP_1)
	v_cndmask_b32_e64 v85, v10, 0x70, vcc_lo
	v_dual_cndmask_b32 v32, v82, v32, vcc_lo :: v_dual_add_nc_u32 v10, 21, v85
	v_add_nc_u32_e32 v83, 20, v85
	s_delay_alu instid0(VALU_DEP_2) | instskip(NEXT) | instid1(VALU_DEP_2)
	v_lshlrev_b64_e64 v[10:11], v10, -1
	v_lshlrev_b64_e64 v[82:83], v83, 1
	s_delay_alu instid0(VALU_DEP_2) | instskip(NEXT) | instid1(VALU_DEP_3)
	v_bfi_b32 v115, v11, 0, 0
	v_bfi_b32 v114, v10, 0, v32
	v_lshrrev_b64 v[10:11], v85, v[32:33]
	s_delay_alu instid0(VALU_DEP_2) | instskip(NEXT) | instid1(VALU_DEP_2)
	v_cmp_eq_u64_e64 s7, v[114:115], v[82:83]
	v_mov_b64_e32 v[82:83], v[10:11]
	s_and_saveexec_b32 s42, s7
; %bb.4512:                             ;   in Loop: Header=BB2_4220 Depth=2
	v_bfe_u32 v32, v10, 21, 1
	s_delay_alu instid0(VALU_DEP_1) | instskip(NEXT) | instid1(VALU_DEP_1)
	v_add_nc_u64_e32 v[82:83], v[10:11], v[32:33]
	v_add_nc_u64_e32 v[82:83], -1, v[82:83]
; %bb.4513:                             ;   in Loop: Header=BB2_4220 Depth=2
	s_or_b32 exec_lo, exec_lo, s42
	v_add_nc_u32_e32 v11, 0xffffff81, v84
	v_lshrrev_b32_e32 v32, 23, v10
	s_mov_b32 s7, exec_lo
	s_delay_alu instid0(VALU_DEP_2) | instskip(NEXT) | instid1(VALU_DEP_1)
	v_cndmask_b32_e64 v11, v11, 0xffffff82, vcc_lo
	v_add3_u32 v83, v85, v11, v32
	v_and_b32_e32 v11, 0x1fffff, v82
                                        ; implicit-def: $vgpr82
	s_delay_alu instid0(VALU_DEP_1) | instskip(NEXT) | instid1(VALU_DEP_1)
	v_dual_add_nc_u32 v84, 14, v83 :: v_dual_add_nc_u32 v32, v11, v10
                                        ; implicit-def: $vgpr10_vgpr11
	v_cmpx_ne_u32_e32 0, v84
	s_xor_b32 s7, exec_lo, s7
; %bb.4514:                             ;   in Loop: Header=BB2_4220 Depth=2
	s_delay_alu instid0(VALU_DEP_2) | instskip(SKIP_1) | instid1(VALU_DEP_1)
	v_cmp_lt_u64_e32 vcc_lo, 0xffffff, v[32:33]
	v_add_nc_u32_e32 v10, 15, v83
	v_cndmask_b32_e32 v82, v84, v10, vcc_lo
	v_cndmask_b32_e64 v10, 0, 1, vcc_lo
	s_delay_alu instid0(VALU_DEP_1)
	v_lshrrev_b64 v[10:11], v10, v[32:33]
; %bb.4515:                             ;   in Loop: Header=BB2_4220 Depth=2
	s_and_not1_saveexec_b32 s7, s7
; %bb.4516:                             ;   in Loop: Header=BB2_4220 Depth=2
	v_mov_b64_e32 v[10:11], v[32:33]
	v_bfe_u32 v82, v32, 23, 1
; %bb.4517:                             ;   in Loop: Header=BB2_4220 Depth=2
	s_or_b32 exec_lo, exec_lo, s7
	s_delay_alu instid0(VALU_DEP_2) | instskip(NEXT) | instid1(VALU_DEP_2)
	v_lshrrev_b64 v[10:11], 21, v[10:11]
	v_cmp_gt_i32_e32 vcc_lo, 32, v82
	v_min_i32_e32 v32, 31, v82
	v_cmp_eq_u32_e64 s7, 0, v82
	s_delay_alu instid0(VALU_DEP_2) | instskip(SKIP_1) | instid1(VALU_DEP_2)
	v_dual_cndmask_b32 v11, 0, v11 :: v_dual_lshlrev_b32 v32, 2, v32
	v_cndmask_b32_e32 v10, 3, v10, vcc_lo
	v_and_b32_e32 v32, 0xfc, v32
	s_delay_alu instid0(VALU_DEP_2) | instskip(NEXT) | instid1(VALU_DEP_2)
	v_cmp_eq_u64_e32 vcc_lo, 0, v[10:11]
	v_and_or_b32 v10, v10, 3, v32
	s_and_b32 s7, s7, vcc_lo
	s_delay_alu instid0(VALU_DEP_1) | instid1(SALU_CYCLE_1)
	v_cndmask_b32_e64 v10, v10, 0, s7
	s_delay_alu instid0(VALU_DEP_1)
	v_or_b32_e32 v114, v10, v30
.LBB2_4518:                             ;   in Loop: Header=BB2_4220 Depth=2
	s_or_b32 exec_lo, exec_lo, s41
                                        ; implicit-def: $vgpr30
.LBB2_4519:                             ;   in Loop: Header=BB2_4220 Depth=2
	s_and_not1_saveexec_b32 s7, s40
; %bb.4520:                             ;   in Loop: Header=BB2_4220 Depth=2
	v_or_b32_e32 v114, 0x7b, v30
; %bb.4521:                             ;   in Loop: Header=BB2_4220 Depth=2
	s_or_b32 exec_lo, exec_lo, s7
                                        ; implicit-def: $vgpr10
                                        ; implicit-def: $vgpr11
.LBB2_4522:                             ;   in Loop: Header=BB2_4220 Depth=2
	s_and_not1_saveexec_b32 s7, s29
	s_cbranch_execz .LBB2_4528
; %bb.4523:                             ;   in Loop: Header=BB2_4220 Depth=2
	s_mov_b32 s29, exec_lo
                                        ; implicit-def: $vgpr114
	v_cmpx_ne_u64_e32 0, v[32:33]
	s_xor_b32 s29, exec_lo, s29
; %bb.4524:                             ;   in Loop: Header=BB2_4220 Depth=2
	v_or_b32_e32 v114, 0x7f, v11
                                        ; implicit-def: $vgpr10
; %bb.4525:                             ;   in Loop: Header=BB2_4220 Depth=2
	s_and_not1_saveexec_b32 s29, s29
; %bb.4526:                             ;   in Loop: Header=BB2_4220 Depth=2
	v_cmp_lt_i32_e32 vcc_lo, -1, v10
	v_cndmask_b32_e32 v114, 0xfc, v46, vcc_lo
; %bb.4527:                             ;   in Loop: Header=BB2_4220 Depth=2
	s_or_b32 exec_lo, exec_lo, s29
.LBB2_4528:                             ;   in Loop: Header=BB2_4220 Depth=2
	s_delay_alu instid0(SALU_CYCLE_1) | instskip(SKIP_2) | instid1(VALU_DEP_1)
	s_or_b32 exec_lo, exec_lo, s7
	v_dual_mov_b32 v11, 0 :: v_dual_lshrrev_b32 v10, 16, v12
	s_mov_b32 s7, exec_lo
	v_and_b32_e32 v30, 0xff, v10
	s_delay_alu instid0(VALU_DEP_1)
	v_cmpx_ne_u16_e32 0, v30
	s_cbranch_execz .LBB2_4538
; %bb.4529:                             ;   in Loop: Header=BB2_4220 Depth=2
	v_bfrev_b32_e32 v11, 1
	s_mov_b32 s29, exec_lo
	v_cmpx_ne_u16_e32 0x80, v30
	s_cbranch_execz .LBB2_4537
; %bb.4530:                             ;   in Loop: Header=BB2_4220 Depth=2
	v_and_b32_e32 v11, 0x7c0000, v12
	v_bfe_u32 v30, v12, 16, 2
	s_delay_alu instid0(VALU_DEP_2) | instskip(SKIP_1) | instid1(SALU_CYCLE_1)
	v_cmp_ne_u32_e32 vcc_lo, 0x7c0000, v11
                                        ; implicit-def: $vgpr11
	s_and_saveexec_b32 s40, vcc_lo
	s_xor_b32 s40, exec_lo, s40
	s_cbranch_execz .LBB2_4534
; %bb.4531:                             ;   in Loop: Header=BB2_4220 Depth=2
	v_bfe_u32 v11, v12, 18, 5
	s_mov_b32 s41, exec_lo
	s_delay_alu instid0(VALU_DEP_1)
	v_cmpx_eq_u32_e32 0, v11
; %bb.4532:                             ;   in Loop: Header=BB2_4220 Depth=2
	v_clz_i32_u32_e32 v11, v30
	s_delay_alu instid0(VALU_DEP_1) | instskip(NEXT) | instid1(VALU_DEP_1)
	v_min_u32_e32 v11, 32, v11
	v_subrev_nc_u32_e32 v30, 29, v11
	s_delay_alu instid0(VALU_DEP_1) | instskip(NEXT) | instid1(VALU_DEP_1)
	v_lshlrev_b64_e32 v[82:83], v30, v[10:11]
	v_dual_sub_nc_u32 v11, 30, v11 :: v_dual_bitop2_b32 v30, 3, v82 bitop3:0x40
; %bb.4533:                             ;   in Loop: Header=BB2_4220 Depth=2
	s_or_b32 exec_lo, exec_lo, s41
	v_lshlrev_b32_e32 v10, 24, v10
	s_delay_alu instid0(VALU_DEP_1) | instskip(NEXT) | instid1(VALU_DEP_1)
	v_and_b32_e32 v10, 0x80000000, v10
	v_lshl_add_u32 v10, v11, 23, v10
	s_delay_alu instid0(VALU_DEP_1) | instskip(NEXT) | instid1(VALU_DEP_1)
	v_lshl_or_b32 v10, v30, 21, v10
                                        ; implicit-def: $vgpr30
	v_add_nc_u32_e32 v11, 0x38000000, v10
                                        ; implicit-def: $vgpr10
.LBB2_4534:                             ;   in Loop: Header=BB2_4220 Depth=2
	s_and_not1_saveexec_b32 s40, s40
; %bb.4535:                             ;   in Loop: Header=BB2_4220 Depth=2
	v_bfe_i32 v10, v10, 0, 8
	s_delay_alu instid0(VALU_DEP_1) | instskip(SKIP_2) | instid1(VALU_DEP_2)
	v_cmp_lt_i16_e32 vcc_lo, -1, v10
	v_cndmask_b32_e32 v10, 0xff800000, v45, vcc_lo
	v_cmp_eq_u32_e32 vcc_lo, 0, v30
	v_cndmask_b32_e32 v11, 0x7f800001, v10, vcc_lo
; %bb.4536:                             ;   in Loop: Header=BB2_4220 Depth=2
	s_or_b32 exec_lo, exec_lo, s40
.LBB2_4537:                             ;   in Loop: Header=BB2_4220 Depth=2
	s_delay_alu instid0(SALU_CYCLE_1)
	s_or_b32 exec_lo, exec_lo, s29
.LBB2_4538:                             ;   in Loop: Header=BB2_4220 Depth=2
	s_delay_alu instid0(SALU_CYCLE_1) | instskip(NEXT) | instid1(VALU_DEP_1)
	s_or_b32 exec_lo, exec_lo, s7
	v_dual_mul_f32 v10, s28, v11 :: v_dual_mov_b32 v83, v33
                                        ; implicit-def: $vgpr117
	s_mov_b32 s7, exec_lo
	s_delay_alu instid0(VALU_DEP_1) | instskip(SKIP_2) | instid1(VALU_DEP_3)
	v_and_b32_e32 v82, 0x7f800000, v10
	v_and_b32_e32 v32, 0x7fffff, v10
	v_lshrrev_b32_e32 v11, 24, v10
	v_cmpx_ne_u64_e32 0x7f800000, v[82:83]
	s_xor_b32 s29, exec_lo, s7
	s_cbranch_execz .LBB2_4552
; %bb.4539:                             ;   in Loop: Header=BB2_4220 Depth=2
	v_and_b32_e32 v82, 0x7fffffff, v10
	v_mov_b32_e32 v83, v33
	v_and_b32_e32 v30, 0x80, v11
                                        ; implicit-def: $vgpr117
	s_mov_b32 s7, exec_lo
	s_delay_alu instid0(VALU_DEP_2)
	v_cmpx_gt_u64_e32 0x47600001, v[82:83]
	s_xor_b32 s40, exec_lo, s7
	s_cbranch_execz .LBB2_4549
; %bb.4540:                             ;   in Loop: Header=BB2_4220 Depth=2
	v_mov_b32_e32 v117, 0
	s_mov_b32 s41, exec_lo
	v_cmpx_ne_u32_e32 0, v10
	s_cbranch_execz .LBB2_4548
; %bb.4541:                             ;   in Loop: Header=BB2_4220 Depth=2
	v_bfe_u32 v84, v10, 23, 8
	v_or_b32_e32 v82, 0x800000, v32
	s_delay_alu instid0(VALU_DEP_2) | instskip(SKIP_1) | instid1(VALU_DEP_2)
	v_sub_nc_u32_e32 v10, 0x71, v84
	v_cmp_gt_u32_e32 vcc_lo, 0x72, v84
	v_cndmask_b32_e32 v10, 0, v10, vcc_lo
	v_cmp_eq_u32_e32 vcc_lo, 0, v84
	s_delay_alu instid0(VALU_DEP_2) | instskip(NEXT) | instid1(VALU_DEP_1)
	v_cndmask_b32_e64 v85, v10, 0x70, vcc_lo
	v_dual_cndmask_b32 v32, v82, v32, vcc_lo :: v_dual_add_nc_u32 v10, 21, v85
	v_add_nc_u32_e32 v83, 20, v85
	s_delay_alu instid0(VALU_DEP_2) | instskip(NEXT) | instid1(VALU_DEP_2)
	v_lshlrev_b64_e64 v[10:11], v10, -1
	v_lshlrev_b64_e64 v[82:83], v83, 1
	s_delay_alu instid0(VALU_DEP_2) | instskip(NEXT) | instid1(VALU_DEP_3)
	v_bfi_b32 v117, v11, 0, 0
	v_bfi_b32 v116, v10, 0, v32
	v_lshrrev_b64 v[10:11], v85, v[32:33]
	s_delay_alu instid0(VALU_DEP_2) | instskip(NEXT) | instid1(VALU_DEP_2)
	v_cmp_eq_u64_e64 s7, v[116:117], v[82:83]
	v_mov_b64_e32 v[82:83], v[10:11]
	s_and_saveexec_b32 s42, s7
; %bb.4542:                             ;   in Loop: Header=BB2_4220 Depth=2
	v_bfe_u32 v32, v10, 21, 1
	s_delay_alu instid0(VALU_DEP_1) | instskip(NEXT) | instid1(VALU_DEP_1)
	v_add_nc_u64_e32 v[82:83], v[10:11], v[32:33]
	v_add_nc_u64_e32 v[82:83], -1, v[82:83]
; %bb.4543:                             ;   in Loop: Header=BB2_4220 Depth=2
	s_or_b32 exec_lo, exec_lo, s42
	v_add_nc_u32_e32 v11, 0xffffff81, v84
	v_lshrrev_b32_e32 v32, 23, v10
	s_mov_b32 s7, exec_lo
	s_delay_alu instid0(VALU_DEP_2) | instskip(NEXT) | instid1(VALU_DEP_1)
	v_cndmask_b32_e64 v11, v11, 0xffffff82, vcc_lo
	v_add3_u32 v83, v85, v11, v32
	v_and_b32_e32 v11, 0x1fffff, v82
                                        ; implicit-def: $vgpr82
	s_delay_alu instid0(VALU_DEP_1) | instskip(NEXT) | instid1(VALU_DEP_1)
	v_dual_add_nc_u32 v84, 14, v83 :: v_dual_add_nc_u32 v32, v11, v10
                                        ; implicit-def: $vgpr10_vgpr11
	v_cmpx_ne_u32_e32 0, v84
	s_xor_b32 s7, exec_lo, s7
; %bb.4544:                             ;   in Loop: Header=BB2_4220 Depth=2
	s_delay_alu instid0(VALU_DEP_2) | instskip(SKIP_1) | instid1(VALU_DEP_1)
	v_cmp_lt_u64_e32 vcc_lo, 0xffffff, v[32:33]
	v_add_nc_u32_e32 v10, 15, v83
	v_cndmask_b32_e32 v82, v84, v10, vcc_lo
	v_cndmask_b32_e64 v10, 0, 1, vcc_lo
	s_delay_alu instid0(VALU_DEP_1)
	v_lshrrev_b64 v[10:11], v10, v[32:33]
; %bb.4545:                             ;   in Loop: Header=BB2_4220 Depth=2
	s_and_not1_saveexec_b32 s7, s7
; %bb.4546:                             ;   in Loop: Header=BB2_4220 Depth=2
	v_mov_b64_e32 v[10:11], v[32:33]
	v_bfe_u32 v82, v32, 23, 1
; %bb.4547:                             ;   in Loop: Header=BB2_4220 Depth=2
	s_or_b32 exec_lo, exec_lo, s7
	s_delay_alu instid0(VALU_DEP_2) | instskip(NEXT) | instid1(VALU_DEP_2)
	v_lshrrev_b64 v[10:11], 21, v[10:11]
	v_cmp_gt_i32_e32 vcc_lo, 32, v82
	v_min_i32_e32 v32, 31, v82
	v_cmp_eq_u32_e64 s7, 0, v82
	s_delay_alu instid0(VALU_DEP_2) | instskip(SKIP_1) | instid1(VALU_DEP_2)
	v_dual_cndmask_b32 v11, 0, v11 :: v_dual_lshlrev_b32 v32, 2, v32
	v_cndmask_b32_e32 v10, 3, v10, vcc_lo
	v_and_b32_e32 v32, 0xfc, v32
	s_delay_alu instid0(VALU_DEP_2) | instskip(NEXT) | instid1(VALU_DEP_2)
	v_cmp_eq_u64_e32 vcc_lo, 0, v[10:11]
	v_and_or_b32 v10, v10, 3, v32
	s_and_b32 s7, s7, vcc_lo
	s_delay_alu instid0(VALU_DEP_1) | instid1(SALU_CYCLE_1)
	v_cndmask_b32_e64 v10, v10, 0, s7
	s_delay_alu instid0(VALU_DEP_1)
	v_or_b32_e32 v117, v10, v30
.LBB2_4548:                             ;   in Loop: Header=BB2_4220 Depth=2
	s_or_b32 exec_lo, exec_lo, s41
                                        ; implicit-def: $vgpr30
.LBB2_4549:                             ;   in Loop: Header=BB2_4220 Depth=2
	s_and_not1_saveexec_b32 s7, s40
; %bb.4550:                             ;   in Loop: Header=BB2_4220 Depth=2
	v_or_b32_e32 v117, 0x7b, v30
; %bb.4551:                             ;   in Loop: Header=BB2_4220 Depth=2
	s_or_b32 exec_lo, exec_lo, s7
                                        ; implicit-def: $vgpr10
                                        ; implicit-def: $vgpr11
.LBB2_4552:                             ;   in Loop: Header=BB2_4220 Depth=2
	s_and_not1_saveexec_b32 s7, s29
	s_cbranch_execz .LBB2_4558
; %bb.4553:                             ;   in Loop: Header=BB2_4220 Depth=2
	s_mov_b32 s29, exec_lo
                                        ; implicit-def: $vgpr117
	v_cmpx_ne_u64_e32 0, v[32:33]
	s_xor_b32 s29, exec_lo, s29
; %bb.4554:                             ;   in Loop: Header=BB2_4220 Depth=2
	v_or_b32_e32 v117, 0x7f, v11
                                        ; implicit-def: $vgpr10
; %bb.4555:                             ;   in Loop: Header=BB2_4220 Depth=2
	s_and_not1_saveexec_b32 s29, s29
; %bb.4556:                             ;   in Loop: Header=BB2_4220 Depth=2
	v_cmp_lt_i32_e32 vcc_lo, -1, v10
	v_cndmask_b32_e32 v117, 0xfc, v46, vcc_lo
; %bb.4557:                             ;   in Loop: Header=BB2_4220 Depth=2
	s_or_b32 exec_lo, exec_lo, s29
.LBB2_4558:                             ;   in Loop: Header=BB2_4220 Depth=2
	s_delay_alu instid0(SALU_CYCLE_1)
	s_or_b32 exec_lo, exec_lo, s7
	v_mov_b32_e32 v11, 0
	s_mov_b32 s7, exec_lo
	v_cmpx_lt_u32_e32 0xffffff, v12
	s_cbranch_execz .LBB2_4568
; %bb.4559:                             ;   in Loop: Header=BB2_4220 Depth=2
	v_lshrrev_b32_e32 v10, 24, v12
	v_bfrev_b32_e32 v11, 1
	s_mov_b32 s29, exec_lo
	s_delay_alu instid0(VALU_DEP_2)
	v_cmpx_ne_u32_e32 0x80, v10
	s_cbranch_execz .LBB2_4567
; %bb.4560:                             ;   in Loop: Header=BB2_4220 Depth=2
	v_and_b32_e32 v11, 0x7c000000, v12
	v_bfe_u32 v30, v12, 24, 2
	s_delay_alu instid0(VALU_DEP_2) | instskip(SKIP_1) | instid1(SALU_CYCLE_1)
	v_cmp_ne_u32_e32 vcc_lo, 0x7c000000, v11
                                        ; implicit-def: $vgpr11
	s_and_saveexec_b32 s40, vcc_lo
	s_xor_b32 s40, exec_lo, s40
	s_cbranch_execz .LBB2_4564
; %bb.4561:                             ;   in Loop: Header=BB2_4220 Depth=2
	v_bfe_u32 v11, v12, 26, 5
	s_mov_b32 s41, exec_lo
	s_delay_alu instid0(VALU_DEP_1)
	v_cmpx_eq_u32_e32 0, v11
; %bb.4562:                             ;   in Loop: Header=BB2_4220 Depth=2
	v_clz_i32_u32_e32 v11, v30
	s_delay_alu instid0(VALU_DEP_1) | instskip(NEXT) | instid1(VALU_DEP_1)
	v_min_u32_e32 v30, 32, v11
	v_subrev_nc_u32_e32 v11, 29, v30
	s_delay_alu instid0(VALU_DEP_1) | instskip(SKIP_1) | instid1(VALU_DEP_2)
	v_lshlrev_b64_e32 v[10:11], v11, v[10:11]
	v_sub_nc_u32_e32 v11, 30, v30
	v_and_b32_e32 v30, 3, v10
; %bb.4563:                             ;   in Loop: Header=BB2_4220 Depth=2
	s_or_b32 exec_lo, exec_lo, s41
	v_and_b32_e32 v10, 0x80000000, v12
	s_delay_alu instid0(VALU_DEP_1) | instskip(NEXT) | instid1(VALU_DEP_1)
	v_lshl_add_u32 v10, v11, 23, v10
	v_lshl_or_b32 v10, v30, 21, v10
                                        ; implicit-def: $vgpr30
	s_delay_alu instid0(VALU_DEP_1)
	v_add_nc_u32_e32 v11, 0x38000000, v10
.LBB2_4564:                             ;   in Loop: Header=BB2_4220 Depth=2
	s_and_not1_saveexec_b32 s40, s40
; %bb.4565:                             ;   in Loop: Header=BB2_4220 Depth=2
	v_cmp_lt_i32_e32 vcc_lo, -1, v12
	v_cndmask_b32_e32 v10, 0xff800000, v45, vcc_lo
	v_cmp_eq_u32_e32 vcc_lo, 0, v30
	s_delay_alu instid0(VALU_DEP_2)
	v_cndmask_b32_e32 v11, 0x7f800001, v10, vcc_lo
; %bb.4566:                             ;   in Loop: Header=BB2_4220 Depth=2
	s_or_b32 exec_lo, exec_lo, s40
.LBB2_4567:                             ;   in Loop: Header=BB2_4220 Depth=2
	s_delay_alu instid0(SALU_CYCLE_1)
	s_or_b32 exec_lo, exec_lo, s29
.LBB2_4568:                             ;   in Loop: Header=BB2_4220 Depth=2
	s_delay_alu instid0(SALU_CYCLE_1) | instskip(NEXT) | instid1(VALU_DEP_1)
	s_or_b32 exec_lo, exec_lo, s7
	v_dual_mul_f32 v10, s28, v11 :: v_dual_mov_b32 v83, v33
                                        ; implicit-def: $vgpr119
	s_mov_b32 s7, exec_lo
	s_delay_alu instid0(VALU_DEP_1) | instskip(SKIP_2) | instid1(VALU_DEP_3)
	v_and_b32_e32 v82, 0x7f800000, v10
	v_and_b32_e32 v32, 0x7fffff, v10
	v_lshrrev_b32_e32 v11, 24, v10
	v_cmpx_ne_u64_e32 0x7f800000, v[82:83]
	s_xor_b32 s29, exec_lo, s7
	s_cbranch_execz .LBB2_4582
; %bb.4569:                             ;   in Loop: Header=BB2_4220 Depth=2
	v_and_b32_e32 v82, 0x7fffffff, v10
	v_mov_b32_e32 v83, v33
	v_and_b32_e32 v30, 0x80, v11
                                        ; implicit-def: $vgpr119
	s_mov_b32 s7, exec_lo
	s_delay_alu instid0(VALU_DEP_2)
	v_cmpx_gt_u64_e32 0x47600001, v[82:83]
	s_xor_b32 s40, exec_lo, s7
	s_cbranch_execz .LBB2_4579
; %bb.4570:                             ;   in Loop: Header=BB2_4220 Depth=2
	v_mov_b32_e32 v119, 0
	s_mov_b32 s41, exec_lo
	v_cmpx_ne_u32_e32 0, v10
	s_cbranch_execz .LBB2_4578
; %bb.4571:                             ;   in Loop: Header=BB2_4220 Depth=2
	v_bfe_u32 v84, v10, 23, 8
	v_or_b32_e32 v82, 0x800000, v32
	s_delay_alu instid0(VALU_DEP_2) | instskip(SKIP_1) | instid1(VALU_DEP_2)
	v_sub_nc_u32_e32 v10, 0x71, v84
	v_cmp_gt_u32_e32 vcc_lo, 0x72, v84
	v_cndmask_b32_e32 v10, 0, v10, vcc_lo
	v_cmp_eq_u32_e32 vcc_lo, 0, v84
	s_delay_alu instid0(VALU_DEP_2) | instskip(NEXT) | instid1(VALU_DEP_1)
	v_cndmask_b32_e64 v85, v10, 0x70, vcc_lo
	v_dual_cndmask_b32 v32, v82, v32, vcc_lo :: v_dual_add_nc_u32 v10, 21, v85
	v_add_nc_u32_e32 v83, 20, v85
	s_delay_alu instid0(VALU_DEP_2) | instskip(NEXT) | instid1(VALU_DEP_2)
	v_lshlrev_b64_e64 v[10:11], v10, -1
	v_lshlrev_b64_e64 v[82:83], v83, 1
	s_delay_alu instid0(VALU_DEP_2) | instskip(NEXT) | instid1(VALU_DEP_3)
	v_bfi_b32 v61, v11, 0, 0
	v_bfi_b32 v60, v10, 0, v32
	v_lshrrev_b64 v[10:11], v85, v[32:33]
	s_delay_alu instid0(VALU_DEP_2) | instskip(NEXT) | instid1(VALU_DEP_2)
	v_cmp_eq_u64_e64 s7, v[60:61], v[82:83]
	v_mov_b64_e32 v[82:83], v[10:11]
	s_and_saveexec_b32 s42, s7
; %bb.4572:                             ;   in Loop: Header=BB2_4220 Depth=2
	v_bfe_u32 v32, v10, 21, 1
	s_delay_alu instid0(VALU_DEP_1) | instskip(NEXT) | instid1(VALU_DEP_1)
	v_add_nc_u64_e32 v[82:83], v[10:11], v[32:33]
	v_add_nc_u64_e32 v[82:83], -1, v[82:83]
; %bb.4573:                             ;   in Loop: Header=BB2_4220 Depth=2
	s_or_b32 exec_lo, exec_lo, s42
	v_add_nc_u32_e32 v11, 0xffffff81, v84
	v_lshrrev_b32_e32 v32, 23, v10
	s_mov_b32 s7, exec_lo
	s_delay_alu instid0(VALU_DEP_2) | instskip(NEXT) | instid1(VALU_DEP_1)
	v_cndmask_b32_e64 v11, v11, 0xffffff82, vcc_lo
	v_add3_u32 v83, v85, v11, v32
	v_and_b32_e32 v11, 0x1fffff, v82
                                        ; implicit-def: $vgpr82
	s_delay_alu instid0(VALU_DEP_1) | instskip(NEXT) | instid1(VALU_DEP_1)
	v_dual_add_nc_u32 v84, 14, v83 :: v_dual_add_nc_u32 v32, v11, v10
                                        ; implicit-def: $vgpr10_vgpr11
	v_cmpx_ne_u32_e32 0, v84
	s_xor_b32 s7, exec_lo, s7
; %bb.4574:                             ;   in Loop: Header=BB2_4220 Depth=2
	s_delay_alu instid0(VALU_DEP_2) | instskip(SKIP_1) | instid1(VALU_DEP_1)
	v_cmp_lt_u64_e32 vcc_lo, 0xffffff, v[32:33]
	v_add_nc_u32_e32 v10, 15, v83
	v_cndmask_b32_e32 v82, v84, v10, vcc_lo
	v_cndmask_b32_e64 v10, 0, 1, vcc_lo
	s_delay_alu instid0(VALU_DEP_1)
	v_lshrrev_b64 v[10:11], v10, v[32:33]
; %bb.4575:                             ;   in Loop: Header=BB2_4220 Depth=2
	s_and_not1_saveexec_b32 s7, s7
; %bb.4576:                             ;   in Loop: Header=BB2_4220 Depth=2
	v_mov_b64_e32 v[10:11], v[32:33]
	v_bfe_u32 v82, v32, 23, 1
; %bb.4577:                             ;   in Loop: Header=BB2_4220 Depth=2
	s_or_b32 exec_lo, exec_lo, s7
	s_delay_alu instid0(VALU_DEP_2) | instskip(NEXT) | instid1(VALU_DEP_2)
	v_lshrrev_b64 v[10:11], 21, v[10:11]
	v_cmp_gt_i32_e32 vcc_lo, 32, v82
	v_min_i32_e32 v32, 31, v82
	v_cmp_eq_u32_e64 s7, 0, v82
	s_delay_alu instid0(VALU_DEP_2) | instskip(SKIP_1) | instid1(VALU_DEP_2)
	v_dual_cndmask_b32 v11, 0, v11 :: v_dual_lshlrev_b32 v32, 2, v32
	v_cndmask_b32_e32 v10, 3, v10, vcc_lo
	v_and_b32_e32 v32, 0xfc, v32
	s_delay_alu instid0(VALU_DEP_2) | instskip(NEXT) | instid1(VALU_DEP_2)
	v_cmp_eq_u64_e32 vcc_lo, 0, v[10:11]
	v_and_or_b32 v10, v10, 3, v32
	s_and_b32 s7, s7, vcc_lo
	s_delay_alu instid0(VALU_DEP_1) | instid1(SALU_CYCLE_1)
	v_cndmask_b32_e64 v10, v10, 0, s7
	s_delay_alu instid0(VALU_DEP_1)
	v_or_b32_e32 v119, v10, v30
.LBB2_4578:                             ;   in Loop: Header=BB2_4220 Depth=2
	s_or_b32 exec_lo, exec_lo, s41
                                        ; implicit-def: $vgpr30
.LBB2_4579:                             ;   in Loop: Header=BB2_4220 Depth=2
	s_and_not1_saveexec_b32 s7, s40
; %bb.4580:                             ;   in Loop: Header=BB2_4220 Depth=2
	v_or_b32_e32 v119, 0x7b, v30
; %bb.4581:                             ;   in Loop: Header=BB2_4220 Depth=2
	s_or_b32 exec_lo, exec_lo, s7
                                        ; implicit-def: $vgpr10
                                        ; implicit-def: $vgpr11
.LBB2_4582:                             ;   in Loop: Header=BB2_4220 Depth=2
	s_and_not1_saveexec_b32 s7, s29
	s_cbranch_execz .LBB2_4588
; %bb.4583:                             ;   in Loop: Header=BB2_4220 Depth=2
	s_mov_b32 s29, exec_lo
                                        ; implicit-def: $vgpr119
	v_cmpx_ne_u64_e32 0, v[32:33]
	s_xor_b32 s29, exec_lo, s29
; %bb.4584:                             ;   in Loop: Header=BB2_4220 Depth=2
	v_or_b32_e32 v119, 0x7f, v11
                                        ; implicit-def: $vgpr10
; %bb.4585:                             ;   in Loop: Header=BB2_4220 Depth=2
	s_and_not1_saveexec_b32 s29, s29
; %bb.4586:                             ;   in Loop: Header=BB2_4220 Depth=2
	v_cmp_lt_i32_e32 vcc_lo, -1, v10
	v_cndmask_b32_e32 v119, 0xfc, v46, vcc_lo
; %bb.4587:                             ;   in Loop: Header=BB2_4220 Depth=2
	s_or_b32 exec_lo, exec_lo, s29
.LBB2_4588:                             ;   in Loop: Header=BB2_4220 Depth=2
	s_delay_alu instid0(SALU_CYCLE_1) | instskip(SKIP_3) | instid1(VALU_DEP_2)
	s_or_b32 exec_lo, exec_lo, s7
	v_and_b32_e32 v11, 0xff, v13
	v_dual_mov_b32 v32, v13 :: v_dual_mov_b32 v10, 0
	s_mov_b32 s7, exec_lo
	v_cmpx_ne_u16_e32 0, v11
	s_cbranch_execz .LBB2_4598
; %bb.4589:                             ;   in Loop: Header=BB2_4220 Depth=2
	v_bfrev_b32_e32 v10, 1
	s_mov_b32 s29, exec_lo
	v_cmpx_ne_u16_e32 0x80, v11
	s_cbranch_execz .LBB2_4597
; %bb.4590:                             ;   in Loop: Header=BB2_4220 Depth=2
	v_and_b32_e32 v10, 0x7c, v13
	v_and_b32_e32 v11, 3, v13
	s_delay_alu instid0(VALU_DEP_2) | instskip(SKIP_1) | instid1(SALU_CYCLE_1)
	v_cmp_ne_u32_e32 vcc_lo, 0x7c, v10
                                        ; implicit-def: $vgpr10
	s_and_saveexec_b32 s40, vcc_lo
	s_xor_b32 s40, exec_lo, s40
	s_cbranch_execz .LBB2_4594
; %bb.4591:                             ;   in Loop: Header=BB2_4220 Depth=2
	v_bfe_u32 v10, v13, 2, 5
	s_mov_b32 s41, exec_lo
	s_delay_alu instid0(VALU_DEP_1)
	v_cmpx_eq_u32_e32 0, v10
; %bb.4592:                             ;   in Loop: Header=BB2_4220 Depth=2
	v_clz_i32_u32_e32 v10, v11
	s_delay_alu instid0(VALU_DEP_1) | instskip(NEXT) | instid1(VALU_DEP_1)
	v_min_u32_e32 v10, 32, v10
	v_subrev_nc_u32_e32 v11, 29, v10
	v_sub_nc_u32_e32 v10, 30, v10
	s_delay_alu instid0(VALU_DEP_2) | instskip(NEXT) | instid1(VALU_DEP_1)
	v_lshlrev_b64_e32 v[82:83], v11, v[32:33]
	v_and_b32_e32 v11, 3, v82
; %bb.4593:                             ;   in Loop: Header=BB2_4220 Depth=2
	s_or_b32 exec_lo, exec_lo, s41
	v_lshlrev_b32_e32 v30, 24, v13
	s_delay_alu instid0(VALU_DEP_1) | instskip(NEXT) | instid1(VALU_DEP_1)
	v_and_b32_e32 v30, 0x80000000, v30
	v_lshl_add_u32 v10, v10, 23, v30
	s_delay_alu instid0(VALU_DEP_1) | instskip(NEXT) | instid1(VALU_DEP_1)
	v_lshl_or_b32 v10, v11, 21, v10
                                        ; implicit-def: $vgpr11
	v_add_nc_u32_e32 v10, 0x38000000, v10
.LBB2_4594:                             ;   in Loop: Header=BB2_4220 Depth=2
	s_and_not1_saveexec_b32 s40, s40
; %bb.4595:                             ;   in Loop: Header=BB2_4220 Depth=2
	v_bfe_i32 v10, v13, 0, 8
	s_delay_alu instid0(VALU_DEP_1) | instskip(SKIP_2) | instid1(VALU_DEP_2)
	v_cmp_lt_i16_e32 vcc_lo, -1, v10
	v_cndmask_b32_e32 v10, 0xff800000, v45, vcc_lo
	v_cmp_eq_u32_e32 vcc_lo, 0, v11
	v_cndmask_b32_e32 v10, 0x7f800001, v10, vcc_lo
; %bb.4596:                             ;   in Loop: Header=BB2_4220 Depth=2
	s_or_b32 exec_lo, exec_lo, s40
.LBB2_4597:                             ;   in Loop: Header=BB2_4220 Depth=2
	s_delay_alu instid0(SALU_CYCLE_1)
	s_or_b32 exec_lo, exec_lo, s29
.LBB2_4598:                             ;   in Loop: Header=BB2_4220 Depth=2
	s_delay_alu instid0(SALU_CYCLE_1) | instskip(NEXT) | instid1(VALU_DEP_1)
	s_or_b32 exec_lo, exec_lo, s7
	v_dual_mul_f32 v82, s28, v10 :: v_dual_mov_b32 v85, v33
	v_mov_b32_e32 v11, v33
                                        ; implicit-def: $vgpr100
	s_mov_b32 s7, exec_lo
	s_delay_alu instid0(VALU_DEP_2) | instskip(SKIP_2) | instid1(VALU_DEP_3)
	v_and_b32_e32 v84, 0x7f800000, v82
	v_and_b32_e32 v10, 0x7fffff, v82
	v_lshrrev_b32_e32 v30, 24, v82
	v_cmpx_ne_u64_e32 0x7f800000, v[84:85]
	s_xor_b32 s29, exec_lo, s7
	s_cbranch_execz .LBB2_4612
; %bb.4599:                             ;   in Loop: Header=BB2_4220 Depth=2
	v_and_b32_e32 v84, 0x7fffffff, v82
	v_mov_b32_e32 v85, v33
	v_and_b32_e32 v30, 0x80, v30
                                        ; implicit-def: $vgpr100
	s_mov_b32 s7, exec_lo
	s_delay_alu instid0(VALU_DEP_2)
	v_cmpx_gt_u64_e32 0x47600001, v[84:85]
	s_xor_b32 s40, exec_lo, s7
	s_cbranch_execz .LBB2_4609
; %bb.4600:                             ;   in Loop: Header=BB2_4220 Depth=2
	v_mov_b32_e32 v100, 0
	s_mov_b32 s41, exec_lo
	v_cmpx_ne_u32_e32 0, v82
	s_cbranch_execz .LBB2_4608
; %bb.4601:                             ;   in Loop: Header=BB2_4220 Depth=2
	v_bfe_u32 v84, v82, 23, 8
	v_or_b32_e32 v100, 0x800000, v10
	s_delay_alu instid0(VALU_DEP_2) | instskip(SKIP_1) | instid1(VALU_DEP_2)
	v_sub_nc_u32_e32 v82, 0x71, v84
	v_cmp_gt_u32_e32 vcc_lo, 0x72, v84
	v_cndmask_b32_e32 v82, 0, v82, vcc_lo
	v_cmp_eq_u32_e32 vcc_lo, 0, v84
	s_delay_alu instid0(VALU_DEP_2) | instskip(NEXT) | instid1(VALU_DEP_1)
	v_cndmask_b32_e64 v85, v82, 0x70, vcc_lo
	v_dual_cndmask_b32 v10, v100, v10, vcc_lo :: v_dual_add_nc_u32 v82, 21, v85
	v_add_nc_u32_e32 v103, 20, v85
	s_delay_alu instid0(VALU_DEP_2) | instskip(NEXT) | instid1(VALU_DEP_2)
	v_lshlrev_b64_e64 v[82:83], v82, -1
	v_lshlrev_b64_e64 v[60:61], v103, 1
	s_delay_alu instid0(VALU_DEP_2) | instskip(SKIP_1) | instid1(VALU_DEP_4)
	v_bfi_b32 v82, v82, 0, v10
	v_lshrrev_b64 v[10:11], v85, v[10:11]
	v_bfi_b32 v83, v83, 0, 0
	s_delay_alu instid0(VALU_DEP_1) | instskip(NEXT) | instid1(VALU_DEP_3)
	v_cmp_eq_u64_e64 s7, v[82:83], v[60:61]
	v_mov_b64_e32 v[82:83], v[10:11]
	s_and_saveexec_b32 s42, s7
; %bb.4602:                             ;   in Loop: Header=BB2_4220 Depth=2
	v_bfe_u32 v82, v10, 21, 1
	v_mov_b32_e32 v83, v33
	s_delay_alu instid0(VALU_DEP_1) | instskip(NEXT) | instid1(VALU_DEP_1)
	v_add_nc_u64_e32 v[82:83], v[10:11], v[82:83]
	v_add_nc_u64_e32 v[82:83], -1, v[82:83]
; %bb.4603:                             ;   in Loop: Header=BB2_4220 Depth=2
	s_or_b32 exec_lo, exec_lo, s42
	v_add_nc_u32_e32 v11, 0xffffff81, v84
	v_lshrrev_b32_e32 v83, 23, v10
	s_mov_b32 s7, exec_lo
	s_delay_alu instid0(VALU_DEP_2) | instskip(NEXT) | instid1(VALU_DEP_1)
	v_cndmask_b32_e64 v11, v11, 0xffffff82, vcc_lo
	v_add3_u32 v83, v85, v11, v83
	v_and_b32_e32 v11, 0x1fffff, v82
                                        ; implicit-def: $vgpr82
	s_delay_alu instid0(VALU_DEP_1) | instskip(SKIP_1) | instid1(VALU_DEP_2)
	v_dual_add_nc_u32 v84, 14, v83 :: v_dual_add_nc_u32 v10, v11, v10
	v_mov_b32_e32 v11, v33
	v_cmpx_ne_u32_e32 0, v84
	s_xor_b32 s7, exec_lo, s7
; %bb.4604:                             ;   in Loop: Header=BB2_4220 Depth=2
	s_delay_alu instid0(VALU_DEP_2) | instskip(SKIP_2) | instid1(VALU_DEP_2)
	v_cmp_lt_u64_e32 vcc_lo, 0xffffff, v[10:11]
	v_add_nc_u32_e32 v82, 15, v83
	v_cndmask_b32_e64 v83, 0, 1, vcc_lo
	v_cndmask_b32_e32 v82, v84, v82, vcc_lo
	s_delay_alu instid0(VALU_DEP_2)
	v_lshrrev_b64 v[10:11], v83, v[10:11]
; %bb.4605:                             ;   in Loop: Header=BB2_4220 Depth=2
	s_and_not1_saveexec_b32 s7, s7
; %bb.4606:                             ;   in Loop: Header=BB2_4220 Depth=2
	s_delay_alu instid0(VALU_DEP_1)
	v_bfe_u32 v82, v10, 23, 1
; %bb.4607:                             ;   in Loop: Header=BB2_4220 Depth=2
	s_or_b32 exec_lo, exec_lo, s7
	s_delay_alu instid0(VALU_DEP_2) | instskip(NEXT) | instid1(VALU_DEP_2)
	v_lshrrev_b64 v[10:11], 21, v[10:11]
	v_cmp_gt_i32_e32 vcc_lo, 32, v82
	v_min_i32_e32 v83, 31, v82
	v_cmp_eq_u32_e64 s7, 0, v82
	s_delay_alu instid0(VALU_DEP_4) | instskip(NEXT) | instid1(VALU_DEP_3)
	v_cndmask_b32_e32 v11, 0, v11, vcc_lo
	v_dual_cndmask_b32 v10, 3, v10 :: v_dual_lshlrev_b32 v83, 2, v83
	s_delay_alu instid0(VALU_DEP_1) | instskip(NEXT) | instid1(VALU_DEP_2)
	v_and_b32_e32 v83, 0xfc, v83
	v_cmp_eq_u64_e32 vcc_lo, 0, v[10:11]
	s_delay_alu instid0(VALU_DEP_2)
	v_and_or_b32 v10, v10, 3, v83
	s_and_b32 s7, s7, vcc_lo
	s_delay_alu instid0(VALU_DEP_1) | instid1(SALU_CYCLE_1)
	v_cndmask_b32_e64 v10, v10, 0, s7
	s_delay_alu instid0(VALU_DEP_1)
	v_or_b32_e32 v100, v10, v30
.LBB2_4608:                             ;   in Loop: Header=BB2_4220 Depth=2
	s_or_b32 exec_lo, exec_lo, s41
                                        ; implicit-def: $vgpr30
.LBB2_4609:                             ;   in Loop: Header=BB2_4220 Depth=2
	s_and_not1_saveexec_b32 s7, s40
; %bb.4610:                             ;   in Loop: Header=BB2_4220 Depth=2
	v_or_b32_e32 v100, 0x7b, v30
; %bb.4611:                             ;   in Loop: Header=BB2_4220 Depth=2
	s_or_b32 exec_lo, exec_lo, s7
                                        ; implicit-def: $vgpr82
                                        ; implicit-def: $vgpr10_vgpr11
                                        ; implicit-def: $vgpr30
.LBB2_4612:                             ;   in Loop: Header=BB2_4220 Depth=2
	s_and_not1_saveexec_b32 s7, s29
	s_cbranch_execz .LBB2_4618
; %bb.4613:                             ;   in Loop: Header=BB2_4220 Depth=2
	s_mov_b32 s29, exec_lo
                                        ; implicit-def: $vgpr100
	v_cmpx_ne_u64_e32 0, v[10:11]
	s_xor_b32 s29, exec_lo, s29
; %bb.4614:                             ;   in Loop: Header=BB2_4220 Depth=2
	v_or_b32_e32 v100, 0x7f, v30
                                        ; implicit-def: $vgpr82
; %bb.4615:                             ;   in Loop: Header=BB2_4220 Depth=2
	s_and_not1_saveexec_b32 s29, s29
; %bb.4616:                             ;   in Loop: Header=BB2_4220 Depth=2
	v_cmp_lt_i32_e32 vcc_lo, -1, v82
	v_cndmask_b32_e32 v100, 0xfc, v46, vcc_lo
; %bb.4617:                             ;   in Loop: Header=BB2_4220 Depth=2
	s_or_b32 exec_lo, exec_lo, s29
.LBB2_4618:                             ;   in Loop: Header=BB2_4220 Depth=2
	s_delay_alu instid0(SALU_CYCLE_1) | instskip(SKIP_3) | instid1(VALU_DEP_2)
	s_or_b32 exec_lo, exec_lo, s7
	v_lshrrev_b16 v10, 8, v32
	v_mov_b32_e32 v30, 0
	s_mov_b32 s7, exec_lo
	v_cmpx_ne_u16_e32 0, v10
	s_cbranch_execz .LBB2_4628
; %bb.4619:                             ;   in Loop: Header=BB2_4220 Depth=2
	v_bfrev_b32_e32 v30, 1
	s_mov_b32 s29, exec_lo
	v_cmpx_ne_u16_e32 0x80, v10
	s_cbranch_execz .LBB2_4627
; %bb.4620:                             ;   in Loop: Header=BB2_4220 Depth=2
	v_and_b32_e32 v82, 0xffff, v10
	s_delay_alu instid0(VALU_DEP_1) | instskip(SKIP_1) | instid1(VALU_DEP_2)
	v_and_b32_e32 v30, 0x7c, v82
	v_and_b32_e32 v11, 3, v82
	v_cmp_ne_u32_e32 vcc_lo, 0x7c, v30
                                        ; implicit-def: $vgpr30
	s_and_saveexec_b32 s40, vcc_lo
	s_delay_alu instid0(SALU_CYCLE_1)
	s_xor_b32 s40, exec_lo, s40
	s_cbranch_execz .LBB2_4624
; %bb.4621:                             ;   in Loop: Header=BB2_4220 Depth=2
	v_bfe_u32 v30, v82, 2, 5
	s_mov_b32 s41, exec_lo
	s_delay_alu instid0(VALU_DEP_1)
	v_cmpx_eq_u32_e32 0, v30
	s_cbranch_execz .LBB2_4623
; %bb.4622:                             ;   in Loop: Header=BB2_4220 Depth=2
	v_clz_i32_u32_e32 v11, v11
	s_delay_alu instid0(VALU_DEP_1) | instskip(SKIP_1) | instid1(VALU_DEP_2)
	v_min_u32_e32 v30, 32, v11
	v_mov_b32_e32 v11, v33
	v_subrev_nc_u32_e32 v82, 29, v30
	v_sub_nc_u32_e32 v30, 30, v30
	s_delay_alu instid0(VALU_DEP_2) | instskip(NEXT) | instid1(VALU_DEP_1)
	v_lshlrev_b64_e32 v[10:11], v82, v[10:11]
	v_and_b32_e32 v11, 3, v10
.LBB2_4623:                             ;   in Loop: Header=BB2_4220 Depth=2
	s_or_b32 exec_lo, exec_lo, s41
	v_lshlrev_b32_e32 v10, 16, v32
	s_delay_alu instid0(VALU_DEP_1) | instskip(NEXT) | instid1(VALU_DEP_1)
	v_and_b32_e32 v10, 0x80000000, v10
	v_lshl_add_u32 v10, v30, 23, v10
	s_delay_alu instid0(VALU_DEP_1) | instskip(NEXT) | instid1(VALU_DEP_1)
	v_lshl_or_b32 v10, v11, 21, v10
                                        ; implicit-def: $vgpr11
	v_add_nc_u32_e32 v30, 0x38000000, v10
.LBB2_4624:                             ;   in Loop: Header=BB2_4220 Depth=2
	s_and_not1_saveexec_b32 s40, s40
; %bb.4625:                             ;   in Loop: Header=BB2_4220 Depth=2
	v_cmp_lt_i16_e32 vcc_lo, -1, v32
	v_cndmask_b32_e32 v10, 0xff800000, v45, vcc_lo
	v_cmp_eq_u32_e32 vcc_lo, 0, v11
	s_delay_alu instid0(VALU_DEP_2)
	v_cndmask_b32_e32 v30, 0x7f800001, v10, vcc_lo
; %bb.4626:                             ;   in Loop: Header=BB2_4220 Depth=2
	s_or_b32 exec_lo, exec_lo, s40
.LBB2_4627:                             ;   in Loop: Header=BB2_4220 Depth=2
	s_delay_alu instid0(SALU_CYCLE_1)
	s_or_b32 exec_lo, exec_lo, s29
.LBB2_4628:                             ;   in Loop: Header=BB2_4220 Depth=2
	s_delay_alu instid0(SALU_CYCLE_1) | instskip(NEXT) | instid1(VALU_DEP_1)
	s_or_b32 exec_lo, exec_lo, s7
	v_dual_mul_f32 v10, s28, v30 :: v_dual_mov_b32 v83, v33
                                        ; implicit-def: $vgpr103
	s_mov_b32 s7, exec_lo
	s_delay_alu instid0(VALU_DEP_1) | instskip(SKIP_2) | instid1(VALU_DEP_3)
	v_and_b32_e32 v82, 0x7f800000, v10
	v_and_b32_e32 v32, 0x7fffff, v10
	v_lshrrev_b32_e32 v11, 24, v10
	v_cmpx_ne_u64_e32 0x7f800000, v[82:83]
	s_xor_b32 s29, exec_lo, s7
	s_cbranch_execz .LBB2_4642
; %bb.4629:                             ;   in Loop: Header=BB2_4220 Depth=2
	v_and_b32_e32 v82, 0x7fffffff, v10
	v_mov_b32_e32 v83, v33
	v_and_b32_e32 v30, 0x80, v11
                                        ; implicit-def: $vgpr103
	s_mov_b32 s7, exec_lo
	s_delay_alu instid0(VALU_DEP_2)
	v_cmpx_gt_u64_e32 0x47600001, v[82:83]
	s_xor_b32 s40, exec_lo, s7
	s_cbranch_execz .LBB2_4639
; %bb.4630:                             ;   in Loop: Header=BB2_4220 Depth=2
	v_mov_b32_e32 v103, 0
	s_mov_b32 s41, exec_lo
	v_cmpx_ne_u32_e32 0, v10
	s_cbranch_execz .LBB2_4638
; %bb.4631:                             ;   in Loop: Header=BB2_4220 Depth=2
	v_bfe_u32 v84, v10, 23, 8
	v_or_b32_e32 v82, 0x800000, v32
	s_delay_alu instid0(VALU_DEP_2) | instskip(SKIP_1) | instid1(VALU_DEP_2)
	v_sub_nc_u32_e32 v10, 0x71, v84
	v_cmp_gt_u32_e32 vcc_lo, 0x72, v84
	v_cndmask_b32_e32 v10, 0, v10, vcc_lo
	v_cmp_eq_u32_e32 vcc_lo, 0, v84
	s_delay_alu instid0(VALU_DEP_2) | instskip(NEXT) | instid1(VALU_DEP_1)
	v_cndmask_b32_e64 v85, v10, 0x70, vcc_lo
	v_dual_cndmask_b32 v32, v82, v32, vcc_lo :: v_dual_add_nc_u32 v10, 21, v85
	v_add_nc_u32_e32 v83, 20, v85
	s_delay_alu instid0(VALU_DEP_2) | instskip(NEXT) | instid1(VALU_DEP_2)
	v_lshlrev_b64_e64 v[10:11], v10, -1
	v_lshlrev_b64_e64 v[82:83], v83, 1
	s_delay_alu instid0(VALU_DEP_2) | instskip(NEXT) | instid1(VALU_DEP_3)
	v_bfi_b32 v61, v11, 0, 0
	v_bfi_b32 v60, v10, 0, v32
	v_lshrrev_b64 v[10:11], v85, v[32:33]
	s_delay_alu instid0(VALU_DEP_2) | instskip(NEXT) | instid1(VALU_DEP_2)
	v_cmp_eq_u64_e64 s7, v[60:61], v[82:83]
	v_mov_b64_e32 v[82:83], v[10:11]
	s_and_saveexec_b32 s42, s7
; %bb.4632:                             ;   in Loop: Header=BB2_4220 Depth=2
	v_bfe_u32 v32, v10, 21, 1
	s_delay_alu instid0(VALU_DEP_1) | instskip(NEXT) | instid1(VALU_DEP_1)
	v_add_nc_u64_e32 v[82:83], v[10:11], v[32:33]
	v_add_nc_u64_e32 v[82:83], -1, v[82:83]
; %bb.4633:                             ;   in Loop: Header=BB2_4220 Depth=2
	s_or_b32 exec_lo, exec_lo, s42
	v_add_nc_u32_e32 v11, 0xffffff81, v84
	v_lshrrev_b32_e32 v32, 23, v10
	s_mov_b32 s7, exec_lo
	s_delay_alu instid0(VALU_DEP_2) | instskip(NEXT) | instid1(VALU_DEP_1)
	v_cndmask_b32_e64 v11, v11, 0xffffff82, vcc_lo
	v_add3_u32 v83, v85, v11, v32
	v_and_b32_e32 v11, 0x1fffff, v82
                                        ; implicit-def: $vgpr82
	s_delay_alu instid0(VALU_DEP_1) | instskip(NEXT) | instid1(VALU_DEP_1)
	v_dual_add_nc_u32 v84, 14, v83 :: v_dual_add_nc_u32 v32, v11, v10
                                        ; implicit-def: $vgpr10_vgpr11
	v_cmpx_ne_u32_e32 0, v84
	s_xor_b32 s7, exec_lo, s7
; %bb.4634:                             ;   in Loop: Header=BB2_4220 Depth=2
	s_delay_alu instid0(VALU_DEP_2) | instskip(SKIP_1) | instid1(VALU_DEP_1)
	v_cmp_lt_u64_e32 vcc_lo, 0xffffff, v[32:33]
	v_add_nc_u32_e32 v10, 15, v83
	v_cndmask_b32_e32 v82, v84, v10, vcc_lo
	v_cndmask_b32_e64 v10, 0, 1, vcc_lo
	s_delay_alu instid0(VALU_DEP_1)
	v_lshrrev_b64 v[10:11], v10, v[32:33]
; %bb.4635:                             ;   in Loop: Header=BB2_4220 Depth=2
	s_and_not1_saveexec_b32 s7, s7
; %bb.4636:                             ;   in Loop: Header=BB2_4220 Depth=2
	v_mov_b64_e32 v[10:11], v[32:33]
	v_bfe_u32 v82, v32, 23, 1
; %bb.4637:                             ;   in Loop: Header=BB2_4220 Depth=2
	s_or_b32 exec_lo, exec_lo, s7
	s_delay_alu instid0(VALU_DEP_2) | instskip(NEXT) | instid1(VALU_DEP_2)
	v_lshrrev_b64 v[10:11], 21, v[10:11]
	v_cmp_gt_i32_e32 vcc_lo, 32, v82
	v_min_i32_e32 v32, 31, v82
	v_cmp_eq_u32_e64 s7, 0, v82
	s_delay_alu instid0(VALU_DEP_2) | instskip(SKIP_1) | instid1(VALU_DEP_2)
	v_dual_cndmask_b32 v11, 0, v11 :: v_dual_lshlrev_b32 v32, 2, v32
	v_cndmask_b32_e32 v10, 3, v10, vcc_lo
	v_and_b32_e32 v32, 0xfc, v32
	s_delay_alu instid0(VALU_DEP_2) | instskip(NEXT) | instid1(VALU_DEP_2)
	v_cmp_eq_u64_e32 vcc_lo, 0, v[10:11]
	v_and_or_b32 v10, v10, 3, v32
	s_and_b32 s7, s7, vcc_lo
	s_delay_alu instid0(VALU_DEP_1) | instid1(SALU_CYCLE_1)
	v_cndmask_b32_e64 v10, v10, 0, s7
	s_delay_alu instid0(VALU_DEP_1)
	v_or_b32_e32 v103, v10, v30
.LBB2_4638:                             ;   in Loop: Header=BB2_4220 Depth=2
	s_or_b32 exec_lo, exec_lo, s41
                                        ; implicit-def: $vgpr30
.LBB2_4639:                             ;   in Loop: Header=BB2_4220 Depth=2
	s_and_not1_saveexec_b32 s7, s40
; %bb.4640:                             ;   in Loop: Header=BB2_4220 Depth=2
	v_or_b32_e32 v103, 0x7b, v30
; %bb.4641:                             ;   in Loop: Header=BB2_4220 Depth=2
	s_or_b32 exec_lo, exec_lo, s7
                                        ; implicit-def: $vgpr10
                                        ; implicit-def: $vgpr11
.LBB2_4642:                             ;   in Loop: Header=BB2_4220 Depth=2
	s_and_not1_saveexec_b32 s7, s29
	s_cbranch_execz .LBB2_4648
; %bb.4643:                             ;   in Loop: Header=BB2_4220 Depth=2
	s_mov_b32 s29, exec_lo
                                        ; implicit-def: $vgpr103
	v_cmpx_ne_u64_e32 0, v[32:33]
	s_xor_b32 s29, exec_lo, s29
; %bb.4644:                             ;   in Loop: Header=BB2_4220 Depth=2
	v_or_b32_e32 v103, 0x7f, v11
                                        ; implicit-def: $vgpr10
; %bb.4645:                             ;   in Loop: Header=BB2_4220 Depth=2
	s_and_not1_saveexec_b32 s29, s29
; %bb.4646:                             ;   in Loop: Header=BB2_4220 Depth=2
	v_cmp_lt_i32_e32 vcc_lo, -1, v10
	v_cndmask_b32_e32 v103, 0xfc, v46, vcc_lo
; %bb.4647:                             ;   in Loop: Header=BB2_4220 Depth=2
	s_or_b32 exec_lo, exec_lo, s29
.LBB2_4648:                             ;   in Loop: Header=BB2_4220 Depth=2
	s_delay_alu instid0(SALU_CYCLE_1) | instskip(SKIP_2) | instid1(VALU_DEP_1)
	s_or_b32 exec_lo, exec_lo, s7
	v_dual_mov_b32 v11, 0 :: v_dual_lshrrev_b32 v10, 16, v13
	s_mov_b32 s7, exec_lo
	v_and_b32_e32 v30, 0xff, v10
	s_delay_alu instid0(VALU_DEP_1)
	v_cmpx_ne_u16_e32 0, v30
	s_cbranch_execz .LBB2_4658
; %bb.4649:                             ;   in Loop: Header=BB2_4220 Depth=2
	v_bfrev_b32_e32 v11, 1
	s_mov_b32 s29, exec_lo
	v_cmpx_ne_u16_e32 0x80, v30
	s_cbranch_execz .LBB2_4657
; %bb.4650:                             ;   in Loop: Header=BB2_4220 Depth=2
	v_and_b32_e32 v11, 0x7c0000, v13
	v_bfe_u32 v30, v13, 16, 2
	s_delay_alu instid0(VALU_DEP_2) | instskip(SKIP_1) | instid1(SALU_CYCLE_1)
	v_cmp_ne_u32_e32 vcc_lo, 0x7c0000, v11
                                        ; implicit-def: $vgpr11
	s_and_saveexec_b32 s40, vcc_lo
	s_xor_b32 s40, exec_lo, s40
	s_cbranch_execz .LBB2_4654
; %bb.4651:                             ;   in Loop: Header=BB2_4220 Depth=2
	v_bfe_u32 v11, v13, 18, 5
	s_mov_b32 s41, exec_lo
	s_delay_alu instid0(VALU_DEP_1)
	v_cmpx_eq_u32_e32 0, v11
; %bb.4652:                             ;   in Loop: Header=BB2_4220 Depth=2
	v_clz_i32_u32_e32 v11, v30
	s_delay_alu instid0(VALU_DEP_1) | instskip(NEXT) | instid1(VALU_DEP_1)
	v_min_u32_e32 v11, 32, v11
	v_subrev_nc_u32_e32 v30, 29, v11
	s_delay_alu instid0(VALU_DEP_1) | instskip(NEXT) | instid1(VALU_DEP_1)
	v_lshlrev_b64_e32 v[82:83], v30, v[10:11]
	v_dual_sub_nc_u32 v11, 30, v11 :: v_dual_bitop2_b32 v30, 3, v82 bitop3:0x40
; %bb.4653:                             ;   in Loop: Header=BB2_4220 Depth=2
	s_or_b32 exec_lo, exec_lo, s41
	v_lshlrev_b32_e32 v10, 24, v10
	s_delay_alu instid0(VALU_DEP_1) | instskip(NEXT) | instid1(VALU_DEP_1)
	v_and_b32_e32 v10, 0x80000000, v10
	v_lshl_add_u32 v10, v11, 23, v10
	s_delay_alu instid0(VALU_DEP_1) | instskip(NEXT) | instid1(VALU_DEP_1)
	v_lshl_or_b32 v10, v30, 21, v10
                                        ; implicit-def: $vgpr30
	v_add_nc_u32_e32 v11, 0x38000000, v10
                                        ; implicit-def: $vgpr10
.LBB2_4654:                             ;   in Loop: Header=BB2_4220 Depth=2
	s_and_not1_saveexec_b32 s40, s40
; %bb.4655:                             ;   in Loop: Header=BB2_4220 Depth=2
	v_bfe_i32 v10, v10, 0, 8
	s_delay_alu instid0(VALU_DEP_1) | instskip(SKIP_2) | instid1(VALU_DEP_2)
	v_cmp_lt_i16_e32 vcc_lo, -1, v10
	v_cndmask_b32_e32 v10, 0xff800000, v45, vcc_lo
	v_cmp_eq_u32_e32 vcc_lo, 0, v30
	v_cndmask_b32_e32 v11, 0x7f800001, v10, vcc_lo
; %bb.4656:                             ;   in Loop: Header=BB2_4220 Depth=2
	s_or_b32 exec_lo, exec_lo, s40
.LBB2_4657:                             ;   in Loop: Header=BB2_4220 Depth=2
	s_delay_alu instid0(SALU_CYCLE_1)
	s_or_b32 exec_lo, exec_lo, s29
.LBB2_4658:                             ;   in Loop: Header=BB2_4220 Depth=2
	s_delay_alu instid0(SALU_CYCLE_1) | instskip(NEXT) | instid1(VALU_DEP_1)
	s_or_b32 exec_lo, exec_lo, s7
	v_dual_mul_f32 v10, s28, v11 :: v_dual_mov_b32 v83, v33
                                        ; implicit-def: $vgpr113
	s_mov_b32 s7, exec_lo
	s_delay_alu instid0(VALU_DEP_1) | instskip(SKIP_2) | instid1(VALU_DEP_3)
	v_and_b32_e32 v82, 0x7f800000, v10
	v_and_b32_e32 v32, 0x7fffff, v10
	v_lshrrev_b32_e32 v11, 24, v10
	v_cmpx_ne_u64_e32 0x7f800000, v[82:83]
	s_xor_b32 s29, exec_lo, s7
	s_cbranch_execz .LBB2_4672
; %bb.4659:                             ;   in Loop: Header=BB2_4220 Depth=2
	v_and_b32_e32 v82, 0x7fffffff, v10
	v_mov_b32_e32 v83, v33
	v_and_b32_e32 v30, 0x80, v11
                                        ; implicit-def: $vgpr113
	s_mov_b32 s7, exec_lo
	s_delay_alu instid0(VALU_DEP_2)
	v_cmpx_gt_u64_e32 0x47600001, v[82:83]
	s_xor_b32 s40, exec_lo, s7
	s_cbranch_execz .LBB2_4669
; %bb.4660:                             ;   in Loop: Header=BB2_4220 Depth=2
	v_mov_b32_e32 v113, 0
	s_mov_b32 s41, exec_lo
	v_cmpx_ne_u32_e32 0, v10
	s_cbranch_execz .LBB2_4668
; %bb.4661:                             ;   in Loop: Header=BB2_4220 Depth=2
	v_bfe_u32 v84, v10, 23, 8
	v_or_b32_e32 v82, 0x800000, v32
	s_delay_alu instid0(VALU_DEP_2) | instskip(SKIP_1) | instid1(VALU_DEP_2)
	v_sub_nc_u32_e32 v10, 0x71, v84
	v_cmp_gt_u32_e32 vcc_lo, 0x72, v84
	v_cndmask_b32_e32 v10, 0, v10, vcc_lo
	v_cmp_eq_u32_e32 vcc_lo, 0, v84
	s_delay_alu instid0(VALU_DEP_2) | instskip(NEXT) | instid1(VALU_DEP_1)
	v_cndmask_b32_e64 v85, v10, 0x70, vcc_lo
	v_dual_cndmask_b32 v32, v82, v32, vcc_lo :: v_dual_add_nc_u32 v10, 21, v85
	v_add_nc_u32_e32 v83, 20, v85
	s_delay_alu instid0(VALU_DEP_2) | instskip(NEXT) | instid1(VALU_DEP_2)
	v_lshlrev_b64_e64 v[10:11], v10, -1
	v_lshlrev_b64_e64 v[82:83], v83, 1
	s_delay_alu instid0(VALU_DEP_2) | instskip(NEXT) | instid1(VALU_DEP_3)
	v_bfi_b32 v61, v11, 0, 0
	v_bfi_b32 v60, v10, 0, v32
	v_lshrrev_b64 v[10:11], v85, v[32:33]
	s_delay_alu instid0(VALU_DEP_2) | instskip(NEXT) | instid1(VALU_DEP_2)
	v_cmp_eq_u64_e64 s7, v[60:61], v[82:83]
	v_mov_b64_e32 v[82:83], v[10:11]
	s_and_saveexec_b32 s42, s7
; %bb.4662:                             ;   in Loop: Header=BB2_4220 Depth=2
	v_bfe_u32 v32, v10, 21, 1
	s_delay_alu instid0(VALU_DEP_1) | instskip(NEXT) | instid1(VALU_DEP_1)
	v_add_nc_u64_e32 v[82:83], v[10:11], v[32:33]
	v_add_nc_u64_e32 v[82:83], -1, v[82:83]
; %bb.4663:                             ;   in Loop: Header=BB2_4220 Depth=2
	s_or_b32 exec_lo, exec_lo, s42
	v_add_nc_u32_e32 v11, 0xffffff81, v84
	v_lshrrev_b32_e32 v32, 23, v10
	s_mov_b32 s7, exec_lo
	s_delay_alu instid0(VALU_DEP_2) | instskip(NEXT) | instid1(VALU_DEP_1)
	v_cndmask_b32_e64 v11, v11, 0xffffff82, vcc_lo
	v_add3_u32 v83, v85, v11, v32
	v_and_b32_e32 v11, 0x1fffff, v82
                                        ; implicit-def: $vgpr82
	s_delay_alu instid0(VALU_DEP_1) | instskip(NEXT) | instid1(VALU_DEP_1)
	v_dual_add_nc_u32 v84, 14, v83 :: v_dual_add_nc_u32 v32, v11, v10
                                        ; implicit-def: $vgpr10_vgpr11
	v_cmpx_ne_u32_e32 0, v84
	s_xor_b32 s7, exec_lo, s7
; %bb.4664:                             ;   in Loop: Header=BB2_4220 Depth=2
	s_delay_alu instid0(VALU_DEP_2) | instskip(SKIP_1) | instid1(VALU_DEP_1)
	v_cmp_lt_u64_e32 vcc_lo, 0xffffff, v[32:33]
	v_add_nc_u32_e32 v10, 15, v83
	v_cndmask_b32_e32 v82, v84, v10, vcc_lo
	v_cndmask_b32_e64 v10, 0, 1, vcc_lo
	s_delay_alu instid0(VALU_DEP_1)
	v_lshrrev_b64 v[10:11], v10, v[32:33]
; %bb.4665:                             ;   in Loop: Header=BB2_4220 Depth=2
	s_and_not1_saveexec_b32 s7, s7
; %bb.4666:                             ;   in Loop: Header=BB2_4220 Depth=2
	v_mov_b64_e32 v[10:11], v[32:33]
	v_bfe_u32 v82, v32, 23, 1
; %bb.4667:                             ;   in Loop: Header=BB2_4220 Depth=2
	s_or_b32 exec_lo, exec_lo, s7
	s_delay_alu instid0(VALU_DEP_2) | instskip(NEXT) | instid1(VALU_DEP_2)
	v_lshrrev_b64 v[10:11], 21, v[10:11]
	v_cmp_gt_i32_e32 vcc_lo, 32, v82
	v_min_i32_e32 v32, 31, v82
	v_cmp_eq_u32_e64 s7, 0, v82
	s_delay_alu instid0(VALU_DEP_2) | instskip(SKIP_1) | instid1(VALU_DEP_2)
	v_dual_cndmask_b32 v11, 0, v11 :: v_dual_lshlrev_b32 v32, 2, v32
	v_cndmask_b32_e32 v10, 3, v10, vcc_lo
	v_and_b32_e32 v32, 0xfc, v32
	s_delay_alu instid0(VALU_DEP_2) | instskip(NEXT) | instid1(VALU_DEP_2)
	v_cmp_eq_u64_e32 vcc_lo, 0, v[10:11]
	v_and_or_b32 v10, v10, 3, v32
	s_and_b32 s7, s7, vcc_lo
	s_delay_alu instid0(VALU_DEP_1) | instid1(SALU_CYCLE_1)
	v_cndmask_b32_e64 v10, v10, 0, s7
	s_delay_alu instid0(VALU_DEP_1)
	v_or_b32_e32 v113, v10, v30
.LBB2_4668:                             ;   in Loop: Header=BB2_4220 Depth=2
	s_or_b32 exec_lo, exec_lo, s41
                                        ; implicit-def: $vgpr30
.LBB2_4669:                             ;   in Loop: Header=BB2_4220 Depth=2
	s_and_not1_saveexec_b32 s7, s40
; %bb.4670:                             ;   in Loop: Header=BB2_4220 Depth=2
	v_or_b32_e32 v113, 0x7b, v30
; %bb.4671:                             ;   in Loop: Header=BB2_4220 Depth=2
	s_or_b32 exec_lo, exec_lo, s7
                                        ; implicit-def: $vgpr10
                                        ; implicit-def: $vgpr11
.LBB2_4672:                             ;   in Loop: Header=BB2_4220 Depth=2
	s_and_not1_saveexec_b32 s7, s29
	s_cbranch_execz .LBB2_4678
; %bb.4673:                             ;   in Loop: Header=BB2_4220 Depth=2
	s_mov_b32 s29, exec_lo
                                        ; implicit-def: $vgpr113
	v_cmpx_ne_u64_e32 0, v[32:33]
	s_xor_b32 s29, exec_lo, s29
; %bb.4674:                             ;   in Loop: Header=BB2_4220 Depth=2
	v_or_b32_e32 v113, 0x7f, v11
                                        ; implicit-def: $vgpr10
; %bb.4675:                             ;   in Loop: Header=BB2_4220 Depth=2
	s_and_not1_saveexec_b32 s29, s29
; %bb.4676:                             ;   in Loop: Header=BB2_4220 Depth=2
	v_cmp_lt_i32_e32 vcc_lo, -1, v10
	v_cndmask_b32_e32 v113, 0xfc, v46, vcc_lo
; %bb.4677:                             ;   in Loop: Header=BB2_4220 Depth=2
	s_or_b32 exec_lo, exec_lo, s29
.LBB2_4678:                             ;   in Loop: Header=BB2_4220 Depth=2
	s_delay_alu instid0(SALU_CYCLE_1)
	s_or_b32 exec_lo, exec_lo, s7
	v_mov_b32_e32 v11, 0
	s_mov_b32 s7, exec_lo
	v_cmpx_lt_u64_e64 s[12:13], v[12:13]
	s_cbranch_execz .LBB2_4688
; %bb.4679:                             ;   in Loop: Header=BB2_4220 Depth=2
	v_lshrrev_b32_e32 v10, 24, v13
	v_bfrev_b32_e32 v11, 1
	s_mov_b32 s29, exec_lo
	s_delay_alu instid0(VALU_DEP_2)
	v_cmpx_ne_u32_e32 0x80, v10
	s_cbranch_execz .LBB2_4687
; %bb.4680:                             ;   in Loop: Header=BB2_4220 Depth=2
	v_and_b32_e32 v11, 0x7c000000, v13
	v_bfe_u32 v30, v13, 24, 2
	s_delay_alu instid0(VALU_DEP_2) | instskip(SKIP_1) | instid1(SALU_CYCLE_1)
	v_cmp_ne_u32_e32 vcc_lo, 0x7c000000, v11
                                        ; implicit-def: $vgpr11
	s_and_saveexec_b32 s40, vcc_lo
	s_xor_b32 s40, exec_lo, s40
	s_cbranch_execz .LBB2_4684
; %bb.4681:                             ;   in Loop: Header=BB2_4220 Depth=2
	v_bfe_u32 v11, v13, 26, 5
	s_mov_b32 s41, exec_lo
	s_delay_alu instid0(VALU_DEP_1)
	v_cmpx_eq_u32_e32 0, v11
; %bb.4682:                             ;   in Loop: Header=BB2_4220 Depth=2
	v_clz_i32_u32_e32 v11, v30
	s_delay_alu instid0(VALU_DEP_1) | instskip(NEXT) | instid1(VALU_DEP_1)
	v_min_u32_e32 v12, 32, v11
	v_subrev_nc_u32_e32 v11, 29, v12
	s_delay_alu instid0(VALU_DEP_1) | instskip(NEXT) | instid1(VALU_DEP_1)
	v_lshlrev_b64_e32 v[10:11], v11, v[10:11]
	v_dual_sub_nc_u32 v11, 30, v12 :: v_dual_bitop2_b32 v30, 3, v10 bitop3:0x40
; %bb.4683:                             ;   in Loop: Header=BB2_4220 Depth=2
	s_or_b32 exec_lo, exec_lo, s41
	v_and_b32_e32 v10, 0x80000000, v13
                                        ; implicit-def: $vgpr12_vgpr13
	s_delay_alu instid0(VALU_DEP_1) | instskip(NEXT) | instid1(VALU_DEP_1)
	v_lshl_add_u32 v10, v11, 23, v10
	v_lshl_or_b32 v10, v30, 21, v10
                                        ; implicit-def: $vgpr30
	s_delay_alu instid0(VALU_DEP_1)
	v_add_nc_u32_e32 v11, 0x38000000, v10
.LBB2_4684:                             ;   in Loop: Header=BB2_4220 Depth=2
	s_and_not1_saveexec_b32 s40, s40
; %bb.4685:                             ;   in Loop: Header=BB2_4220 Depth=2
	v_cmp_lt_i64_e32 vcc_lo, -1, v[12:13]
	v_cndmask_b32_e32 v10, 0xff800000, v45, vcc_lo
	v_cmp_eq_u32_e32 vcc_lo, 0, v30
	s_delay_alu instid0(VALU_DEP_2)
	v_cndmask_b32_e32 v11, 0x7f800001, v10, vcc_lo
; %bb.4686:                             ;   in Loop: Header=BB2_4220 Depth=2
	s_or_b32 exec_lo, exec_lo, s40
.LBB2_4687:                             ;   in Loop: Header=BB2_4220 Depth=2
	s_delay_alu instid0(SALU_CYCLE_1)
	s_or_b32 exec_lo, exec_lo, s29
.LBB2_4688:                             ;   in Loop: Header=BB2_4220 Depth=2
	s_delay_alu instid0(SALU_CYCLE_1) | instskip(NEXT) | instid1(VALU_DEP_1)
	s_or_b32 exec_lo, exec_lo, s7
	v_dual_mul_f32 v10, s28, v11 :: v_dual_mov_b32 v13, v33
                                        ; implicit-def: $vgpr116
	s_mov_b32 s7, exec_lo
	s_delay_alu instid0(VALU_DEP_1) | instskip(SKIP_2) | instid1(VALU_DEP_3)
	v_and_b32_e32 v12, 0x7f800000, v10
	v_and_b32_e32 v32, 0x7fffff, v10
	v_lshrrev_b32_e32 v11, 24, v10
	v_cmpx_ne_u64_e32 0x7f800000, v[12:13]
	s_xor_b32 s28, exec_lo, s7
	s_cbranch_execz .LBB2_4702
; %bb.4689:                             ;   in Loop: Header=BB2_4220 Depth=2
	v_and_b32_e32 v12, 0x7fffffff, v10
	v_mov_b32_e32 v13, v33
	v_and_b32_e32 v30, 0x80, v11
                                        ; implicit-def: $vgpr116
	s_mov_b32 s7, exec_lo
	s_delay_alu instid0(VALU_DEP_2)
	v_cmpx_gt_u64_e32 0x47600001, v[12:13]
	s_xor_b32 s29, exec_lo, s7
	s_cbranch_execz .LBB2_4699
; %bb.4690:                             ;   in Loop: Header=BB2_4220 Depth=2
	v_mov_b32_e32 v116, 0
	s_mov_b32 s40, exec_lo
	v_cmpx_ne_u32_e32 0, v10
	s_cbranch_execz .LBB2_4698
; %bb.4691:                             ;   in Loop: Header=BB2_4220 Depth=2
	v_bfe_u32 v82, v10, 23, 8
	v_or_b32_e32 v12, 0x800000, v32
	s_delay_alu instid0(VALU_DEP_2) | instskip(SKIP_1) | instid1(VALU_DEP_2)
	v_sub_nc_u32_e32 v10, 0x71, v82
	v_cmp_gt_u32_e32 vcc_lo, 0x72, v82
	v_cndmask_b32_e32 v10, 0, v10, vcc_lo
	v_cmp_eq_u32_e32 vcc_lo, 0, v82
	s_delay_alu instid0(VALU_DEP_2) | instskip(NEXT) | instid1(VALU_DEP_1)
	v_cndmask_b32_e64 v83, v10, 0x70, vcc_lo
	v_dual_cndmask_b32 v32, v12, v32, vcc_lo :: v_dual_add_nc_u32 v10, 21, v83
	v_add_nc_u32_e32 v13, 20, v83
	s_delay_alu instid0(VALU_DEP_2) | instskip(NEXT) | instid1(VALU_DEP_2)
	v_lshlrev_b64_e64 v[10:11], v10, -1
	v_lshlrev_b64_e64 v[12:13], v13, 1
	s_delay_alu instid0(VALU_DEP_2) | instskip(NEXT) | instid1(VALU_DEP_3)
	v_bfi_b32 v85, v11, 0, 0
	v_bfi_b32 v84, v10, 0, v32
	v_lshrrev_b64 v[10:11], v83, v[32:33]
	s_delay_alu instid0(VALU_DEP_2) | instskip(NEXT) | instid1(VALU_DEP_2)
	v_cmp_eq_u64_e64 s7, v[84:85], v[12:13]
	v_mov_b64_e32 v[12:13], v[10:11]
	s_and_saveexec_b32 s41, s7
; %bb.4692:                             ;   in Loop: Header=BB2_4220 Depth=2
	v_bfe_u32 v32, v10, 21, 1
	s_delay_alu instid0(VALU_DEP_1) | instskip(NEXT) | instid1(VALU_DEP_1)
	v_add_nc_u64_e32 v[12:13], v[10:11], v[32:33]
	v_add_nc_u64_e32 v[12:13], -1, v[12:13]
; %bb.4693:                             ;   in Loop: Header=BB2_4220 Depth=2
	s_or_b32 exec_lo, exec_lo, s41
	v_add_nc_u32_e32 v11, 0xffffff81, v82
	v_lshrrev_b32_e32 v13, 23, v10
	s_mov_b32 s7, exec_lo
	s_delay_alu instid0(VALU_DEP_2) | instskip(NEXT) | instid1(VALU_DEP_1)
	v_cndmask_b32_e64 v11, v11, 0xffffff82, vcc_lo
	v_add3_u32 v13, v83, v11, v13
	v_and_b32_e32 v11, 0x1fffff, v12
                                        ; implicit-def: $vgpr12
	s_delay_alu instid0(VALU_DEP_1) | instskip(NEXT) | instid1(VALU_DEP_1)
	v_dual_add_nc_u32 v82, 14, v13 :: v_dual_add_nc_u32 v32, v11, v10
                                        ; implicit-def: $vgpr10_vgpr11
	v_cmpx_ne_u32_e32 0, v82
	s_xor_b32 s7, exec_lo, s7
; %bb.4694:                             ;   in Loop: Header=BB2_4220 Depth=2
	s_delay_alu instid0(VALU_DEP_2) | instskip(SKIP_1) | instid1(VALU_DEP_1)
	v_cmp_lt_u64_e32 vcc_lo, 0xffffff, v[32:33]
	v_add_nc_u32_e32 v10, 15, v13
	v_cndmask_b32_e32 v12, v82, v10, vcc_lo
	v_cndmask_b32_e64 v10, 0, 1, vcc_lo
	s_delay_alu instid0(VALU_DEP_1)
	v_lshrrev_b64 v[10:11], v10, v[32:33]
; %bb.4695:                             ;   in Loop: Header=BB2_4220 Depth=2
	s_and_not1_saveexec_b32 s7, s7
; %bb.4696:                             ;   in Loop: Header=BB2_4220 Depth=2
	v_mov_b64_e32 v[10:11], v[32:33]
	v_bfe_u32 v12, v32, 23, 1
; %bb.4697:                             ;   in Loop: Header=BB2_4220 Depth=2
	s_or_b32 exec_lo, exec_lo, s7
	s_delay_alu instid0(VALU_DEP_2) | instskip(NEXT) | instid1(VALU_DEP_2)
	v_lshrrev_b64 v[10:11], 21, v[10:11]
	v_cmp_gt_i32_e32 vcc_lo, 32, v12
	v_min_i32_e32 v13, 31, v12
	v_cmp_eq_u32_e64 s7, 0, v12
	s_delay_alu instid0(VALU_DEP_2) | instskip(SKIP_1) | instid1(VALU_DEP_2)
	v_dual_cndmask_b32 v11, 0, v11, vcc_lo :: v_dual_lshlrev_b32 v13, 2, v13
	v_cndmask_b32_e32 v10, 3, v10, vcc_lo
	v_and_b32_e32 v13, 0xfc, v13
	s_delay_alu instid0(VALU_DEP_2) | instskip(NEXT) | instid1(VALU_DEP_2)
	v_cmp_eq_u64_e32 vcc_lo, 0, v[10:11]
	v_and_or_b32 v10, v10, 3, v13
	s_and_b32 s7, s7, vcc_lo
	s_delay_alu instid0(VALU_DEP_1) | instid1(SALU_CYCLE_1)
	v_cndmask_b32_e64 v10, v10, 0, s7
	s_delay_alu instid0(VALU_DEP_1)
	v_or_b32_e32 v116, v10, v30
.LBB2_4698:                             ;   in Loop: Header=BB2_4220 Depth=2
	s_or_b32 exec_lo, exec_lo, s40
                                        ; implicit-def: $vgpr30
.LBB2_4699:                             ;   in Loop: Header=BB2_4220 Depth=2
	s_and_not1_saveexec_b32 s7, s29
; %bb.4700:                             ;   in Loop: Header=BB2_4220 Depth=2
	v_or_b32_e32 v116, 0x7b, v30
; %bb.4701:                             ;   in Loop: Header=BB2_4220 Depth=2
	s_or_b32 exec_lo, exec_lo, s7
                                        ; implicit-def: $vgpr10
                                        ; implicit-def: $vgpr11
.LBB2_4702:                             ;   in Loop: Header=BB2_4220 Depth=2
	s_and_not1_saveexec_b32 s7, s28
	s_cbranch_execz .LBB2_4708
; %bb.4703:                             ;   in Loop: Header=BB2_4220 Depth=2
	s_mov_b32 s28, exec_lo
                                        ; implicit-def: $vgpr116
	v_cmpx_ne_u64_e32 0, v[32:33]
	s_xor_b32 s28, exec_lo, s28
; %bb.4704:                             ;   in Loop: Header=BB2_4220 Depth=2
	v_or_b32_e32 v116, 0x7f, v11
                                        ; implicit-def: $vgpr10
; %bb.4705:                             ;   in Loop: Header=BB2_4220 Depth=2
	s_and_not1_saveexec_b32 s28, s28
; %bb.4706:                             ;   in Loop: Header=BB2_4220 Depth=2
	v_cmp_lt_i32_e32 vcc_lo, -1, v10
	v_cndmask_b32_e32 v116, 0xfc, v46, vcc_lo
; %bb.4707:                             ;   in Loop: Header=BB2_4220 Depth=2
	s_or_b32 exec_lo, exec_lo, s28
.LBB2_4708:                             ;   in Loop: Header=BB2_4220 Depth=2
	s_delay_alu instid0(SALU_CYCLE_1) | instskip(SKIP_4) | instid1(VALU_DEP_1)
	s_or_b32 exec_lo, exec_lo, s7
	global_load_b128 v[10:13], v[80:81], off th:TH_LOAD_NT
	v_lshl_or_b32 v30, v99, 8, v87
	v_dual_lshlrev_b32 v32, 16, v101 :: v_dual_lshlrev_b32 v82, 24, v112
	s_mov_b32 s7, exec_lo
	v_or3_b32 v32, v32, v82, v30
	v_mov_b32_e32 v82, 0
	s_wait_xcnt 0x0
	v_cmpx_ne_u32_e32 0, v87
	s_cbranch_execz .LBB2_4718
; %bb.4709:                             ;   in Loop: Header=BB2_4220 Depth=2
	v_bfrev_b32_e32 v82, 1
	s_mov_b32 s28, exec_lo
	v_cmpx_ne_u32_e32 0x80, v87
	s_cbranch_execz .LBB2_4717
; %bb.4710:                             ;   in Loop: Header=BB2_4220 Depth=2
	v_and_b32_e32 v82, 0x7c, v87
	v_and_b32_e32 v83, 3, v87
	s_delay_alu instid0(VALU_DEP_2) | instskip(SKIP_1) | instid1(SALU_CYCLE_1)
	v_cmp_ne_u32_e32 vcc_lo, 0x7c, v82
                                        ; implicit-def: $vgpr82
	s_and_saveexec_b32 s29, vcc_lo
	s_xor_b32 s29, exec_lo, s29
	s_cbranch_execz .LBB2_4714
; %bb.4711:                             ;   in Loop: Header=BB2_4220 Depth=2
	v_bfe_u32 v82, v87, 2, 5
	s_mov_b32 s40, exec_lo
	s_delay_alu instid0(VALU_DEP_1)
	v_cmpx_eq_u32_e32 0, v82
; %bb.4712:                             ;   in Loop: Header=BB2_4220 Depth=2
	v_clz_i32_u32_e32 v82, v83
	s_delay_alu instid0(VALU_DEP_1) | instskip(NEXT) | instid1(VALU_DEP_1)
	v_min_u32_e32 v82, 32, v82
	v_subrev_nc_u32_e32 v83, 29, v82
	s_delay_alu instid0(VALU_DEP_1) | instskip(NEXT) | instid1(VALU_DEP_1)
	v_lshlrev_b64_e32 v[84:85], v83, v[32:33]
	v_dual_sub_nc_u32 v82, 30, v82 :: v_dual_bitop2_b32 v83, 3, v84 bitop3:0x40
; %bb.4713:                             ;   in Loop: Header=BB2_4220 Depth=2
	s_or_b32 exec_lo, exec_lo, s40
	v_lshlrev_b32_e32 v84, 24, v87
                                        ; implicit-def: $vgpr87
	s_delay_alu instid0(VALU_DEP_1) | instskip(NEXT) | instid1(VALU_DEP_1)
	v_and_b32_e32 v84, 0x80000000, v84
	v_lshl_add_u32 v82, v82, 23, v84
	s_delay_alu instid0(VALU_DEP_1) | instskip(NEXT) | instid1(VALU_DEP_1)
	v_lshl_or_b32 v82, v83, 21, v82
                                        ; implicit-def: $vgpr83
	v_add_nc_u32_e32 v82, 0x38000000, v82
.LBB2_4714:                             ;   in Loop: Header=BB2_4220 Depth=2
	s_and_not1_saveexec_b32 s29, s29
; %bb.4715:                             ;   in Loop: Header=BB2_4220 Depth=2
	v_and_b32_e32 v82, 0x80, v87
	s_delay_alu instid0(VALU_DEP_1) | instskip(SKIP_2) | instid1(VALU_DEP_2)
	v_cmp_eq_u32_e32 vcc_lo, 0, v82
	v_cndmask_b32_e32 v82, 0xff800000, v45, vcc_lo
	v_cmp_eq_u32_e32 vcc_lo, 0, v83
	v_cndmask_b32_e32 v82, 0x7f800001, v82, vcc_lo
; %bb.4716:                             ;   in Loop: Header=BB2_4220 Depth=2
	s_or_b32 exec_lo, exec_lo, s29
.LBB2_4717:                             ;   in Loop: Header=BB2_4220 Depth=2
	s_delay_alu instid0(SALU_CYCLE_1)
	s_or_b32 exec_lo, exec_lo, s28
.LBB2_4718:                             ;   in Loop: Header=BB2_4220 Depth=2
	s_delay_alu instid0(SALU_CYCLE_1) | instskip(SKIP_4) | instid1(VALU_DEP_1)
	s_or_b32 exec_lo, exec_lo, s7
	s_wait_loadcnt 0x0
	v_and_b32_e32 v84, 0xff, v10
	s_mov_b32 s28, 0
	s_mov_b32 s7, exec_lo
	v_cmpx_lt_i16_e32 0x7f, v84
	s_xor_b32 s7, exec_lo, s7
	s_cbranch_execnz .LBB2_5235
; %bb.4719:                             ;   in Loop: Header=BB2_4220 Depth=2
	s_or_saveexec_b32 s7, s7
	v_bfrev_b32_e32 v83, 1
	s_xor_b32 exec_lo, exec_lo, s7
	s_cbranch_execnz .LBB2_5238
.LBB2_4720:                             ;   in Loop: Header=BB2_4220 Depth=2
	s_or_b32 exec_lo, exec_lo, s7
	s_and_saveexec_b32 s7, s28
	s_cbranch_execz .LBB2_4722
.LBB2_4721:                             ;   in Loop: Header=BB2_4220 Depth=2
	v_and_b32_e32 v83, 3, v10
	v_bfe_u32 v99, v10, 2, 5
	s_delay_alu instid0(VALU_DEP_2) | instskip(NEXT) | instid1(VALU_DEP_2)
	v_clz_i32_u32_e32 v84, v83
	v_cmp_eq_u32_e32 vcc_lo, 0, v99
	s_delay_alu instid0(VALU_DEP_2) | instskip(NEXT) | instid1(VALU_DEP_1)
	v_min_u32_e32 v87, 32, v84
	v_subrev_nc_u32_e32 v84, 29, v87
	s_delay_alu instid0(VALU_DEP_1) | instskip(SKIP_1) | instid1(VALU_DEP_1)
	v_lshlrev_b64_e32 v[84:85], v84, v[10:11]
	v_dual_lshlrev_b32 v85, 24, v10 :: v_dual_sub_nc_u32 v87, 30, v87
	v_and_b32_e32 v85, 0x80000000, v85
	s_delay_alu instid0(VALU_DEP_2) | instskip(SKIP_1) | instid1(VALU_DEP_2)
	v_dual_cndmask_b32 v87, v99, v87, vcc_lo :: v_dual_bitop2_b32 v84, 3, v84 bitop3:0x40
	v_bfe_i32 v99, v10, 0, 8
	v_cndmask_b32_e32 v84, v83, v84, vcc_lo
	s_delay_alu instid0(VALU_DEP_3) | instskip(NEXT) | instid1(VALU_DEP_3)
	v_lshl_add_u32 v85, v87, 23, v85
	v_cmp_lt_i16_e32 vcc_lo, -1, v99
	s_delay_alu instid0(VALU_DEP_2) | instskip(SKIP_3) | instid1(VALU_DEP_4)
	v_lshl_or_b32 v84, v84, 21, v85
	v_cndmask_b32_e32 v87, 0xff800000, v45, vcc_lo
	v_and_b32_e32 v85, 0x7c, v10
	v_cmp_eq_u32_e32 vcc_lo, 0, v83
	v_add_nc_u32_e32 v84, 0x38000000, v84
	s_delay_alu instid0(VALU_DEP_4) | instskip(NEXT) | instid1(VALU_DEP_4)
	v_cndmask_b32_e32 v83, 0x7f800001, v87, vcc_lo
	v_cmp_eq_u32_e32 vcc_lo, 0x7c, v85
	s_delay_alu instid0(VALU_DEP_2)
	v_cndmask_b32_e32 v83, v84, v83, vcc_lo
.LBB2_4722:                             ;   in Loop: Header=BB2_4220 Depth=2
	s_or_b32 exec_lo, exec_lo, s7
	s_delay_alu instid0(VALU_DEP_1) | instskip(SKIP_2) | instid1(VALU_DEP_2)
	v_dual_add_f32 v84, v82, v83 :: v_dual_mov_b32 v61, v33
	v_mov_b32_e32 v83, v33
                                        ; implicit-def: $vgpr99
	s_mov_b32 s7, exec_lo
	v_and_b32_e32 v60, 0x7f800000, v84
	v_and_b32_e32 v82, 0x7fffff, v84
	v_lshrrev_b32_e32 v85, 24, v84
	s_delay_alu instid0(VALU_DEP_3)
	v_cmpx_ne_u64_e32 0x7f800000, v[60:61]
	s_xor_b32 s28, exec_lo, s7
	s_cbranch_execz .LBB2_4736
; %bb.4723:                             ;   in Loop: Header=BB2_4220 Depth=2
	v_and_b32_e32 v60, 0x7fffffff, v84
	v_mov_b32_e32 v61, v33
	v_and_b32_e32 v87, 0x80, v85
                                        ; implicit-def: $vgpr99
	s_mov_b32 s7, exec_lo
	s_delay_alu instid0(VALU_DEP_2)
	v_cmpx_gt_u64_e32 0x47600001, v[60:61]
	s_xor_b32 s29, exec_lo, s7
	s_cbranch_execz .LBB2_4733
; %bb.4724:                             ;   in Loop: Header=BB2_4220 Depth=2
	v_mov_b32_e32 v99, 0
	s_mov_b32 s40, exec_lo
	v_cmpx_ne_u32_e32 0, v84
	s_cbranch_execz .LBB2_4732
; %bb.4725:                             ;   in Loop: Header=BB2_4220 Depth=2
	v_bfe_u32 v99, v84, 23, 8
	v_or_b32_e32 v112, 0x800000, v82
	s_delay_alu instid0(VALU_DEP_2) | instskip(SKIP_1) | instid1(VALU_DEP_2)
	v_sub_nc_u32_e32 v84, 0x71, v99
	v_cmp_gt_u32_e32 vcc_lo, 0x72, v99
	v_cndmask_b32_e32 v84, 0, v84, vcc_lo
	v_cmp_eq_u32_e32 vcc_lo, 0, v99
	s_delay_alu instid0(VALU_DEP_2) | instskip(NEXT) | instid1(VALU_DEP_1)
	v_cndmask_b32_e64 v101, v84, 0x70, vcc_lo
	v_dual_cndmask_b32 v82, v112, v82, vcc_lo :: v_dual_add_nc_u32 v84, 21, v101
	v_add_nc_u32_e32 v115, 20, v101
	s_delay_alu instid0(VALU_DEP_2) | instskip(NEXT) | instid1(VALU_DEP_2)
	v_lshlrev_b64_e64 v[84:85], v84, -1
	v_lshlrev_b64_e64 v[60:61], v115, 1
	s_delay_alu instid0(VALU_DEP_2) | instskip(SKIP_1) | instid1(VALU_DEP_4)
	v_bfi_b32 v84, v84, 0, v82
	v_lshrrev_b64 v[82:83], v101, v[82:83]
	v_bfi_b32 v85, v85, 0, 0
	s_delay_alu instid0(VALU_DEP_1) | instskip(NEXT) | instid1(VALU_DEP_3)
	v_cmp_eq_u64_e64 s7, v[84:85], v[60:61]
	v_mov_b64_e32 v[84:85], v[82:83]
	s_and_saveexec_b32 s41, s7
; %bb.4726:                             ;   in Loop: Header=BB2_4220 Depth=2
	v_bfe_u32 v84, v82, 21, 1
	v_mov_b32_e32 v85, v33
	s_delay_alu instid0(VALU_DEP_1) | instskip(NEXT) | instid1(VALU_DEP_1)
	v_add_nc_u64_e32 v[84:85], v[82:83], v[84:85]
	v_add_nc_u64_e32 v[84:85], -1, v[84:85]
; %bb.4727:                             ;   in Loop: Header=BB2_4220 Depth=2
	s_or_b32 exec_lo, exec_lo, s41
	v_add_nc_u32_e32 v83, 0xffffff81, v99
	v_lshrrev_b32_e32 v85, 23, v82
	s_mov_b32 s7, exec_lo
	s_delay_alu instid0(VALU_DEP_2) | instskip(NEXT) | instid1(VALU_DEP_1)
	v_cndmask_b32_e64 v83, v83, 0xffffff82, vcc_lo
	v_add3_u32 v85, v101, v83, v85
	v_and_b32_e32 v83, 0x1fffff, v84
                                        ; implicit-def: $vgpr84
	s_delay_alu instid0(VALU_DEP_1) | instskip(SKIP_1) | instid1(VALU_DEP_2)
	v_dual_add_nc_u32 v99, 14, v85 :: v_dual_add_nc_u32 v82, v83, v82
	v_mov_b32_e32 v83, v33
	v_cmpx_ne_u32_e32 0, v99
	s_xor_b32 s7, exec_lo, s7
; %bb.4728:                             ;   in Loop: Header=BB2_4220 Depth=2
	s_delay_alu instid0(VALU_DEP_2) | instskip(SKIP_2) | instid1(VALU_DEP_2)
	v_cmp_lt_u64_e32 vcc_lo, 0xffffff, v[82:83]
	v_add_nc_u32_e32 v84, 15, v85
	v_cndmask_b32_e64 v85, 0, 1, vcc_lo
	v_cndmask_b32_e32 v84, v99, v84, vcc_lo
	s_delay_alu instid0(VALU_DEP_2)
	v_lshrrev_b64 v[82:83], v85, v[82:83]
; %bb.4729:                             ;   in Loop: Header=BB2_4220 Depth=2
	s_and_not1_saveexec_b32 s7, s7
; %bb.4730:                             ;   in Loop: Header=BB2_4220 Depth=2
	s_delay_alu instid0(VALU_DEP_1)
	v_bfe_u32 v84, v82, 23, 1
; %bb.4731:                             ;   in Loop: Header=BB2_4220 Depth=2
	s_or_b32 exec_lo, exec_lo, s7
	s_delay_alu instid0(VALU_DEP_2) | instskip(NEXT) | instid1(VALU_DEP_2)
	v_lshrrev_b64 v[82:83], 21, v[82:83]
	v_cmp_gt_i32_e32 vcc_lo, 32, v84
	v_min_i32_e32 v85, 31, v84
	v_cmp_eq_u32_e64 s7, 0, v84
	s_delay_alu instid0(VALU_DEP_2) | instskip(SKIP_1) | instid1(VALU_DEP_2)
	v_dual_cndmask_b32 v83, 0, v83, vcc_lo :: v_dual_lshlrev_b32 v85, 2, v85
	v_cndmask_b32_e32 v82, 3, v82, vcc_lo
	v_and_b32_e32 v85, 0xfc, v85
	s_delay_alu instid0(VALU_DEP_2) | instskip(NEXT) | instid1(VALU_DEP_2)
	v_cmp_eq_u64_e32 vcc_lo, 0, v[82:83]
	v_and_or_b32 v82, v82, 3, v85
	s_and_b32 s7, s7, vcc_lo
	s_delay_alu instid0(VALU_DEP_1) | instid1(SALU_CYCLE_1)
	v_cndmask_b32_e64 v82, v82, 0, s7
	s_delay_alu instid0(VALU_DEP_1)
	v_or_b32_e32 v99, v82, v87
.LBB2_4732:                             ;   in Loop: Header=BB2_4220 Depth=2
	s_or_b32 exec_lo, exec_lo, s40
                                        ; implicit-def: $vgpr87
.LBB2_4733:                             ;   in Loop: Header=BB2_4220 Depth=2
	s_and_not1_saveexec_b32 s7, s29
; %bb.4734:                             ;   in Loop: Header=BB2_4220 Depth=2
	v_or_b32_e32 v99, 0x7b, v87
; %bb.4735:                             ;   in Loop: Header=BB2_4220 Depth=2
	s_or_b32 exec_lo, exec_lo, s7
                                        ; implicit-def: $vgpr84
                                        ; implicit-def: $vgpr82_vgpr83
                                        ; implicit-def: $vgpr85
.LBB2_4736:                             ;   in Loop: Header=BB2_4220 Depth=2
	s_and_not1_saveexec_b32 s7, s28
	s_cbranch_execz .LBB2_4742
; %bb.4737:                             ;   in Loop: Header=BB2_4220 Depth=2
	s_mov_b32 s28, exec_lo
                                        ; implicit-def: $vgpr99
	v_cmpx_ne_u64_e32 0, v[82:83]
	s_xor_b32 s28, exec_lo, s28
; %bb.4738:                             ;   in Loop: Header=BB2_4220 Depth=2
	v_or_b32_e32 v99, 0x7f, v85
                                        ; implicit-def: $vgpr84
; %bb.4739:                             ;   in Loop: Header=BB2_4220 Depth=2
	s_and_not1_saveexec_b32 s28, s28
; %bb.4740:                             ;   in Loop: Header=BB2_4220 Depth=2
	v_cmp_lt_i32_e32 vcc_lo, -1, v84
	v_cndmask_b32_e32 v99, 0xfc, v46, vcc_lo
; %bb.4741:                             ;   in Loop: Header=BB2_4220 Depth=2
	s_or_b32 exec_lo, exec_lo, s28
.LBB2_4742:                             ;   in Loop: Header=BB2_4220 Depth=2
	s_delay_alu instid0(SALU_CYCLE_1) | instskip(SKIP_3) | instid1(VALU_DEP_2)
	s_or_b32 exec_lo, exec_lo, s7
	v_lshrrev_b16 v82, 8, v30
	v_mov_b32_e32 v84, 0
	s_mov_b32 s7, exec_lo
	v_cmpx_ne_u16_e32 0, v82
	s_cbranch_execz .LBB2_4752
; %bb.4743:                             ;   in Loop: Header=BB2_4220 Depth=2
	v_bfrev_b32_e32 v84, 1
	s_mov_b32 s28, exec_lo
	v_cmpx_ne_u16_e32 0x80, v82
	s_cbranch_execz .LBB2_4751
; %bb.4744:                             ;   in Loop: Header=BB2_4220 Depth=2
	v_and_b32_e32 v85, 0xffff, v82
	s_delay_alu instid0(VALU_DEP_1) | instskip(SKIP_1) | instid1(VALU_DEP_2)
	v_and_b32_e32 v84, 0x7c, v85
	v_and_b32_e32 v83, 3, v85
	v_cmp_ne_u32_e32 vcc_lo, 0x7c, v84
                                        ; implicit-def: $vgpr84
	s_and_saveexec_b32 s29, vcc_lo
	s_delay_alu instid0(SALU_CYCLE_1)
	s_xor_b32 s29, exec_lo, s29
	s_cbranch_execz .LBB2_4748
; %bb.4745:                             ;   in Loop: Header=BB2_4220 Depth=2
	v_bfe_u32 v84, v85, 2, 5
	s_mov_b32 s40, exec_lo
	s_delay_alu instid0(VALU_DEP_1)
	v_cmpx_eq_u32_e32 0, v84
	s_cbranch_execz .LBB2_4747
; %bb.4746:                             ;   in Loop: Header=BB2_4220 Depth=2
	v_clz_i32_u32_e32 v83, v83
	s_delay_alu instid0(VALU_DEP_1) | instskip(SKIP_1) | instid1(VALU_DEP_2)
	v_min_u32_e32 v84, 32, v83
	v_mov_b32_e32 v83, v33
	v_subrev_nc_u32_e32 v85, 29, v84
	v_sub_nc_u32_e32 v84, 30, v84
	s_delay_alu instid0(VALU_DEP_2) | instskip(NEXT) | instid1(VALU_DEP_1)
	v_lshlrev_b64_e32 v[82:83], v85, v[82:83]
	v_and_b32_e32 v83, 3, v82
.LBB2_4747:                             ;   in Loop: Header=BB2_4220 Depth=2
	s_or_b32 exec_lo, exec_lo, s40
	v_lshlrev_b32_e32 v30, 16, v30
	s_delay_alu instid0(VALU_DEP_1) | instskip(NEXT) | instid1(VALU_DEP_1)
	v_and_b32_e32 v30, 0x80000000, v30
	v_lshl_add_u32 v30, v84, 23, v30
	s_delay_alu instid0(VALU_DEP_1) | instskip(NEXT) | instid1(VALU_DEP_1)
	v_lshl_or_b32 v30, v83, 21, v30
                                        ; implicit-def: $vgpr83
	v_add_nc_u32_e32 v84, 0x38000000, v30
                                        ; implicit-def: $vgpr30
.LBB2_4748:                             ;   in Loop: Header=BB2_4220 Depth=2
	s_and_not1_saveexec_b32 s29, s29
; %bb.4749:                             ;   in Loop: Header=BB2_4220 Depth=2
	v_cmp_lt_i16_e32 vcc_lo, -1, v30
	v_cndmask_b32_e32 v30, 0xff800000, v45, vcc_lo
	v_cmp_eq_u32_e32 vcc_lo, 0, v83
	s_delay_alu instid0(VALU_DEP_2)
	v_cndmask_b32_e32 v84, 0x7f800001, v30, vcc_lo
; %bb.4750:                             ;   in Loop: Header=BB2_4220 Depth=2
	s_or_b32 exec_lo, exec_lo, s29
.LBB2_4751:                             ;   in Loop: Header=BB2_4220 Depth=2
	s_delay_alu instid0(SALU_CYCLE_1)
	s_or_b32 exec_lo, exec_lo, s28
.LBB2_4752:                             ;   in Loop: Header=BB2_4220 Depth=2
	s_delay_alu instid0(SALU_CYCLE_1) | instskip(SKIP_3) | instid1(VALU_DEP_1)
	s_or_b32 exec_lo, exec_lo, s7
	v_lshrrev_b16 v82, 8, v10
	s_mov_b32 s28, 0
	s_mov_b32 s7, exec_lo
	v_cmpx_lt_i16_e32 0x7f, v82
	s_xor_b32 s7, exec_lo, s7
	s_cbranch_execnz .LBB2_5239
; %bb.4753:                             ;   in Loop: Header=BB2_4220 Depth=2
	s_or_saveexec_b32 s7, s7
	v_bfrev_b32_e32 v30, 1
	s_xor_b32 exec_lo, exec_lo, s7
	s_cbranch_execnz .LBB2_5242
.LBB2_4754:                             ;   in Loop: Header=BB2_4220 Depth=2
	s_or_b32 exec_lo, exec_lo, s7
	s_and_saveexec_b32 s7, s28
	s_cbranch_execz .LBB2_4756
.LBB2_4755:                             ;   in Loop: Header=BB2_4220 Depth=2
	v_and_b32_e32 v30, 0xffff, v82
	s_delay_alu instid0(VALU_DEP_1) | instskip(NEXT) | instid1(VALU_DEP_1)
	v_and_b32_e32 v85, 3, v30
	v_clz_i32_u32_e32 v83, v85
	s_delay_alu instid0(VALU_DEP_1) | instskip(SKIP_1) | instid1(VALU_DEP_2)
	v_min_u32_e32 v87, 32, v83
	v_mov_b32_e32 v83, v33
	v_subrev_nc_u32_e32 v101, 29, v87
	v_sub_nc_u32_e32 v87, 30, v87
	s_delay_alu instid0(VALU_DEP_2) | instskip(SKIP_3) | instid1(VALU_DEP_3)
	v_lshlrev_b64_e32 v[60:61], v101, v[82:83]
	v_bfe_u32 v83, v30, 2, 5
	v_lshlrev_b32_e32 v82, 24, v82
	v_and_b32_e32 v30, 0x7c, v30
	v_cmp_eq_u32_e32 vcc_lo, 0, v83
	s_delay_alu instid0(VALU_DEP_3) | instskip(SKIP_1) | instid1(VALU_DEP_1)
	v_and_b32_e32 v82, 0x80000000, v82
	v_dual_cndmask_b32 v83, v83, v87, vcc_lo :: v_dual_bitop2_b32 v101, 3, v60 bitop3:0x40
	v_cndmask_b32_e32 v87, v85, v101, vcc_lo
	v_cmp_lt_i16_e32 vcc_lo, -1, v10
	s_delay_alu instid0(VALU_DEP_3) | instskip(SKIP_2) | instid1(VALU_DEP_3)
	v_lshl_add_u32 v82, v83, 23, v82
	v_cndmask_b32_e32 v83, 0xff800000, v45, vcc_lo
	v_cmp_eq_u32_e32 vcc_lo, 0, v85
	v_lshl_or_b32 v82, v87, 21, v82
	s_delay_alu instid0(VALU_DEP_3) | instskip(NEXT) | instid1(VALU_DEP_2)
	v_cndmask_b32_e32 v83, 0x7f800001, v83, vcc_lo
	v_add_nc_u32_e32 v82, 0x38000000, v82
	v_cmp_eq_u32_e32 vcc_lo, 0x7c, v30
	s_delay_alu instid0(VALU_DEP_2)
	v_cndmask_b32_e32 v30, v82, v83, vcc_lo
.LBB2_4756:                             ;   in Loop: Header=BB2_4220 Depth=2
	s_or_b32 exec_lo, exec_lo, s7
	s_delay_alu instid0(VALU_DEP_1) | instskip(SKIP_2) | instid1(VALU_DEP_2)
	v_dual_add_f32 v84, v84, v30 :: v_dual_mov_b32 v61, v33
	v_mov_b32_e32 v83, v33
                                        ; implicit-def: $vgpr101
	s_mov_b32 s7, exec_lo
	v_and_b32_e32 v60, 0x7f800000, v84
	v_and_b32_e32 v82, 0x7fffff, v84
	v_lshrrev_b32_e32 v30, 24, v84
	s_delay_alu instid0(VALU_DEP_3)
	v_cmpx_ne_u64_e32 0x7f800000, v[60:61]
	s_xor_b32 s28, exec_lo, s7
	s_cbranch_execz .LBB2_4770
; %bb.4757:                             ;   in Loop: Header=BB2_4220 Depth=2
	v_and_b32_e32 v60, 0x7fffffff, v84
	v_mov_b32_e32 v61, v33
	v_and_b32_e32 v30, 0x80, v30
                                        ; implicit-def: $vgpr101
	s_mov_b32 s7, exec_lo
	s_delay_alu instid0(VALU_DEP_2)
	v_cmpx_gt_u64_e32 0x47600001, v[60:61]
	s_xor_b32 s29, exec_lo, s7
	s_cbranch_execz .LBB2_4767
; %bb.4758:                             ;   in Loop: Header=BB2_4220 Depth=2
	v_mov_b32_e32 v101, 0
	s_mov_b32 s40, exec_lo
	v_cmpx_ne_u32_e32 0, v84
	s_cbranch_execz .LBB2_4766
; %bb.4759:                             ;   in Loop: Header=BB2_4220 Depth=2
	v_bfe_u32 v87, v84, 23, 8
	v_or_b32_e32 v112, 0x800000, v82
	s_delay_alu instid0(VALU_DEP_2) | instskip(SKIP_1) | instid1(VALU_DEP_2)
	v_sub_nc_u32_e32 v84, 0x71, v87
	v_cmp_gt_u32_e32 vcc_lo, 0x72, v87
	v_cndmask_b32_e32 v84, 0, v84, vcc_lo
	v_cmp_eq_u32_e32 vcc_lo, 0, v87
	s_delay_alu instid0(VALU_DEP_2) | instskip(NEXT) | instid1(VALU_DEP_1)
	v_cndmask_b32_e64 v101, v84, 0x70, vcc_lo
	v_dual_cndmask_b32 v82, v112, v82, vcc_lo :: v_dual_add_nc_u32 v84, 21, v101
	v_add_nc_u32_e32 v115, 20, v101
	s_delay_alu instid0(VALU_DEP_2) | instskip(NEXT) | instid1(VALU_DEP_2)
	v_lshlrev_b64_e64 v[84:85], v84, -1
	v_lshlrev_b64_e64 v[60:61], v115, 1
	s_delay_alu instid0(VALU_DEP_2) | instskip(SKIP_1) | instid1(VALU_DEP_4)
	v_bfi_b32 v84, v84, 0, v82
	v_lshrrev_b64 v[82:83], v101, v[82:83]
	v_bfi_b32 v85, v85, 0, 0
	s_delay_alu instid0(VALU_DEP_1) | instskip(NEXT) | instid1(VALU_DEP_3)
	v_cmp_eq_u64_e64 s7, v[84:85], v[60:61]
	v_mov_b64_e32 v[84:85], v[82:83]
	s_and_saveexec_b32 s41, s7
; %bb.4760:                             ;   in Loop: Header=BB2_4220 Depth=2
	v_bfe_u32 v84, v82, 21, 1
	v_mov_b32_e32 v85, v33
	s_delay_alu instid0(VALU_DEP_1) | instskip(NEXT) | instid1(VALU_DEP_1)
	v_add_nc_u64_e32 v[84:85], v[82:83], v[84:85]
	v_add_nc_u64_e32 v[84:85], -1, v[84:85]
; %bb.4761:                             ;   in Loop: Header=BB2_4220 Depth=2
	s_or_b32 exec_lo, exec_lo, s41
	v_add_nc_u32_e32 v83, 0xffffff81, v87
	v_lshrrev_b32_e32 v85, 23, v82
	s_mov_b32 s7, exec_lo
	s_delay_alu instid0(VALU_DEP_2) | instskip(NEXT) | instid1(VALU_DEP_1)
	v_cndmask_b32_e64 v83, v83, 0xffffff82, vcc_lo
	v_add3_u32 v85, v101, v83, v85
	v_and_b32_e32 v83, 0x1fffff, v84
                                        ; implicit-def: $vgpr84
	s_delay_alu instid0(VALU_DEP_1) | instskip(SKIP_1) | instid1(VALU_DEP_2)
	v_dual_add_nc_u32 v87, 14, v85 :: v_dual_add_nc_u32 v82, v83, v82
	v_mov_b32_e32 v83, v33
	v_cmpx_ne_u32_e32 0, v87
	s_xor_b32 s7, exec_lo, s7
; %bb.4762:                             ;   in Loop: Header=BB2_4220 Depth=2
	s_delay_alu instid0(VALU_DEP_2) | instskip(SKIP_2) | instid1(VALU_DEP_2)
	v_cmp_lt_u64_e32 vcc_lo, 0xffffff, v[82:83]
	v_add_nc_u32_e32 v84, 15, v85
	v_cndmask_b32_e64 v85, 0, 1, vcc_lo
	v_cndmask_b32_e32 v84, v87, v84, vcc_lo
	s_delay_alu instid0(VALU_DEP_2)
	v_lshrrev_b64 v[82:83], v85, v[82:83]
; %bb.4763:                             ;   in Loop: Header=BB2_4220 Depth=2
	s_and_not1_saveexec_b32 s7, s7
; %bb.4764:                             ;   in Loop: Header=BB2_4220 Depth=2
	s_delay_alu instid0(VALU_DEP_1)
	v_bfe_u32 v84, v82, 23, 1
; %bb.4765:                             ;   in Loop: Header=BB2_4220 Depth=2
	s_or_b32 exec_lo, exec_lo, s7
	s_delay_alu instid0(VALU_DEP_2) | instskip(NEXT) | instid1(VALU_DEP_2)
	v_lshrrev_b64 v[82:83], 21, v[82:83]
	v_cmp_gt_i32_e32 vcc_lo, 32, v84
	v_min_i32_e32 v85, 31, v84
	v_cmp_eq_u32_e64 s7, 0, v84
	s_delay_alu instid0(VALU_DEP_2) | instskip(SKIP_1) | instid1(VALU_DEP_2)
	v_dual_cndmask_b32 v83, 0, v83, vcc_lo :: v_dual_lshlrev_b32 v85, 2, v85
	v_cndmask_b32_e32 v82, 3, v82, vcc_lo
	v_and_b32_e32 v85, 0xfc, v85
	s_delay_alu instid0(VALU_DEP_2) | instskip(NEXT) | instid1(VALU_DEP_2)
	v_cmp_eq_u64_e32 vcc_lo, 0, v[82:83]
	v_and_or_b32 v82, v82, 3, v85
	s_and_b32 s7, s7, vcc_lo
	s_delay_alu instid0(VALU_DEP_1) | instid1(SALU_CYCLE_1)
	v_cndmask_b32_e64 v82, v82, 0, s7
	s_delay_alu instid0(VALU_DEP_1)
	v_or_b32_e32 v101, v82, v30
.LBB2_4766:                             ;   in Loop: Header=BB2_4220 Depth=2
	s_or_b32 exec_lo, exec_lo, s40
                                        ; implicit-def: $vgpr30
.LBB2_4767:                             ;   in Loop: Header=BB2_4220 Depth=2
	s_and_not1_saveexec_b32 s7, s29
; %bb.4768:                             ;   in Loop: Header=BB2_4220 Depth=2
	v_or_b32_e32 v101, 0x7b, v30
; %bb.4769:                             ;   in Loop: Header=BB2_4220 Depth=2
	s_or_b32 exec_lo, exec_lo, s7
                                        ; implicit-def: $vgpr84
                                        ; implicit-def: $vgpr82_vgpr83
                                        ; implicit-def: $vgpr30
.LBB2_4770:                             ;   in Loop: Header=BB2_4220 Depth=2
	s_and_not1_saveexec_b32 s7, s28
	s_cbranch_execz .LBB2_4776
; %bb.4771:                             ;   in Loop: Header=BB2_4220 Depth=2
	s_mov_b32 s28, exec_lo
                                        ; implicit-def: $vgpr101
	v_cmpx_ne_u64_e32 0, v[82:83]
	s_xor_b32 s28, exec_lo, s28
; %bb.4772:                             ;   in Loop: Header=BB2_4220 Depth=2
	v_or_b32_e32 v101, 0x7f, v30
                                        ; implicit-def: $vgpr84
; %bb.4773:                             ;   in Loop: Header=BB2_4220 Depth=2
	s_and_not1_saveexec_b32 s28, s28
; %bb.4774:                             ;   in Loop: Header=BB2_4220 Depth=2
	v_cmp_lt_i32_e32 vcc_lo, -1, v84
	v_cndmask_b32_e32 v101, 0xfc, v46, vcc_lo
; %bb.4775:                             ;   in Loop: Header=BB2_4220 Depth=2
	s_or_b32 exec_lo, exec_lo, s28
.LBB2_4776:                             ;   in Loop: Header=BB2_4220 Depth=2
	s_delay_alu instid0(SALU_CYCLE_1) | instskip(SKIP_2) | instid1(VALU_DEP_1)
	s_or_b32 exec_lo, exec_lo, s7
	v_dual_lshrrev_b32 v30, 16, v32 :: v_dual_mov_b32 v82, 0
	s_mov_b32 s7, exec_lo
	v_and_b32_e32 v83, 0xff, v30
	s_delay_alu instid0(VALU_DEP_1)
	v_cmpx_ne_u16_e32 0, v83
	s_cbranch_execz .LBB2_4786
; %bb.4777:                             ;   in Loop: Header=BB2_4220 Depth=2
	v_bfrev_b32_e32 v82, 1
	s_mov_b32 s28, exec_lo
	v_cmpx_ne_u16_e32 0x80, v83
	s_cbranch_execz .LBB2_4785
; %bb.4778:                             ;   in Loop: Header=BB2_4220 Depth=2
	v_and_b32_e32 v82, 0x7c0000, v32
	v_bfe_u32 v83, v32, 16, 2
	s_delay_alu instid0(VALU_DEP_2) | instskip(SKIP_1) | instid1(SALU_CYCLE_1)
	v_cmp_ne_u32_e32 vcc_lo, 0x7c0000, v82
                                        ; implicit-def: $vgpr82
	s_and_saveexec_b32 s29, vcc_lo
	s_xor_b32 s29, exec_lo, s29
	s_cbranch_execz .LBB2_4782
; %bb.4779:                             ;   in Loop: Header=BB2_4220 Depth=2
	v_bfe_u32 v82, v32, 18, 5
	v_lshrrev_b32_e32 v30, 16, v32
	s_mov_b32 s40, exec_lo
	s_delay_alu instid0(VALU_DEP_2)
	v_cmpx_eq_u32_e32 0, v82
; %bb.4780:                             ;   in Loop: Header=BB2_4220 Depth=2
	v_clz_i32_u32_e32 v82, v83
	s_delay_alu instid0(VALU_DEP_1) | instskip(NEXT) | instid1(VALU_DEP_1)
	v_min_u32_e32 v82, 32, v82
	v_subrev_nc_u32_e32 v83, 29, v82
	s_delay_alu instid0(VALU_DEP_1) | instskip(NEXT) | instid1(VALU_DEP_1)
	v_lshlrev_b64_e32 v[84:85], v83, v[30:31]
	v_dual_sub_nc_u32 v82, 30, v82 :: v_dual_bitop2_b32 v83, 3, v84 bitop3:0x40
; %bb.4781:                             ;   in Loop: Header=BB2_4220 Depth=2
	s_or_b32 exec_lo, exec_lo, s40
	v_lshlrev_b32_e32 v30, 24, v30
	s_delay_alu instid0(VALU_DEP_1) | instskip(NEXT) | instid1(VALU_DEP_1)
	v_and_b32_e32 v30, 0x80000000, v30
	v_lshl_add_u32 v30, v82, 23, v30
	s_delay_alu instid0(VALU_DEP_1) | instskip(NEXT) | instid1(VALU_DEP_1)
	v_lshl_or_b32 v30, v83, 21, v30
                                        ; implicit-def: $vgpr83
	v_add_nc_u32_e32 v82, 0x38000000, v30
                                        ; implicit-def: $vgpr30
.LBB2_4782:                             ;   in Loop: Header=BB2_4220 Depth=2
	s_and_not1_saveexec_b32 s29, s29
; %bb.4783:                             ;   in Loop: Header=BB2_4220 Depth=2
	v_bfe_i32 v30, v30, 0, 8
	s_delay_alu instid0(VALU_DEP_1) | instskip(SKIP_2) | instid1(VALU_DEP_2)
	v_cmp_lt_i16_e32 vcc_lo, -1, v30
	v_cndmask_b32_e32 v30, 0xff800000, v45, vcc_lo
	v_cmp_eq_u32_e32 vcc_lo, 0, v83
	v_cndmask_b32_e32 v82, 0x7f800001, v30, vcc_lo
; %bb.4784:                             ;   in Loop: Header=BB2_4220 Depth=2
	s_or_b32 exec_lo, exec_lo, s29
.LBB2_4785:                             ;   in Loop: Header=BB2_4220 Depth=2
	s_delay_alu instid0(SALU_CYCLE_1)
	s_or_b32 exec_lo, exec_lo, s28
.LBB2_4786:                             ;   in Loop: Header=BB2_4220 Depth=2
	s_delay_alu instid0(SALU_CYCLE_1) | instskip(SKIP_3) | instid1(VALU_DEP_1)
	s_or_b32 exec_lo, exec_lo, s7
	v_lshrrev_b32_e32 v30, 16, v10
	s_mov_b32 s28, 0
	s_mov_b32 s7, exec_lo
	v_and_b32_e32 v84, 0xff, v30
	s_delay_alu instid0(VALU_DEP_1)
	v_cmpx_lt_i16_e32 0x7f, v84
	s_xor_b32 s7, exec_lo, s7
	s_cbranch_execnz .LBB2_5243
; %bb.4787:                             ;   in Loop: Header=BB2_4220 Depth=2
	s_or_saveexec_b32 s7, s7
	v_bfrev_b32_e32 v83, 1
	s_xor_b32 exec_lo, exec_lo, s7
	s_cbranch_execnz .LBB2_5246
.LBB2_4788:                             ;   in Loop: Header=BB2_4220 Depth=2
	s_or_b32 exec_lo, exec_lo, s7
	s_and_saveexec_b32 s7, s28
	s_cbranch_execz .LBB2_4790
.LBB2_4789:                             ;   in Loop: Header=BB2_4220 Depth=2
	v_and_b32_e32 v83, 3, v30
	v_bfe_u32 v112, v10, 18, 5
	s_delay_alu instid0(VALU_DEP_2) | instskip(NEXT) | instid1(VALU_DEP_2)
	v_clz_i32_u32_e32 v84, v83
	v_cmp_eq_u32_e32 vcc_lo, 0, v112
	s_delay_alu instid0(VALU_DEP_2) | instskip(NEXT) | instid1(VALU_DEP_1)
	v_min_u32_e32 v87, 32, v84
	v_subrev_nc_u32_e32 v84, 29, v87
	s_delay_alu instid0(VALU_DEP_1) | instskip(SKIP_2) | instid1(VALU_DEP_2)
	v_lshlrev_b64_e32 v[84:85], v84, v[30:31]
	v_dual_lshlrev_b32 v85, 24, v30 :: v_dual_sub_nc_u32 v87, 30, v87
	v_bfe_i32 v30, v30, 0, 8
	v_and_b32_e32 v85, 0x80000000, v85
	s_delay_alu instid0(VALU_DEP_3) | instskip(NEXT) | instid1(VALU_DEP_1)
	v_dual_cndmask_b32 v87, v112, v87, vcc_lo :: v_dual_bitop2_b32 v84, 3, v84 bitop3:0x40
	v_cndmask_b32_e32 v84, v83, v84, vcc_lo
	s_delay_alu instid0(VALU_DEP_2) | instskip(SKIP_1) | instid1(VALU_DEP_2)
	v_lshl_add_u32 v85, v87, 23, v85
	v_cmp_lt_i16_e32 vcc_lo, -1, v30
	v_lshl_or_b32 v84, v84, 21, v85
	v_cndmask_b32_e32 v30, 0xff800000, v45, vcc_lo
	v_and_b32_e32 v85, 0x7c0000, v10
	v_cmp_eq_u32_e32 vcc_lo, 0, v83
	s_delay_alu instid0(VALU_DEP_4) | instskip(NEXT) | instid1(VALU_DEP_4)
	v_add_nc_u32_e32 v83, 0x38000000, v84
	v_cndmask_b32_e32 v30, 0x7f800001, v30, vcc_lo
	s_delay_alu instid0(VALU_DEP_4) | instskip(NEXT) | instid1(VALU_DEP_2)
	v_cmp_eq_u32_e32 vcc_lo, 0x7c0000, v85
	v_cndmask_b32_e32 v83, v83, v30, vcc_lo
.LBB2_4790:                             ;   in Loop: Header=BB2_4220 Depth=2
	s_or_b32 exec_lo, exec_lo, s7
	s_delay_alu instid0(VALU_DEP_1) | instskip(SKIP_2) | instid1(VALU_DEP_2)
	v_dual_add_f32 v84, v82, v83 :: v_dual_mov_b32 v61, v33
	v_mov_b32_e32 v83, v33
                                        ; implicit-def: $vgpr112
	s_mov_b32 s7, exec_lo
	v_and_b32_e32 v60, 0x7f800000, v84
	v_and_b32_e32 v82, 0x7fffff, v84
	v_lshrrev_b32_e32 v30, 24, v84
	s_delay_alu instid0(VALU_DEP_3)
	v_cmpx_ne_u64_e32 0x7f800000, v[60:61]
	s_xor_b32 s28, exec_lo, s7
	s_cbranch_execz .LBB2_4804
; %bb.4791:                             ;   in Loop: Header=BB2_4220 Depth=2
	v_and_b32_e32 v60, 0x7fffffff, v84
	v_mov_b32_e32 v61, v33
	v_and_b32_e32 v30, 0x80, v30
                                        ; implicit-def: $vgpr112
	s_mov_b32 s7, exec_lo
	s_delay_alu instid0(VALU_DEP_2)
	v_cmpx_gt_u64_e32 0x47600001, v[60:61]
	s_xor_b32 s29, exec_lo, s7
	s_cbranch_execz .LBB2_4801
; %bb.4792:                             ;   in Loop: Header=BB2_4220 Depth=2
	v_mov_b32_e32 v112, 0
	s_mov_b32 s40, exec_lo
	v_cmpx_ne_u32_e32 0, v84
	s_cbranch_execz .LBB2_4800
; %bb.4793:                             ;   in Loop: Header=BB2_4220 Depth=2
	v_bfe_u32 v87, v84, 23, 8
	v_or_b32_e32 v115, 0x800000, v82
	s_delay_alu instid0(VALU_DEP_2) | instskip(SKIP_1) | instid1(VALU_DEP_2)
	v_sub_nc_u32_e32 v84, 0x71, v87
	v_cmp_gt_u32_e32 vcc_lo, 0x72, v87
	v_cndmask_b32_e32 v84, 0, v84, vcc_lo
	v_cmp_eq_u32_e32 vcc_lo, 0, v87
	v_cndmask_b32_e32 v82, v115, v82, vcc_lo
	s_delay_alu instid0(VALU_DEP_3) | instskip(NEXT) | instid1(VALU_DEP_1)
	v_cndmask_b32_e64 v112, v84, 0x70, vcc_lo
	v_dual_add_nc_u32 v84, 21, v112 :: v_dual_add_nc_u32 v60, 20, v112
	s_delay_alu instid0(VALU_DEP_1) | instskip(NEXT) | instid1(VALU_DEP_2)
	v_lshlrev_b64_e64 v[84:85], v84, -1
	v_lshlrev_b64_e64 v[60:61], v60, 1
	s_delay_alu instid0(VALU_DEP_2) | instskip(SKIP_1) | instid1(VALU_DEP_4)
	v_bfi_b32 v84, v84, 0, v82
	v_lshrrev_b64 v[82:83], v112, v[82:83]
	v_bfi_b32 v85, v85, 0, 0
	s_delay_alu instid0(VALU_DEP_1) | instskip(NEXT) | instid1(VALU_DEP_3)
	v_cmp_eq_u64_e64 s7, v[84:85], v[60:61]
	v_mov_b64_e32 v[84:85], v[82:83]
	s_and_saveexec_b32 s41, s7
; %bb.4794:                             ;   in Loop: Header=BB2_4220 Depth=2
	v_bfe_u32 v84, v82, 21, 1
	v_mov_b32_e32 v85, v33
	s_delay_alu instid0(VALU_DEP_1) | instskip(NEXT) | instid1(VALU_DEP_1)
	v_add_nc_u64_e32 v[84:85], v[82:83], v[84:85]
	v_add_nc_u64_e32 v[84:85], -1, v[84:85]
; %bb.4795:                             ;   in Loop: Header=BB2_4220 Depth=2
	s_or_b32 exec_lo, exec_lo, s41
	v_add_nc_u32_e32 v83, 0xffffff81, v87
	v_lshrrev_b32_e32 v85, 23, v82
	s_mov_b32 s7, exec_lo
	s_delay_alu instid0(VALU_DEP_2) | instskip(NEXT) | instid1(VALU_DEP_1)
	v_cndmask_b32_e64 v83, v83, 0xffffff82, vcc_lo
	v_add3_u32 v85, v112, v83, v85
	v_and_b32_e32 v83, 0x1fffff, v84
                                        ; implicit-def: $vgpr84
	s_delay_alu instid0(VALU_DEP_1) | instskip(SKIP_1) | instid1(VALU_DEP_2)
	v_dual_add_nc_u32 v87, 14, v85 :: v_dual_add_nc_u32 v82, v83, v82
	v_mov_b32_e32 v83, v33
	v_cmpx_ne_u32_e32 0, v87
	s_xor_b32 s7, exec_lo, s7
; %bb.4796:                             ;   in Loop: Header=BB2_4220 Depth=2
	s_delay_alu instid0(VALU_DEP_2) | instskip(SKIP_2) | instid1(VALU_DEP_2)
	v_cmp_lt_u64_e32 vcc_lo, 0xffffff, v[82:83]
	v_add_nc_u32_e32 v84, 15, v85
	v_cndmask_b32_e64 v85, 0, 1, vcc_lo
	v_cndmask_b32_e32 v84, v87, v84, vcc_lo
	s_delay_alu instid0(VALU_DEP_2)
	v_lshrrev_b64 v[82:83], v85, v[82:83]
; %bb.4797:                             ;   in Loop: Header=BB2_4220 Depth=2
	s_and_not1_saveexec_b32 s7, s7
; %bb.4798:                             ;   in Loop: Header=BB2_4220 Depth=2
	s_delay_alu instid0(VALU_DEP_1)
	v_bfe_u32 v84, v82, 23, 1
; %bb.4799:                             ;   in Loop: Header=BB2_4220 Depth=2
	s_or_b32 exec_lo, exec_lo, s7
	s_delay_alu instid0(VALU_DEP_2) | instskip(NEXT) | instid1(VALU_DEP_2)
	v_lshrrev_b64 v[82:83], 21, v[82:83]
	v_cmp_gt_i32_e32 vcc_lo, 32, v84
	v_min_i32_e32 v85, 31, v84
	v_cmp_eq_u32_e64 s7, 0, v84
	s_delay_alu instid0(VALU_DEP_2) | instskip(SKIP_1) | instid1(VALU_DEP_2)
	v_dual_cndmask_b32 v83, 0, v83, vcc_lo :: v_dual_lshlrev_b32 v85, 2, v85
	v_cndmask_b32_e32 v82, 3, v82, vcc_lo
	v_and_b32_e32 v85, 0xfc, v85
	s_delay_alu instid0(VALU_DEP_2) | instskip(NEXT) | instid1(VALU_DEP_2)
	v_cmp_eq_u64_e32 vcc_lo, 0, v[82:83]
	v_and_or_b32 v82, v82, 3, v85
	s_and_b32 s7, s7, vcc_lo
	s_delay_alu instid0(VALU_DEP_1) | instid1(SALU_CYCLE_1)
	v_cndmask_b32_e64 v82, v82, 0, s7
	s_delay_alu instid0(VALU_DEP_1)
	v_or_b32_e32 v112, v82, v30
.LBB2_4800:                             ;   in Loop: Header=BB2_4220 Depth=2
	s_or_b32 exec_lo, exec_lo, s40
                                        ; implicit-def: $vgpr30
.LBB2_4801:                             ;   in Loop: Header=BB2_4220 Depth=2
	s_and_not1_saveexec_b32 s7, s29
; %bb.4802:                             ;   in Loop: Header=BB2_4220 Depth=2
	v_or_b32_e32 v112, 0x7b, v30
; %bb.4803:                             ;   in Loop: Header=BB2_4220 Depth=2
	s_or_b32 exec_lo, exec_lo, s7
                                        ; implicit-def: $vgpr84
                                        ; implicit-def: $vgpr82_vgpr83
                                        ; implicit-def: $vgpr30
.LBB2_4804:                             ;   in Loop: Header=BB2_4220 Depth=2
	s_and_not1_saveexec_b32 s7, s28
	s_cbranch_execz .LBB2_4810
; %bb.4805:                             ;   in Loop: Header=BB2_4220 Depth=2
	s_mov_b32 s28, exec_lo
                                        ; implicit-def: $vgpr112
	v_cmpx_ne_u64_e32 0, v[82:83]
	s_xor_b32 s28, exec_lo, s28
; %bb.4806:                             ;   in Loop: Header=BB2_4220 Depth=2
	v_or_b32_e32 v112, 0x7f, v30
                                        ; implicit-def: $vgpr84
; %bb.4807:                             ;   in Loop: Header=BB2_4220 Depth=2
	s_and_not1_saveexec_b32 s28, s28
; %bb.4808:                             ;   in Loop: Header=BB2_4220 Depth=2
	v_cmp_lt_i32_e32 vcc_lo, -1, v84
	v_cndmask_b32_e32 v112, 0xfc, v46, vcc_lo
; %bb.4809:                             ;   in Loop: Header=BB2_4220 Depth=2
	s_or_b32 exec_lo, exec_lo, s28
.LBB2_4810:                             ;   in Loop: Header=BB2_4220 Depth=2
	s_delay_alu instid0(SALU_CYCLE_1)
	s_or_b32 exec_lo, exec_lo, s7
	v_mov_b32_e32 v82, 0
	s_mov_b32 s7, exec_lo
	v_cmpx_lt_u32_e32 0xffffff, v32
	s_cbranch_execz .LBB2_4820
; %bb.4811:                             ;   in Loop: Header=BB2_4220 Depth=2
	v_lshrrev_b32_e32 v30, 24, v32
	v_bfrev_b32_e32 v82, 1
	s_mov_b32 s28, exec_lo
	s_delay_alu instid0(VALU_DEP_2)
	v_cmpx_ne_u32_e32 0x80, v30
	s_cbranch_execz .LBB2_4819
; %bb.4812:                             ;   in Loop: Header=BB2_4220 Depth=2
	v_and_b32_e32 v82, 0x7c000000, v32
	v_bfe_u32 v83, v32, 24, 2
	s_delay_alu instid0(VALU_DEP_2) | instskip(SKIP_1) | instid1(SALU_CYCLE_1)
	v_cmp_ne_u32_e32 vcc_lo, 0x7c000000, v82
                                        ; implicit-def: $vgpr82
	s_and_saveexec_b32 s29, vcc_lo
	s_xor_b32 s29, exec_lo, s29
	s_cbranch_execz .LBB2_4816
; %bb.4813:                             ;   in Loop: Header=BB2_4220 Depth=2
	v_bfe_u32 v82, v32, 26, 5
	s_mov_b32 s40, exec_lo
	s_delay_alu instid0(VALU_DEP_1)
	v_cmpx_eq_u32_e32 0, v82
; %bb.4814:                             ;   in Loop: Header=BB2_4220 Depth=2
	v_clz_i32_u32_e32 v82, v83
	s_delay_alu instid0(VALU_DEP_1) | instskip(NEXT) | instid1(VALU_DEP_1)
	v_min_u32_e32 v82, 32, v82
	v_subrev_nc_u32_e32 v83, 29, v82
	s_delay_alu instid0(VALU_DEP_1) | instskip(NEXT) | instid1(VALU_DEP_1)
	v_lshlrev_b64_e32 v[84:85], v83, v[30:31]
	v_dual_sub_nc_u32 v82, 30, v82 :: v_dual_bitop2_b32 v83, 3, v84 bitop3:0x40
; %bb.4815:                             ;   in Loop: Header=BB2_4220 Depth=2
	s_or_b32 exec_lo, exec_lo, s40
	v_and_b32_e32 v30, 0x80000000, v32
	s_delay_alu instid0(VALU_DEP_1) | instskip(NEXT) | instid1(VALU_DEP_1)
	v_lshl_add_u32 v30, v82, 23, v30
	v_lshl_or_b32 v30, v83, 21, v30
                                        ; implicit-def: $vgpr83
	s_delay_alu instid0(VALU_DEP_1)
	v_add_nc_u32_e32 v82, 0x38000000, v30
.LBB2_4816:                             ;   in Loop: Header=BB2_4220 Depth=2
	s_and_not1_saveexec_b32 s29, s29
; %bb.4817:                             ;   in Loop: Header=BB2_4220 Depth=2
	v_cmp_lt_i32_e32 vcc_lo, -1, v32
	v_cndmask_b32_e32 v30, 0xff800000, v45, vcc_lo
	v_cmp_eq_u32_e32 vcc_lo, 0, v83
	s_delay_alu instid0(VALU_DEP_2)
	v_cndmask_b32_e32 v82, 0x7f800001, v30, vcc_lo
; %bb.4818:                             ;   in Loop: Header=BB2_4220 Depth=2
	s_or_b32 exec_lo, exec_lo, s29
.LBB2_4819:                             ;   in Loop: Header=BB2_4220 Depth=2
	s_delay_alu instid0(SALU_CYCLE_1)
	s_or_b32 exec_lo, exec_lo, s28
.LBB2_4820:                             ;   in Loop: Header=BB2_4220 Depth=2
	s_delay_alu instid0(SALU_CYCLE_1) | instskip(SKIP_3) | instid1(VALU_DEP_2)
	s_or_b32 exec_lo, exec_lo, s7
	v_bfe_u32 v32, v10, 24, 2
	v_bfe_u32 v87, v10, 26, 5
                                        ; implicit-def: $vgpr115
	s_mov_b32 s7, exec_lo
	v_clz_i32_u32_e32 v30, v32
	s_delay_alu instid0(VALU_DEP_2) | instskip(NEXT) | instid1(VALU_DEP_2)
	v_cmp_eq_u32_e32 vcc_lo, 0, v87
	v_min_u32_e32 v83, 32, v30
	v_lshrrev_b32_e32 v30, 24, v10
	s_delay_alu instid0(VALU_DEP_2) | instskip(SKIP_1) | instid1(VALU_DEP_2)
	v_subrev_nc_u32_e32 v84, 29, v83
	v_sub_nc_u32_e32 v83, 30, v83
	v_lshlrev_b64_e32 v[84:85], v84, v[30:31]
	v_and_b32_e32 v85, 0x80000000, v10
	s_delay_alu instid0(VALU_DEP_2) | instskip(NEXT) | instid1(VALU_DEP_1)
	v_dual_cndmask_b32 v83, v87, v83, vcc_lo :: v_dual_bitop2_b32 v84, 3, v84 bitop3:0x40
	v_lshl_add_u32 v83, v83, 23, v85
	s_delay_alu instid0(VALU_DEP_2) | instskip(SKIP_1) | instid1(VALU_DEP_2)
	v_cndmask_b32_e32 v84, v32, v84, vcc_lo
	v_cmp_lt_i32_e32 vcc_lo, -1, v10
	v_lshl_or_b32 v83, v84, 21, v83
	v_cndmask_b32_e32 v85, 0xff800000, v45, vcc_lo
	v_and_b32_e32 v84, 0x7c000000, v10
	v_cmp_eq_u32_e32 vcc_lo, 0, v32
	s_delay_alu instid0(VALU_DEP_4) | instskip(NEXT) | instid1(VALU_DEP_4)
	v_add_nc_u32_e32 v83, 0x38000000, v83
	v_dual_cndmask_b32 v32, 0x7f800001, v85 :: v_dual_mov_b32 v85, v33
	s_delay_alu instid0(VALU_DEP_4) | instskip(NEXT) | instid1(VALU_DEP_2)
	v_cmp_eq_u32_e32 vcc_lo, 0x7c000000, v84
	v_cndmask_b32_e32 v32, v83, v32, vcc_lo
	v_cmp_ne_u32_e32 vcc_lo, 0x80, v30
	s_delay_alu instid0(VALU_DEP_2) | instskip(SKIP_1) | instid1(VALU_DEP_2)
	v_cndmask_b32_e32 v30, 0x80000000, v32, vcc_lo
	v_cmp_lt_u32_e32 vcc_lo, 0xffffff, v10
	v_cndmask_b32_e32 v30, 0, v30, vcc_lo
	s_delay_alu instid0(VALU_DEP_1) | instskip(NEXT) | instid1(VALU_DEP_1)
	v_add_f32_e32 v82, v30, v82
	v_and_b32_e32 v84, 0x7f800000, v82
	v_and_b32_e32 v32, 0x7fffff, v82
	v_lshrrev_b32_e32 v30, 24, v82
	s_delay_alu instid0(VALU_DEP_3)
	v_cmpx_ne_u64_e32 0x7f800000, v[84:85]
	s_xor_b32 s28, exec_lo, s7
	s_cbranch_execz .LBB2_4834
; %bb.4821:                             ;   in Loop: Header=BB2_4220 Depth=2
	v_and_b32_e32 v84, 0x7fffffff, v82
	v_mov_b32_e32 v85, v33
	v_and_b32_e32 v30, 0x80, v30
                                        ; implicit-def: $vgpr115
	s_mov_b32 s7, exec_lo
	s_delay_alu instid0(VALU_DEP_2)
	v_cmpx_gt_u64_e32 0x47600001, v[84:85]
	s_xor_b32 s29, exec_lo, s7
	s_cbranch_execz .LBB2_4831
; %bb.4822:                             ;   in Loop: Header=BB2_4220 Depth=2
	v_mov_b32_e32 v115, 0
	s_mov_b32 s40, exec_lo
	v_cmpx_ne_u32_e32 0, v82
	s_cbranch_execz .LBB2_4830
; %bb.4823:                             ;   in Loop: Header=BB2_4220 Depth=2
	v_bfe_u32 v87, v82, 23, 8
	v_or_b32_e32 v84, 0x800000, v32
	s_delay_alu instid0(VALU_DEP_2) | instskip(SKIP_1) | instid1(VALU_DEP_2)
	v_sub_nc_u32_e32 v82, 0x71, v87
	v_cmp_gt_u32_e32 vcc_lo, 0x72, v87
	v_cndmask_b32_e32 v82, 0, v82, vcc_lo
	v_cmp_eq_u32_e32 vcc_lo, 0, v87
	s_delay_alu instid0(VALU_DEP_2) | instskip(NEXT) | instid1(VALU_DEP_1)
	v_cndmask_b32_e64 v115, v82, 0x70, vcc_lo
	v_dual_cndmask_b32 v32, v84, v32, vcc_lo :: v_dual_add_nc_u32 v82, 21, v115
	v_add_nc_u32_e32 v85, 20, v115
	s_delay_alu instid0(VALU_DEP_2) | instskip(NEXT) | instid1(VALU_DEP_2)
	v_lshlrev_b64_e64 v[82:83], v82, -1
	v_lshlrev_b64_e64 v[84:85], v85, 1
	s_delay_alu instid0(VALU_DEP_2) | instskip(NEXT) | instid1(VALU_DEP_3)
	v_bfi_b32 v61, v83, 0, 0
	v_bfi_b32 v60, v82, 0, v32
	v_lshrrev_b64 v[82:83], v115, v[32:33]
	s_delay_alu instid0(VALU_DEP_2) | instskip(NEXT) | instid1(VALU_DEP_2)
	v_cmp_eq_u64_e64 s7, v[60:61], v[84:85]
	v_mov_b64_e32 v[84:85], v[82:83]
	s_and_saveexec_b32 s41, s7
; %bb.4824:                             ;   in Loop: Header=BB2_4220 Depth=2
	v_bfe_u32 v32, v82, 21, 1
	s_delay_alu instid0(VALU_DEP_1) | instskip(NEXT) | instid1(VALU_DEP_1)
	v_add_nc_u64_e32 v[84:85], v[82:83], v[32:33]
	v_add_nc_u64_e32 v[84:85], -1, v[84:85]
; %bb.4825:                             ;   in Loop: Header=BB2_4220 Depth=2
	s_or_b32 exec_lo, exec_lo, s41
	v_add_nc_u32_e32 v32, 0xffffff81, v87
	v_lshrrev_b32_e32 v83, 23, v82
	s_mov_b32 s7, exec_lo
	s_delay_alu instid0(VALU_DEP_2) | instskip(NEXT) | instid1(VALU_DEP_1)
	v_cndmask_b32_e64 v32, v32, 0xffffff82, vcc_lo
	v_add3_u32 v85, v115, v32, v83
	v_and_b32_e32 v32, 0x1fffff, v84
                                        ; implicit-def: $vgpr84
	s_delay_alu instid0(VALU_DEP_1) | instskip(NEXT) | instid1(VALU_DEP_1)
	v_dual_add_nc_u32 v87, 14, v85 :: v_dual_add_nc_u32 v32, v32, v82
                                        ; implicit-def: $vgpr82_vgpr83
	v_cmpx_ne_u32_e32 0, v87
	s_xor_b32 s7, exec_lo, s7
; %bb.4826:                             ;   in Loop: Header=BB2_4220 Depth=2
	s_delay_alu instid0(VALU_DEP_2) | instskip(SKIP_1) | instid1(VALU_DEP_1)
	v_cmp_lt_u64_e32 vcc_lo, 0xffffff, v[32:33]
	v_add_nc_u32_e32 v82, 15, v85
	v_cndmask_b32_e32 v84, v87, v82, vcc_lo
	v_cndmask_b32_e64 v82, 0, 1, vcc_lo
	s_delay_alu instid0(VALU_DEP_1)
	v_lshrrev_b64 v[82:83], v82, v[32:33]
; %bb.4827:                             ;   in Loop: Header=BB2_4220 Depth=2
	s_and_not1_saveexec_b32 s7, s7
; %bb.4828:                             ;   in Loop: Header=BB2_4220 Depth=2
	v_mov_b64_e32 v[82:83], v[32:33]
	v_bfe_u32 v84, v32, 23, 1
; %bb.4829:                             ;   in Loop: Header=BB2_4220 Depth=2
	s_or_b32 exec_lo, exec_lo, s7
	s_delay_alu instid0(VALU_DEP_2) | instskip(NEXT) | instid1(VALU_DEP_2)
	v_lshrrev_b64 v[82:83], 21, v[82:83]
	v_cmp_gt_i32_e32 vcc_lo, 32, v84
	v_min_i32_e32 v32, 31, v84
	v_cmp_eq_u32_e64 s7, 0, v84
	s_delay_alu instid0(VALU_DEP_2) | instskip(SKIP_1) | instid1(VALU_DEP_2)
	v_dual_cndmask_b32 v83, 0, v83 :: v_dual_lshlrev_b32 v32, 2, v32
	v_cndmask_b32_e32 v82, 3, v82, vcc_lo
	v_and_b32_e32 v32, 0xfc, v32
	s_delay_alu instid0(VALU_DEP_2) | instskip(NEXT) | instid1(VALU_DEP_2)
	v_cmp_eq_u64_e32 vcc_lo, 0, v[82:83]
	v_and_or_b32 v32, v82, 3, v32
	s_and_b32 s7, s7, vcc_lo
	s_delay_alu instid0(VALU_DEP_1) | instid1(SALU_CYCLE_1)
	v_cndmask_b32_e64 v32, v32, 0, s7
	s_delay_alu instid0(VALU_DEP_1)
	v_or_b32_e32 v115, v32, v30
.LBB2_4830:                             ;   in Loop: Header=BB2_4220 Depth=2
	s_or_b32 exec_lo, exec_lo, s40
                                        ; implicit-def: $vgpr30
.LBB2_4831:                             ;   in Loop: Header=BB2_4220 Depth=2
	s_and_not1_saveexec_b32 s7, s29
; %bb.4832:                             ;   in Loop: Header=BB2_4220 Depth=2
	v_or_b32_e32 v115, 0x7b, v30
; %bb.4833:                             ;   in Loop: Header=BB2_4220 Depth=2
	s_or_b32 exec_lo, exec_lo, s7
                                        ; implicit-def: $vgpr82
                                        ; implicit-def: $vgpr30
.LBB2_4834:                             ;   in Loop: Header=BB2_4220 Depth=2
	s_and_not1_saveexec_b32 s7, s28
	s_cbranch_execz .LBB2_4840
; %bb.4835:                             ;   in Loop: Header=BB2_4220 Depth=2
	s_mov_b32 s28, exec_lo
                                        ; implicit-def: $vgpr115
	v_cmpx_ne_u64_e32 0, v[32:33]
	s_xor_b32 s28, exec_lo, s28
; %bb.4836:                             ;   in Loop: Header=BB2_4220 Depth=2
	v_or_b32_e32 v115, 0x7f, v30
                                        ; implicit-def: $vgpr82
; %bb.4837:                             ;   in Loop: Header=BB2_4220 Depth=2
	s_and_not1_saveexec_b32 s28, s28
; %bb.4838:                             ;   in Loop: Header=BB2_4220 Depth=2
	v_cmp_lt_i32_e32 vcc_lo, -1, v82
	v_cndmask_b32_e32 v115, 0xfc, v46, vcc_lo
; %bb.4839:                             ;   in Loop: Header=BB2_4220 Depth=2
	s_or_b32 exec_lo, exec_lo, s28
.LBB2_4840:                             ;   in Loop: Header=BB2_4220 Depth=2
	s_delay_alu instid0(SALU_CYCLE_1) | instskip(SKIP_4) | instid1(VALU_DEP_2)
	s_or_b32 exec_lo, exec_lo, s7
	v_lshl_or_b32 v30, v118, 8, v86
	v_dual_lshlrev_b32 v32, 16, v40 :: v_dual_lshlrev_b32 v82, 24, v41
	v_mov_b32_e32 v84, 0
	s_mov_b32 s7, exec_lo
	v_or3_b32 v32, v32, v82, v30
	v_cmpx_ne_u32_e32 0, v86
	s_cbranch_execz .LBB2_4850
; %bb.4841:                             ;   in Loop: Header=BB2_4220 Depth=2
	v_bfrev_b32_e32 v84, 1
	s_mov_b32 s28, exec_lo
	v_cmpx_ne_u32_e32 0x80, v86
	s_cbranch_execz .LBB2_4849
; %bb.4842:                             ;   in Loop: Header=BB2_4220 Depth=2
	v_and_b32_e32 v83, 0x7c, v86
	v_and_b32_e32 v82, 3, v86
	s_mov_b32 s29, exec_lo
                                        ; implicit-def: $vgpr84
	s_delay_alu instid0(VALU_DEP_2)
	v_cmpx_ne_u32_e32 0x7c, v83
	s_xor_b32 s29, exec_lo, s29
	s_cbranch_execz .LBB2_4846
; %bb.4843:                             ;   in Loop: Header=BB2_4220 Depth=2
	v_bfe_u32 v83, v86, 2, 5
	s_mov_b32 s40, exec_lo
	s_delay_alu instid0(VALU_DEP_1)
	v_cmpx_eq_u32_e32 0, v83
; %bb.4844:                             ;   in Loop: Header=BB2_4220 Depth=2
	v_clz_i32_u32_e32 v82, v82
	s_delay_alu instid0(VALU_DEP_1) | instskip(NEXT) | instid1(VALU_DEP_1)
	v_min_u32_e32 v84, 32, v82
	v_subrev_nc_u32_e32 v82, 29, v84
	s_delay_alu instid0(VALU_DEP_1) | instskip(NEXT) | instid1(VALU_DEP_1)
	v_lshlrev_b64_e32 v[82:83], v82, v[32:33]
	v_dual_sub_nc_u32 v83, 30, v84 :: v_dual_bitop2_b32 v82, 3, v82 bitop3:0x40
; %bb.4845:                             ;   in Loop: Header=BB2_4220 Depth=2
	s_or_b32 exec_lo, exec_lo, s40
	v_lshlrev_b32_e32 v84, 24, v86
                                        ; implicit-def: $vgpr86
	s_delay_alu instid0(VALU_DEP_1) | instskip(NEXT) | instid1(VALU_DEP_1)
	v_and_b32_e32 v84, 0x80000000, v84
	v_lshl_add_u32 v83, v83, 23, v84
	s_delay_alu instid0(VALU_DEP_1) | instskip(NEXT) | instid1(VALU_DEP_1)
	v_lshl_or_b32 v82, v82, 21, v83
	v_add_nc_u32_e32 v84, 0x38000000, v82
                                        ; implicit-def: $vgpr82
.LBB2_4846:                             ;   in Loop: Header=BB2_4220 Depth=2
	s_and_not1_saveexec_b32 s29, s29
; %bb.4847:                             ;   in Loop: Header=BB2_4220 Depth=2
	v_and_b32_e32 v83, 0x80, v86
	s_delay_alu instid0(VALU_DEP_1) | instskip(SKIP_2) | instid1(VALU_DEP_2)
	v_cmp_eq_u32_e32 vcc_lo, 0, v83
	v_cndmask_b32_e32 v83, 0xff800000, v45, vcc_lo
	v_cmp_eq_u32_e32 vcc_lo, 0, v82
	v_cndmask_b32_e32 v84, 0x7f800001, v83, vcc_lo
; %bb.4848:                             ;   in Loop: Header=BB2_4220 Depth=2
	s_or_b32 exec_lo, exec_lo, s29
.LBB2_4849:                             ;   in Loop: Header=BB2_4220 Depth=2
	s_delay_alu instid0(SALU_CYCLE_1)
	s_or_b32 exec_lo, exec_lo, s28
.LBB2_4850:                             ;   in Loop: Header=BB2_4220 Depth=2
	s_delay_alu instid0(SALU_CYCLE_1) | instskip(SKIP_4) | instid1(VALU_DEP_2)
	s_or_b32 exec_lo, exec_lo, s7
	v_and_b32_e32 v83, 0xff, v11
	v_mov_b32_e32 v82, v11
	s_mov_b32 s28, 0
	s_mov_b32 s7, exec_lo
	v_cmpx_lt_i16_e32 0x7f, v83
	s_xor_b32 s7, exec_lo, s7
	s_cbranch_execnz .LBB2_5247
; %bb.4851:                             ;   in Loop: Header=BB2_4220 Depth=2
	s_or_saveexec_b32 s7, s7
	v_bfrev_b32_e32 v85, 1
	s_xor_b32 exec_lo, exec_lo, s7
	s_cbranch_execnz .LBB2_5250
.LBB2_4852:                             ;   in Loop: Header=BB2_4220 Depth=2
	s_or_b32 exec_lo, exec_lo, s7
	v_mov_b32_e32 v83, v33
	s_and_saveexec_b32 s7, s28
	s_cbranch_execz .LBB2_4854
.LBB2_4853:                             ;   in Loop: Header=BB2_4220 Depth=2
	v_and_b32_e32 v85, 3, v11
	s_delay_alu instid0(VALU_DEP_1) | instskip(NEXT) | instid1(VALU_DEP_1)
	v_clz_i32_u32_e32 v86, v85
	v_min_u32_e32 v118, 32, v86
	s_delay_alu instid0(VALU_DEP_1) | instskip(SKIP_1) | instid1(VALU_DEP_2)
	v_subrev_nc_u32_e32 v86, 29, v118
	v_sub_nc_u32_e32 v118, 30, v118
	v_lshlrev_b64_e32 v[86:87], v86, v[82:83]
	v_bfe_u32 v87, v11, 2, 5
	v_lshlrev_b32_e32 v83, 24, v11
	s_delay_alu instid0(VALU_DEP_2) | instskip(NEXT) | instid1(VALU_DEP_2)
	v_cmp_eq_u32_e32 vcc_lo, 0, v87
	v_and_b32_e32 v83, 0x80000000, v83
	v_and_b32_e32 v86, 3, v86
	v_cndmask_b32_e32 v87, v87, v118, vcc_lo
	v_bfe_i32 v118, v11, 0, 8
	s_delay_alu instid0(VALU_DEP_3) | instskip(NEXT) | instid1(VALU_DEP_3)
	v_cndmask_b32_e32 v86, v85, v86, vcc_lo
	v_lshl_add_u32 v83, v87, 23, v83
	s_delay_alu instid0(VALU_DEP_3) | instskip(NEXT) | instid1(VALU_DEP_2)
	v_cmp_lt_i16_e32 vcc_lo, -1, v118
	v_lshl_or_b32 v83, v86, 21, v83
	v_cndmask_b32_e32 v87, 0xff800000, v45, vcc_lo
	v_and_b32_e32 v86, 0x7c, v11
	v_cmp_eq_u32_e32 vcc_lo, 0, v85
	s_delay_alu instid0(VALU_DEP_4) | instskip(NEXT) | instid1(VALU_DEP_4)
	v_add_nc_u32_e32 v83, 0x38000000, v83
	v_cndmask_b32_e32 v85, 0x7f800001, v87, vcc_lo
	s_delay_alu instid0(VALU_DEP_4) | instskip(NEXT) | instid1(VALU_DEP_2)
	v_cmp_eq_u32_e32 vcc_lo, 0x7c, v86
	v_cndmask_b32_e32 v85, v83, v85, vcc_lo
.LBB2_4854:                             ;   in Loop: Header=BB2_4220 Depth=2
	s_or_b32 exec_lo, exec_lo, s7
	s_delay_alu instid0(VALU_DEP_1) | instskip(SKIP_2) | instid1(VALU_DEP_2)
	v_dual_add_f32 v87, v84, v85 :: v_dual_mov_b32 v41, v33
	v_mov_b32_e32 v85, v33
                                        ; implicit-def: $vgpr86
	s_mov_b32 s7, exec_lo
	v_and_b32_e32 v40, 0x7f800000, v87
	v_and_b32_e32 v84, 0x7fffff, v87
	v_lshrrev_b32_e32 v83, 24, v87
	s_delay_alu instid0(VALU_DEP_3)
	v_cmpx_ne_u64_e32 0x7f800000, v[40:41]
	s_xor_b32 s28, exec_lo, s7
	s_cbranch_execz .LBB2_4868
; %bb.4855:                             ;   in Loop: Header=BB2_4220 Depth=2
	v_and_b32_e32 v40, 0x7fffffff, v87
	v_mov_b32_e32 v41, v33
	v_and_b32_e32 v83, 0x80, v83
                                        ; implicit-def: $vgpr86
	s_mov_b32 s7, exec_lo
	s_delay_alu instid0(VALU_DEP_2)
	v_cmpx_gt_u64_e32 0x47600001, v[40:41]
	s_xor_b32 s29, exec_lo, s7
	s_cbranch_execz .LBB2_4865
; %bb.4856:                             ;   in Loop: Header=BB2_4220 Depth=2
	v_mov_b32_e32 v86, 0
	s_mov_b32 s40, exec_lo
	v_cmpx_ne_u32_e32 0, v87
	s_cbranch_execz .LBB2_4864
; %bb.4857:                             ;   in Loop: Header=BB2_4220 Depth=2
	v_bfe_u32 v118, v87, 23, 8
	v_or_b32_e32 v41, 0x800000, v84
	s_delay_alu instid0(VALU_DEP_2) | instskip(SKIP_1) | instid1(VALU_DEP_2)
	v_sub_nc_u32_e32 v86, 0x71, v118
	v_cmp_gt_u32_e32 vcc_lo, 0x72, v118
	v_cndmask_b32_e32 v86, 0, v86, vcc_lo
	v_cmp_eq_u32_e32 vcc_lo, 0, v118
	s_delay_alu instid0(VALU_DEP_2) | instskip(SKIP_1) | instid1(VALU_DEP_2)
	v_cndmask_b32_e64 v40, v86, 0x70, vcc_lo
	v_cndmask_b32_e32 v84, v41, v84, vcc_lo
	v_dual_add_nc_u32 v86, 21, v40 :: v_dual_add_nc_u32 v60, 20, v40
	s_delay_alu instid0(VALU_DEP_1) | instskip(NEXT) | instid1(VALU_DEP_2)
	v_lshlrev_b64_e64 v[86:87], v86, -1
	v_lshlrev_b64_e64 v[60:61], v60, 1
	s_delay_alu instid0(VALU_DEP_2) | instskip(SKIP_1) | instid1(VALU_DEP_4)
	v_bfi_b32 v86, v86, 0, v84
	v_lshrrev_b64 v[84:85], v40, v[84:85]
	v_bfi_b32 v87, v87, 0, 0
	s_delay_alu instid0(VALU_DEP_1) | instskip(NEXT) | instid1(VALU_DEP_3)
	v_cmp_eq_u64_e64 s7, v[86:87], v[60:61]
	v_mov_b64_e32 v[86:87], v[84:85]
	s_and_saveexec_b32 s41, s7
; %bb.4858:                             ;   in Loop: Header=BB2_4220 Depth=2
	v_bfe_u32 v86, v84, 21, 1
	v_mov_b32_e32 v87, v33
	s_delay_alu instid0(VALU_DEP_1) | instskip(NEXT) | instid1(VALU_DEP_1)
	v_add_nc_u64_e32 v[86:87], v[84:85], v[86:87]
	v_add_nc_u64_e32 v[86:87], -1, v[86:87]
; %bb.4859:                             ;   in Loop: Header=BB2_4220 Depth=2
	s_or_b32 exec_lo, exec_lo, s41
	v_add_nc_u32_e32 v85, 0xffffff81, v118
	v_lshrrev_b32_e32 v87, 23, v84
	s_mov_b32 s7, exec_lo
	s_delay_alu instid0(VALU_DEP_2) | instskip(NEXT) | instid1(VALU_DEP_1)
	v_cndmask_b32_e64 v85, v85, 0xffffff82, vcc_lo
	v_add3_u32 v87, v40, v85, v87
	v_and_b32_e32 v85, 0x1fffff, v86
                                        ; implicit-def: $vgpr86
	s_delay_alu instid0(VALU_DEP_1) | instskip(SKIP_1) | instid1(VALU_DEP_2)
	v_dual_add_nc_u32 v118, 14, v87 :: v_dual_add_nc_u32 v84, v85, v84
	v_mov_b32_e32 v85, v33
	v_cmpx_ne_u32_e32 0, v118
	s_xor_b32 s7, exec_lo, s7
; %bb.4860:                             ;   in Loop: Header=BB2_4220 Depth=2
	s_delay_alu instid0(VALU_DEP_2) | instskip(SKIP_2) | instid1(VALU_DEP_2)
	v_cmp_lt_u64_e32 vcc_lo, 0xffffff, v[84:85]
	v_add_nc_u32_e32 v86, 15, v87
	v_cndmask_b32_e64 v87, 0, 1, vcc_lo
	v_cndmask_b32_e32 v86, v118, v86, vcc_lo
	s_delay_alu instid0(VALU_DEP_2)
	v_lshrrev_b64 v[84:85], v87, v[84:85]
; %bb.4861:                             ;   in Loop: Header=BB2_4220 Depth=2
	s_and_not1_saveexec_b32 s7, s7
; %bb.4862:                             ;   in Loop: Header=BB2_4220 Depth=2
	s_delay_alu instid0(VALU_DEP_1)
	v_bfe_u32 v86, v84, 23, 1
; %bb.4863:                             ;   in Loop: Header=BB2_4220 Depth=2
	s_or_b32 exec_lo, exec_lo, s7
	s_delay_alu instid0(VALU_DEP_2) | instskip(NEXT) | instid1(VALU_DEP_2)
	v_lshrrev_b64 v[84:85], 21, v[84:85]
	v_cmp_gt_i32_e32 vcc_lo, 32, v86
	v_min_i32_e32 v87, 31, v86
	v_cmp_eq_u32_e64 s7, 0, v86
	s_delay_alu instid0(VALU_DEP_2) | instskip(SKIP_1) | instid1(VALU_DEP_2)
	v_dual_cndmask_b32 v85, 0, v85, vcc_lo :: v_dual_lshlrev_b32 v87, 2, v87
	v_cndmask_b32_e32 v84, 3, v84, vcc_lo
	v_and_b32_e32 v87, 0xfc, v87
	s_delay_alu instid0(VALU_DEP_2) | instskip(NEXT) | instid1(VALU_DEP_2)
	v_cmp_eq_u64_e32 vcc_lo, 0, v[84:85]
	v_and_or_b32 v84, v84, 3, v87
	s_and_b32 s7, s7, vcc_lo
	s_delay_alu instid0(VALU_DEP_1) | instid1(SALU_CYCLE_1)
	v_cndmask_b32_e64 v84, v84, 0, s7
	s_delay_alu instid0(VALU_DEP_1)
	v_or_b32_e32 v86, v84, v83
.LBB2_4864:                             ;   in Loop: Header=BB2_4220 Depth=2
	s_or_b32 exec_lo, exec_lo, s40
                                        ; implicit-def: $vgpr83
.LBB2_4865:                             ;   in Loop: Header=BB2_4220 Depth=2
	s_and_not1_saveexec_b32 s7, s29
; %bb.4866:                             ;   in Loop: Header=BB2_4220 Depth=2
	v_or_b32_e32 v86, 0x7b, v83
; %bb.4867:                             ;   in Loop: Header=BB2_4220 Depth=2
	s_or_b32 exec_lo, exec_lo, s7
                                        ; implicit-def: $vgpr87
                                        ; implicit-def: $vgpr84_vgpr85
                                        ; implicit-def: $vgpr83
.LBB2_4868:                             ;   in Loop: Header=BB2_4220 Depth=2
	s_and_not1_saveexec_b32 s7, s28
	s_cbranch_execz .LBB2_4874
; %bb.4869:                             ;   in Loop: Header=BB2_4220 Depth=2
	s_mov_b32 s28, exec_lo
                                        ; implicit-def: $vgpr86
	v_cmpx_ne_u64_e32 0, v[84:85]
	s_xor_b32 s28, exec_lo, s28
; %bb.4870:                             ;   in Loop: Header=BB2_4220 Depth=2
	v_or_b32_e32 v86, 0x7f, v83
                                        ; implicit-def: $vgpr87
; %bb.4871:                             ;   in Loop: Header=BB2_4220 Depth=2
	s_and_not1_saveexec_b32 s28, s28
; %bb.4872:                             ;   in Loop: Header=BB2_4220 Depth=2
	v_cmp_lt_i32_e32 vcc_lo, -1, v87
	v_cndmask_b32_e32 v86, 0xfc, v46, vcc_lo
; %bb.4873:                             ;   in Loop: Header=BB2_4220 Depth=2
	s_or_b32 exec_lo, exec_lo, s28
.LBB2_4874:                             ;   in Loop: Header=BB2_4220 Depth=2
	s_delay_alu instid0(SALU_CYCLE_1) | instskip(SKIP_3) | instid1(VALU_DEP_2)
	s_or_b32 exec_lo, exec_lo, s7
	v_lshrrev_b16 v84, 8, v30
	v_mov_b32_e32 v83, 0
	s_mov_b32 s7, exec_lo
	v_cmpx_ne_u16_e32 0, v84
	s_cbranch_execz .LBB2_4884
; %bb.4875:                             ;   in Loop: Header=BB2_4220 Depth=2
	v_bfrev_b32_e32 v83, 1
	s_mov_b32 s28, exec_lo
	v_cmpx_ne_u16_e32 0x80, v84
	s_cbranch_execz .LBB2_4883
; %bb.4876:                             ;   in Loop: Header=BB2_4220 Depth=2
	v_and_b32_e32 v87, 0xffff, v84
	s_delay_alu instid0(VALU_DEP_1) | instskip(SKIP_1) | instid1(VALU_DEP_2)
	v_and_b32_e32 v83, 0x7c, v87
	v_and_b32_e32 v85, 3, v87
	v_cmp_ne_u32_e32 vcc_lo, 0x7c, v83
                                        ; implicit-def: $vgpr83
	s_and_saveexec_b32 s29, vcc_lo
	s_delay_alu instid0(SALU_CYCLE_1)
	s_xor_b32 s29, exec_lo, s29
	s_cbranch_execz .LBB2_4880
; %bb.4877:                             ;   in Loop: Header=BB2_4220 Depth=2
	v_bfe_u32 v83, v87, 2, 5
	s_mov_b32 s40, exec_lo
	s_delay_alu instid0(VALU_DEP_1)
	v_cmpx_eq_u32_e32 0, v83
	s_cbranch_execz .LBB2_4879
; %bb.4878:                             ;   in Loop: Header=BB2_4220 Depth=2
	v_clz_i32_u32_e32 v83, v85
	s_delay_alu instid0(VALU_DEP_1) | instskip(SKIP_1) | instid1(VALU_DEP_2)
	v_min_u32_e32 v83, 32, v83
	v_mov_b32_e32 v85, v33
	v_subrev_nc_u32_e32 v87, 29, v83
	v_sub_nc_u32_e32 v83, 30, v83
	s_delay_alu instid0(VALU_DEP_2) | instskip(NEXT) | instid1(VALU_DEP_1)
	v_lshlrev_b64_e32 v[84:85], v87, v[84:85]
	v_and_b32_e32 v85, 3, v84
.LBB2_4879:                             ;   in Loop: Header=BB2_4220 Depth=2
	s_or_b32 exec_lo, exec_lo, s40
	v_lshlrev_b32_e32 v30, 16, v30
	s_delay_alu instid0(VALU_DEP_1) | instskip(NEXT) | instid1(VALU_DEP_1)
	v_and_b32_e32 v30, 0x80000000, v30
	v_lshl_add_u32 v30, v83, 23, v30
	s_delay_alu instid0(VALU_DEP_1) | instskip(NEXT) | instid1(VALU_DEP_1)
	v_lshl_or_b32 v30, v85, 21, v30
                                        ; implicit-def: $vgpr85
	v_add_nc_u32_e32 v83, 0x38000000, v30
                                        ; implicit-def: $vgpr30
.LBB2_4880:                             ;   in Loop: Header=BB2_4220 Depth=2
	s_and_not1_saveexec_b32 s29, s29
; %bb.4881:                             ;   in Loop: Header=BB2_4220 Depth=2
	v_cmp_lt_i16_e32 vcc_lo, -1, v30
	v_cndmask_b32_e32 v30, 0xff800000, v45, vcc_lo
	v_cmp_eq_u32_e32 vcc_lo, 0, v85
	s_delay_alu instid0(VALU_DEP_2)
	v_cndmask_b32_e32 v83, 0x7f800001, v30, vcc_lo
; %bb.4882:                             ;   in Loop: Header=BB2_4220 Depth=2
	s_or_b32 exec_lo, exec_lo, s29
.LBB2_4883:                             ;   in Loop: Header=BB2_4220 Depth=2
	s_delay_alu instid0(SALU_CYCLE_1)
	s_or_b32 exec_lo, exec_lo, s28
.LBB2_4884:                             ;   in Loop: Header=BB2_4220 Depth=2
	s_delay_alu instid0(SALU_CYCLE_1) | instskip(SKIP_3) | instid1(VALU_DEP_1)
	s_or_b32 exec_lo, exec_lo, s7
	v_lshrrev_b16 v84, 8, v82
	s_mov_b32 s28, 0
	s_mov_b32 s7, exec_lo
	v_cmpx_lt_i16_e32 0x7f, v84
	s_xor_b32 s7, exec_lo, s7
	s_cbranch_execnz .LBB2_5251
; %bb.4885:                             ;   in Loop: Header=BB2_4220 Depth=2
	s_or_saveexec_b32 s7, s7
	v_bfrev_b32_e32 v30, 1
	s_xor_b32 exec_lo, exec_lo, s7
	s_cbranch_execnz .LBB2_5254
.LBB2_4886:                             ;   in Loop: Header=BB2_4220 Depth=2
	s_or_b32 exec_lo, exec_lo, s7
	s_and_saveexec_b32 s7, s28
	s_cbranch_execz .LBB2_4888
.LBB2_4887:                             ;   in Loop: Header=BB2_4220 Depth=2
	v_and_b32_e32 v30, 0xffff, v84
	s_delay_alu instid0(VALU_DEP_1) | instskip(NEXT) | instid1(VALU_DEP_1)
	v_and_b32_e32 v87, 3, v30
	v_clz_i32_u32_e32 v85, v87
	s_delay_alu instid0(VALU_DEP_1) | instskip(SKIP_1) | instid1(VALU_DEP_2)
	v_min_u32_e32 v118, 32, v85
	v_mov_b32_e32 v85, v33
	v_subrev_nc_u32_e32 v40, 29, v118
	v_sub_nc_u32_e32 v118, 30, v118
	s_delay_alu instid0(VALU_DEP_2) | instskip(SKIP_3) | instid1(VALU_DEP_3)
	v_lshlrev_b64_e32 v[40:41], v40, v[84:85]
	v_bfe_u32 v85, v30, 2, 5
	v_lshlrev_b32_e32 v84, 24, v84
	v_and_b32_e32 v30, 0x7c, v30
	v_cmp_eq_u32_e32 vcc_lo, 0, v85
	s_delay_alu instid0(VALU_DEP_3) | instskip(SKIP_1) | instid1(VALU_DEP_1)
	v_and_b32_e32 v84, 0x80000000, v84
	v_dual_cndmask_b32 v85, v85, v118, vcc_lo :: v_dual_bitop2_b32 v40, 3, v40 bitop3:0x40
	v_cndmask_b32_e32 v118, v87, v40, vcc_lo
	v_cmp_lt_i16_e32 vcc_lo, -1, v82
	s_delay_alu instid0(VALU_DEP_3) | instskip(SKIP_2) | instid1(VALU_DEP_3)
	v_lshl_add_u32 v84, v85, 23, v84
	v_cndmask_b32_e32 v82, 0xff800000, v45, vcc_lo
	v_cmp_eq_u32_e32 vcc_lo, 0, v87
	v_lshl_or_b32 v84, v118, 21, v84
	s_delay_alu instid0(VALU_DEP_3) | instskip(NEXT) | instid1(VALU_DEP_2)
	v_cndmask_b32_e32 v82, 0x7f800001, v82, vcc_lo
	v_add_nc_u32_e32 v84, 0x38000000, v84
	v_cmp_eq_u32_e32 vcc_lo, 0x7c, v30
	s_delay_alu instid0(VALU_DEP_2)
	v_cndmask_b32_e32 v30, v84, v82, vcc_lo
.LBB2_4888:                             ;   in Loop: Header=BB2_4220 Depth=2
	s_or_b32 exec_lo, exec_lo, s7
	s_delay_alu instid0(VALU_DEP_1) | instskip(SKIP_2) | instid1(VALU_DEP_2)
	v_dual_add_f32 v84, v83, v30 :: v_dual_mov_b32 v41, v33
	v_mov_b32_e32 v83, v33
                                        ; implicit-def: $vgpr87
	s_mov_b32 s7, exec_lo
	v_and_b32_e32 v40, 0x7f800000, v84
	v_and_b32_e32 v82, 0x7fffff, v84
	v_lshrrev_b32_e32 v30, 24, v84
	s_delay_alu instid0(VALU_DEP_3)
	v_cmpx_ne_u64_e32 0x7f800000, v[40:41]
	s_xor_b32 s28, exec_lo, s7
	s_cbranch_execz .LBB2_4902
; %bb.4889:                             ;   in Loop: Header=BB2_4220 Depth=2
	v_and_b32_e32 v40, 0x7fffffff, v84
	v_mov_b32_e32 v41, v33
	v_and_b32_e32 v30, 0x80, v30
                                        ; implicit-def: $vgpr87
	s_mov_b32 s7, exec_lo
	s_delay_alu instid0(VALU_DEP_2)
	v_cmpx_gt_u64_e32 0x47600001, v[40:41]
	s_xor_b32 s29, exec_lo, s7
	s_cbranch_execz .LBB2_4899
; %bb.4890:                             ;   in Loop: Header=BB2_4220 Depth=2
	v_mov_b32_e32 v87, 0
	s_mov_b32 s40, exec_lo
	v_cmpx_ne_u32_e32 0, v84
	s_cbranch_execz .LBB2_4898
; %bb.4891:                             ;   in Loop: Header=BB2_4220 Depth=2
	v_bfe_u32 v87, v84, 23, 8
	v_or_b32_e32 v40, 0x800000, v82
	s_delay_alu instid0(VALU_DEP_2) | instskip(SKIP_1) | instid1(VALU_DEP_2)
	v_sub_nc_u32_e32 v84, 0x71, v87
	v_cmp_gt_u32_e32 vcc_lo, 0x72, v87
	v_cndmask_b32_e32 v84, 0, v84, vcc_lo
	v_cmp_eq_u32_e32 vcc_lo, 0, v87
	s_delay_alu instid0(VALU_DEP_2) | instskip(SKIP_1) | instid1(VALU_DEP_2)
	v_cndmask_b32_e64 v118, v84, 0x70, vcc_lo
	v_cndmask_b32_e32 v82, v40, v82, vcc_lo
	v_dual_add_nc_u32 v84, 21, v118 :: v_dual_add_nc_u32 v41, 20, v118
	s_delay_alu instid0(VALU_DEP_1) | instskip(NEXT) | instid1(VALU_DEP_2)
	v_lshlrev_b64_e64 v[84:85], v84, -1
	v_lshlrev_b64_e64 v[40:41], v41, 1
	s_delay_alu instid0(VALU_DEP_2) | instskip(SKIP_1) | instid1(VALU_DEP_4)
	v_bfi_b32 v84, v84, 0, v82
	v_lshrrev_b64 v[82:83], v118, v[82:83]
	v_bfi_b32 v85, v85, 0, 0
	s_delay_alu instid0(VALU_DEP_1) | instskip(NEXT) | instid1(VALU_DEP_3)
	v_cmp_eq_u64_e64 s7, v[84:85], v[40:41]
	v_mov_b64_e32 v[84:85], v[82:83]
	s_and_saveexec_b32 s41, s7
; %bb.4892:                             ;   in Loop: Header=BB2_4220 Depth=2
	v_bfe_u32 v84, v82, 21, 1
	v_mov_b32_e32 v85, v33
	s_delay_alu instid0(VALU_DEP_1) | instskip(NEXT) | instid1(VALU_DEP_1)
	v_add_nc_u64_e32 v[84:85], v[82:83], v[84:85]
	v_add_nc_u64_e32 v[84:85], -1, v[84:85]
; %bb.4893:                             ;   in Loop: Header=BB2_4220 Depth=2
	s_or_b32 exec_lo, exec_lo, s41
	v_add_nc_u32_e32 v83, 0xffffff81, v87
	v_lshrrev_b32_e32 v85, 23, v82
	s_mov_b32 s7, exec_lo
	s_delay_alu instid0(VALU_DEP_2) | instskip(NEXT) | instid1(VALU_DEP_1)
	v_cndmask_b32_e64 v83, v83, 0xffffff82, vcc_lo
	v_add3_u32 v85, v118, v83, v85
	v_and_b32_e32 v83, 0x1fffff, v84
                                        ; implicit-def: $vgpr84
	s_delay_alu instid0(VALU_DEP_1) | instskip(SKIP_1) | instid1(VALU_DEP_2)
	v_dual_add_nc_u32 v87, 14, v85 :: v_dual_add_nc_u32 v82, v83, v82
	v_mov_b32_e32 v83, v33
	v_cmpx_ne_u32_e32 0, v87
	s_xor_b32 s7, exec_lo, s7
; %bb.4894:                             ;   in Loop: Header=BB2_4220 Depth=2
	s_delay_alu instid0(VALU_DEP_2) | instskip(SKIP_2) | instid1(VALU_DEP_2)
	v_cmp_lt_u64_e32 vcc_lo, 0xffffff, v[82:83]
	v_add_nc_u32_e32 v84, 15, v85
	v_cndmask_b32_e64 v85, 0, 1, vcc_lo
	v_cndmask_b32_e32 v84, v87, v84, vcc_lo
	s_delay_alu instid0(VALU_DEP_2)
	v_lshrrev_b64 v[82:83], v85, v[82:83]
; %bb.4895:                             ;   in Loop: Header=BB2_4220 Depth=2
	s_and_not1_saveexec_b32 s7, s7
; %bb.4896:                             ;   in Loop: Header=BB2_4220 Depth=2
	s_delay_alu instid0(VALU_DEP_1)
	v_bfe_u32 v84, v82, 23, 1
; %bb.4897:                             ;   in Loop: Header=BB2_4220 Depth=2
	s_or_b32 exec_lo, exec_lo, s7
	s_delay_alu instid0(VALU_DEP_2) | instskip(NEXT) | instid1(VALU_DEP_2)
	v_lshrrev_b64 v[82:83], 21, v[82:83]
	v_cmp_gt_i32_e32 vcc_lo, 32, v84
	v_min_i32_e32 v85, 31, v84
	v_cmp_eq_u32_e64 s7, 0, v84
	s_delay_alu instid0(VALU_DEP_2) | instskip(SKIP_1) | instid1(VALU_DEP_2)
	v_dual_cndmask_b32 v83, 0, v83, vcc_lo :: v_dual_lshlrev_b32 v85, 2, v85
	v_cndmask_b32_e32 v82, 3, v82, vcc_lo
	v_and_b32_e32 v85, 0xfc, v85
	s_delay_alu instid0(VALU_DEP_2) | instskip(NEXT) | instid1(VALU_DEP_2)
	v_cmp_eq_u64_e32 vcc_lo, 0, v[82:83]
	v_and_or_b32 v82, v82, 3, v85
	s_and_b32 s7, s7, vcc_lo
	s_delay_alu instid0(VALU_DEP_1) | instid1(SALU_CYCLE_1)
	v_cndmask_b32_e64 v82, v82, 0, s7
	s_delay_alu instid0(VALU_DEP_1)
	v_or_b32_e32 v87, v82, v30
.LBB2_4898:                             ;   in Loop: Header=BB2_4220 Depth=2
	s_or_b32 exec_lo, exec_lo, s40
                                        ; implicit-def: $vgpr30
.LBB2_4899:                             ;   in Loop: Header=BB2_4220 Depth=2
	s_and_not1_saveexec_b32 s7, s29
; %bb.4900:                             ;   in Loop: Header=BB2_4220 Depth=2
	v_or_b32_e32 v87, 0x7b, v30
; %bb.4901:                             ;   in Loop: Header=BB2_4220 Depth=2
	s_or_b32 exec_lo, exec_lo, s7
                                        ; implicit-def: $vgpr84
                                        ; implicit-def: $vgpr82_vgpr83
                                        ; implicit-def: $vgpr30
.LBB2_4902:                             ;   in Loop: Header=BB2_4220 Depth=2
	s_and_not1_saveexec_b32 s7, s28
	s_cbranch_execz .LBB2_4908
; %bb.4903:                             ;   in Loop: Header=BB2_4220 Depth=2
	s_mov_b32 s28, exec_lo
                                        ; implicit-def: $vgpr87
	v_cmpx_ne_u64_e32 0, v[82:83]
	s_xor_b32 s28, exec_lo, s28
; %bb.4904:                             ;   in Loop: Header=BB2_4220 Depth=2
	v_or_b32_e32 v87, 0x7f, v30
                                        ; implicit-def: $vgpr84
; %bb.4905:                             ;   in Loop: Header=BB2_4220 Depth=2
	s_and_not1_saveexec_b32 s28, s28
; %bb.4906:                             ;   in Loop: Header=BB2_4220 Depth=2
	v_cmp_lt_i32_e32 vcc_lo, -1, v84
	v_cndmask_b32_e32 v87, 0xfc, v46, vcc_lo
; %bb.4907:                             ;   in Loop: Header=BB2_4220 Depth=2
	s_or_b32 exec_lo, exec_lo, s28
.LBB2_4908:                             ;   in Loop: Header=BB2_4220 Depth=2
	s_delay_alu instid0(SALU_CYCLE_1) | instskip(SKIP_2) | instid1(VALU_DEP_1)
	s_or_b32 exec_lo, exec_lo, s7
	v_dual_lshrrev_b32 v30, 16, v32 :: v_dual_mov_b32 v82, 0
	s_mov_b32 s7, exec_lo
	v_and_b32_e32 v83, 0xff, v30
	s_delay_alu instid0(VALU_DEP_1)
	v_cmpx_ne_u16_e32 0, v83
	s_cbranch_execz .LBB2_4918
; %bb.4909:                             ;   in Loop: Header=BB2_4220 Depth=2
	v_bfrev_b32_e32 v82, 1
	s_mov_b32 s28, exec_lo
	v_cmpx_ne_u16_e32 0x80, v83
	s_cbranch_execz .LBB2_4917
; %bb.4910:                             ;   in Loop: Header=BB2_4220 Depth=2
	v_and_b32_e32 v82, 0x7c0000, v32
	v_bfe_u32 v83, v32, 16, 2
	s_delay_alu instid0(VALU_DEP_2) | instskip(SKIP_1) | instid1(SALU_CYCLE_1)
	v_cmp_ne_u32_e32 vcc_lo, 0x7c0000, v82
                                        ; implicit-def: $vgpr82
	s_and_saveexec_b32 s29, vcc_lo
	s_xor_b32 s29, exec_lo, s29
	s_cbranch_execz .LBB2_4914
; %bb.4911:                             ;   in Loop: Header=BB2_4220 Depth=2
	v_bfe_u32 v82, v32, 18, 5
	s_mov_b32 s40, exec_lo
	s_delay_alu instid0(VALU_DEP_1)
	v_cmpx_eq_u32_e32 0, v82
; %bb.4912:                             ;   in Loop: Header=BB2_4220 Depth=2
	v_clz_i32_u32_e32 v82, v83
	s_delay_alu instid0(VALU_DEP_1) | instskip(NEXT) | instid1(VALU_DEP_1)
	v_min_u32_e32 v82, 32, v82
	v_subrev_nc_u32_e32 v83, 29, v82
	s_delay_alu instid0(VALU_DEP_1) | instskip(NEXT) | instid1(VALU_DEP_1)
	v_lshlrev_b64_e32 v[84:85], v83, v[30:31]
	v_dual_sub_nc_u32 v82, 30, v82 :: v_dual_bitop2_b32 v83, 3, v84 bitop3:0x40
; %bb.4913:                             ;   in Loop: Header=BB2_4220 Depth=2
	s_or_b32 exec_lo, exec_lo, s40
	v_lshlrev_b32_e32 v30, 24, v30
	s_delay_alu instid0(VALU_DEP_1) | instskip(NEXT) | instid1(VALU_DEP_1)
	v_and_b32_e32 v30, 0x80000000, v30
	v_lshl_add_u32 v30, v82, 23, v30
	s_delay_alu instid0(VALU_DEP_1) | instskip(NEXT) | instid1(VALU_DEP_1)
	v_lshl_or_b32 v30, v83, 21, v30
                                        ; implicit-def: $vgpr83
	v_add_nc_u32_e32 v82, 0x38000000, v30
                                        ; implicit-def: $vgpr30
.LBB2_4914:                             ;   in Loop: Header=BB2_4220 Depth=2
	s_and_not1_saveexec_b32 s29, s29
; %bb.4915:                             ;   in Loop: Header=BB2_4220 Depth=2
	v_bfe_i32 v30, v30, 0, 8
	s_delay_alu instid0(VALU_DEP_1) | instskip(SKIP_2) | instid1(VALU_DEP_2)
	v_cmp_lt_i16_e32 vcc_lo, -1, v30
	v_cndmask_b32_e32 v30, 0xff800000, v45, vcc_lo
	v_cmp_eq_u32_e32 vcc_lo, 0, v83
	v_cndmask_b32_e32 v82, 0x7f800001, v30, vcc_lo
; %bb.4916:                             ;   in Loop: Header=BB2_4220 Depth=2
	s_or_b32 exec_lo, exec_lo, s29
.LBB2_4917:                             ;   in Loop: Header=BB2_4220 Depth=2
	s_delay_alu instid0(SALU_CYCLE_1)
	s_or_b32 exec_lo, exec_lo, s28
.LBB2_4918:                             ;   in Loop: Header=BB2_4220 Depth=2
	s_delay_alu instid0(SALU_CYCLE_1) | instskip(SKIP_3) | instid1(VALU_DEP_1)
	s_or_b32 exec_lo, exec_lo, s7
	v_lshrrev_b32_e32 v30, 16, v11
	s_mov_b32 s28, 0
	s_mov_b32 s7, exec_lo
	v_and_b32_e32 v84, 0xff, v30
	s_delay_alu instid0(VALU_DEP_1)
	v_cmpx_lt_i16_e32 0x7f, v84
	s_xor_b32 s7, exec_lo, s7
	s_cbranch_execnz .LBB2_5255
; %bb.4919:                             ;   in Loop: Header=BB2_4220 Depth=2
	s_or_saveexec_b32 s7, s7
	v_bfrev_b32_e32 v83, 1
	s_xor_b32 exec_lo, exec_lo, s7
	s_cbranch_execnz .LBB2_5258
.LBB2_4920:                             ;   in Loop: Header=BB2_4220 Depth=2
	s_or_b32 exec_lo, exec_lo, s7
	s_and_saveexec_b32 s7, s28
	s_cbranch_execz .LBB2_4922
.LBB2_4921:                             ;   in Loop: Header=BB2_4220 Depth=2
	v_and_b32_e32 v83, 3, v30
	v_bfe_u32 v40, v11, 18, 5
	s_delay_alu instid0(VALU_DEP_2) | instskip(NEXT) | instid1(VALU_DEP_2)
	v_clz_i32_u32_e32 v84, v83
	v_cmp_eq_u32_e32 vcc_lo, 0, v40
	s_delay_alu instid0(VALU_DEP_2) | instskip(NEXT) | instid1(VALU_DEP_1)
	v_min_u32_e32 v118, 32, v84
	v_subrev_nc_u32_e32 v84, 29, v118
	s_delay_alu instid0(VALU_DEP_1) | instskip(SKIP_3) | instid1(VALU_DEP_3)
	v_lshlrev_b64_e32 v[84:85], v84, v[30:31]
	v_lshlrev_b32_e32 v85, 24, v30
	v_sub_nc_u32_e32 v118, 30, v118
	v_bfe_i32 v30, v30, 0, 8
	v_and_b32_e32 v85, 0x80000000, v85
	s_delay_alu instid0(VALU_DEP_3) | instskip(NEXT) | instid1(VALU_DEP_1)
	v_dual_cndmask_b32 v118, v40, v118, vcc_lo :: v_dual_bitop2_b32 v84, 3, v84 bitop3:0x40
	v_cndmask_b32_e32 v84, v83, v84, vcc_lo
	s_delay_alu instid0(VALU_DEP_2) | instskip(SKIP_1) | instid1(VALU_DEP_2)
	v_lshl_add_u32 v85, v118, 23, v85
	v_cmp_lt_i16_e32 vcc_lo, -1, v30
	v_lshl_or_b32 v84, v84, 21, v85
	v_cndmask_b32_e32 v30, 0xff800000, v45, vcc_lo
	v_and_b32_e32 v85, 0x7c0000, v11
	v_cmp_eq_u32_e32 vcc_lo, 0, v83
	s_delay_alu instid0(VALU_DEP_4) | instskip(NEXT) | instid1(VALU_DEP_4)
	v_add_nc_u32_e32 v83, 0x38000000, v84
	v_cndmask_b32_e32 v30, 0x7f800001, v30, vcc_lo
	s_delay_alu instid0(VALU_DEP_4) | instskip(NEXT) | instid1(VALU_DEP_2)
	v_cmp_eq_u32_e32 vcc_lo, 0x7c0000, v85
	v_cndmask_b32_e32 v83, v83, v30, vcc_lo
.LBB2_4922:                             ;   in Loop: Header=BB2_4220 Depth=2
	s_or_b32 exec_lo, exec_lo, s7
	s_delay_alu instid0(VALU_DEP_1) | instskip(SKIP_2) | instid1(VALU_DEP_2)
	v_dual_add_f32 v84, v82, v83 :: v_dual_mov_b32 v41, v33
	v_mov_b32_e32 v83, v33
                                        ; implicit-def: $vgpr118
	s_mov_b32 s7, exec_lo
	v_and_b32_e32 v40, 0x7f800000, v84
	v_and_b32_e32 v82, 0x7fffff, v84
	v_lshrrev_b32_e32 v30, 24, v84
	s_delay_alu instid0(VALU_DEP_3)
	v_cmpx_ne_u64_e32 0x7f800000, v[40:41]
	s_xor_b32 s28, exec_lo, s7
	s_cbranch_execz .LBB2_4936
; %bb.4923:                             ;   in Loop: Header=BB2_4220 Depth=2
	v_and_b32_e32 v40, 0x7fffffff, v84
	v_mov_b32_e32 v41, v33
	v_and_b32_e32 v30, 0x80, v30
                                        ; implicit-def: $vgpr118
	s_mov_b32 s7, exec_lo
	s_delay_alu instid0(VALU_DEP_2)
	v_cmpx_gt_u64_e32 0x47600001, v[40:41]
	s_xor_b32 s29, exec_lo, s7
	s_cbranch_execz .LBB2_4933
; %bb.4924:                             ;   in Loop: Header=BB2_4220 Depth=2
	v_mov_b32_e32 v118, 0
	s_mov_b32 s40, exec_lo
	v_cmpx_ne_u32_e32 0, v84
	s_cbranch_execz .LBB2_4932
; %bb.4925:                             ;   in Loop: Header=BB2_4220 Depth=2
	v_bfe_u32 v118, v84, 23, 8
	v_or_b32_e32 v41, 0x800000, v82
	s_delay_alu instid0(VALU_DEP_2) | instskip(SKIP_1) | instid1(VALU_DEP_2)
	v_sub_nc_u32_e32 v84, 0x71, v118
	v_cmp_gt_u32_e32 vcc_lo, 0x72, v118
	v_cndmask_b32_e32 v84, 0, v84, vcc_lo
	v_cmp_eq_u32_e32 vcc_lo, 0, v118
	v_cndmask_b32_e32 v82, v41, v82, vcc_lo
	s_delay_alu instid0(VALU_DEP_3) | instskip(NEXT) | instid1(VALU_DEP_1)
	v_cndmask_b32_e64 v40, v84, 0x70, vcc_lo
	v_dual_add_nc_u32 v84, 21, v40 :: v_dual_add_nc_u32 v60, 20, v40
	s_delay_alu instid0(VALU_DEP_1) | instskip(NEXT) | instid1(VALU_DEP_2)
	v_lshlrev_b64_e64 v[84:85], v84, -1
	v_lshlrev_b64_e64 v[60:61], v60, 1
	s_delay_alu instid0(VALU_DEP_2) | instskip(SKIP_1) | instid1(VALU_DEP_4)
	v_bfi_b32 v84, v84, 0, v82
	v_lshrrev_b64 v[82:83], v40, v[82:83]
	v_bfi_b32 v85, v85, 0, 0
	s_delay_alu instid0(VALU_DEP_1) | instskip(NEXT) | instid1(VALU_DEP_3)
	v_cmp_eq_u64_e64 s7, v[84:85], v[60:61]
	v_mov_b64_e32 v[84:85], v[82:83]
	s_and_saveexec_b32 s41, s7
; %bb.4926:                             ;   in Loop: Header=BB2_4220 Depth=2
	v_bfe_u32 v84, v82, 21, 1
	v_mov_b32_e32 v85, v33
	s_delay_alu instid0(VALU_DEP_1) | instskip(NEXT) | instid1(VALU_DEP_1)
	v_add_nc_u64_e32 v[84:85], v[82:83], v[84:85]
	v_add_nc_u64_e32 v[84:85], -1, v[84:85]
; %bb.4927:                             ;   in Loop: Header=BB2_4220 Depth=2
	s_or_b32 exec_lo, exec_lo, s41
	v_add_nc_u32_e32 v83, 0xffffff81, v118
	v_lshrrev_b32_e32 v85, 23, v82
	s_mov_b32 s7, exec_lo
	s_delay_alu instid0(VALU_DEP_2) | instskip(NEXT) | instid1(VALU_DEP_1)
	v_cndmask_b32_e64 v83, v83, 0xffffff82, vcc_lo
	v_add3_u32 v85, v40, v83, v85
	v_and_b32_e32 v83, 0x1fffff, v84
                                        ; implicit-def: $vgpr84
	s_delay_alu instid0(VALU_DEP_1) | instskip(SKIP_1) | instid1(VALU_DEP_2)
	v_dual_add_nc_u32 v118, 14, v85 :: v_dual_add_nc_u32 v82, v83, v82
	v_mov_b32_e32 v83, v33
	v_cmpx_ne_u32_e32 0, v118
	s_xor_b32 s7, exec_lo, s7
; %bb.4928:                             ;   in Loop: Header=BB2_4220 Depth=2
	s_delay_alu instid0(VALU_DEP_2) | instskip(SKIP_2) | instid1(VALU_DEP_2)
	v_cmp_lt_u64_e32 vcc_lo, 0xffffff, v[82:83]
	v_add_nc_u32_e32 v84, 15, v85
	v_cndmask_b32_e64 v85, 0, 1, vcc_lo
	v_cndmask_b32_e32 v84, v118, v84, vcc_lo
	s_delay_alu instid0(VALU_DEP_2)
	v_lshrrev_b64 v[82:83], v85, v[82:83]
; %bb.4929:                             ;   in Loop: Header=BB2_4220 Depth=2
	s_and_not1_saveexec_b32 s7, s7
; %bb.4930:                             ;   in Loop: Header=BB2_4220 Depth=2
	s_delay_alu instid0(VALU_DEP_1)
	v_bfe_u32 v84, v82, 23, 1
; %bb.4931:                             ;   in Loop: Header=BB2_4220 Depth=2
	s_or_b32 exec_lo, exec_lo, s7
	s_delay_alu instid0(VALU_DEP_2) | instskip(NEXT) | instid1(VALU_DEP_2)
	v_lshrrev_b64 v[82:83], 21, v[82:83]
	v_cmp_gt_i32_e32 vcc_lo, 32, v84
	v_min_i32_e32 v85, 31, v84
	v_cmp_eq_u32_e64 s7, 0, v84
	s_delay_alu instid0(VALU_DEP_2) | instskip(SKIP_1) | instid1(VALU_DEP_2)
	v_dual_cndmask_b32 v83, 0, v83, vcc_lo :: v_dual_lshlrev_b32 v85, 2, v85
	v_cndmask_b32_e32 v82, 3, v82, vcc_lo
	v_and_b32_e32 v85, 0xfc, v85
	s_delay_alu instid0(VALU_DEP_2) | instskip(NEXT) | instid1(VALU_DEP_2)
	v_cmp_eq_u64_e32 vcc_lo, 0, v[82:83]
	v_and_or_b32 v82, v82, 3, v85
	s_and_b32 s7, s7, vcc_lo
	s_delay_alu instid0(VALU_DEP_1) | instid1(SALU_CYCLE_1)
	v_cndmask_b32_e64 v82, v82, 0, s7
	s_delay_alu instid0(VALU_DEP_1)
	v_or_b32_e32 v118, v82, v30
.LBB2_4932:                             ;   in Loop: Header=BB2_4220 Depth=2
	s_or_b32 exec_lo, exec_lo, s40
                                        ; implicit-def: $vgpr30
.LBB2_4933:                             ;   in Loop: Header=BB2_4220 Depth=2
	s_and_not1_saveexec_b32 s7, s29
; %bb.4934:                             ;   in Loop: Header=BB2_4220 Depth=2
	v_or_b32_e32 v118, 0x7b, v30
; %bb.4935:                             ;   in Loop: Header=BB2_4220 Depth=2
	s_or_b32 exec_lo, exec_lo, s7
                                        ; implicit-def: $vgpr84
                                        ; implicit-def: $vgpr82_vgpr83
                                        ; implicit-def: $vgpr30
.LBB2_4936:                             ;   in Loop: Header=BB2_4220 Depth=2
	s_and_not1_saveexec_b32 s7, s28
	s_cbranch_execz .LBB2_4942
; %bb.4937:                             ;   in Loop: Header=BB2_4220 Depth=2
	s_mov_b32 s28, exec_lo
                                        ; implicit-def: $vgpr118
	v_cmpx_ne_u64_e32 0, v[82:83]
	s_xor_b32 s28, exec_lo, s28
; %bb.4938:                             ;   in Loop: Header=BB2_4220 Depth=2
	v_or_b32_e32 v118, 0x7f, v30
                                        ; implicit-def: $vgpr84
; %bb.4939:                             ;   in Loop: Header=BB2_4220 Depth=2
	s_and_not1_saveexec_b32 s28, s28
; %bb.4940:                             ;   in Loop: Header=BB2_4220 Depth=2
	v_cmp_lt_i32_e32 vcc_lo, -1, v84
	v_cndmask_b32_e32 v118, 0xfc, v46, vcc_lo
; %bb.4941:                             ;   in Loop: Header=BB2_4220 Depth=2
	s_or_b32 exec_lo, exec_lo, s28
.LBB2_4942:                             ;   in Loop: Header=BB2_4220 Depth=2
	s_delay_alu instid0(SALU_CYCLE_1)
	s_or_b32 exec_lo, exec_lo, s7
	v_mov_b32_e32 v82, 0
	s_mov_b32 s7, exec_lo
	v_cmpx_lt_u32_e32 0xffffff, v32
	s_cbranch_execz .LBB2_4952
; %bb.4943:                             ;   in Loop: Header=BB2_4220 Depth=2
	v_lshrrev_b32_e32 v30, 24, v32
	v_bfrev_b32_e32 v82, 1
	s_mov_b32 s28, exec_lo
	s_delay_alu instid0(VALU_DEP_2)
	v_cmpx_ne_u32_e32 0x80, v30
	s_cbranch_execz .LBB2_4951
; %bb.4944:                             ;   in Loop: Header=BB2_4220 Depth=2
	v_and_b32_e32 v82, 0x7c000000, v32
	v_bfe_u32 v83, v32, 24, 2
	s_delay_alu instid0(VALU_DEP_2) | instskip(SKIP_1) | instid1(SALU_CYCLE_1)
	v_cmp_ne_u32_e32 vcc_lo, 0x7c000000, v82
                                        ; implicit-def: $vgpr82
	s_and_saveexec_b32 s29, vcc_lo
	s_xor_b32 s29, exec_lo, s29
	s_cbranch_execz .LBB2_4948
; %bb.4945:                             ;   in Loop: Header=BB2_4220 Depth=2
	v_bfe_u32 v82, v32, 26, 5
	s_mov_b32 s40, exec_lo
	s_delay_alu instid0(VALU_DEP_1)
	v_cmpx_eq_u32_e32 0, v82
; %bb.4946:                             ;   in Loop: Header=BB2_4220 Depth=2
	v_clz_i32_u32_e32 v82, v83
	s_delay_alu instid0(VALU_DEP_1) | instskip(NEXT) | instid1(VALU_DEP_1)
	v_min_u32_e32 v82, 32, v82
	v_subrev_nc_u32_e32 v83, 29, v82
	s_delay_alu instid0(VALU_DEP_1) | instskip(NEXT) | instid1(VALU_DEP_1)
	v_lshlrev_b64_e32 v[84:85], v83, v[30:31]
	v_dual_sub_nc_u32 v82, 30, v82 :: v_dual_bitop2_b32 v83, 3, v84 bitop3:0x40
; %bb.4947:                             ;   in Loop: Header=BB2_4220 Depth=2
	s_or_b32 exec_lo, exec_lo, s40
	v_and_b32_e32 v30, 0x80000000, v32
	s_delay_alu instid0(VALU_DEP_1) | instskip(NEXT) | instid1(VALU_DEP_1)
	v_lshl_add_u32 v30, v82, 23, v30
	v_lshl_or_b32 v30, v83, 21, v30
                                        ; implicit-def: $vgpr83
	s_delay_alu instid0(VALU_DEP_1)
	v_add_nc_u32_e32 v82, 0x38000000, v30
.LBB2_4948:                             ;   in Loop: Header=BB2_4220 Depth=2
	s_and_not1_saveexec_b32 s29, s29
; %bb.4949:                             ;   in Loop: Header=BB2_4220 Depth=2
	v_cmp_lt_i32_e32 vcc_lo, -1, v32
	v_cndmask_b32_e32 v30, 0xff800000, v45, vcc_lo
	v_cmp_eq_u32_e32 vcc_lo, 0, v83
	s_delay_alu instid0(VALU_DEP_2)
	v_cndmask_b32_e32 v82, 0x7f800001, v30, vcc_lo
; %bb.4950:                             ;   in Loop: Header=BB2_4220 Depth=2
	s_or_b32 exec_lo, exec_lo, s29
.LBB2_4951:                             ;   in Loop: Header=BB2_4220 Depth=2
	s_delay_alu instid0(SALU_CYCLE_1)
	s_or_b32 exec_lo, exec_lo, s28
.LBB2_4952:                             ;   in Loop: Header=BB2_4220 Depth=2
	s_delay_alu instid0(SALU_CYCLE_1) | instskip(SKIP_3) | instid1(VALU_DEP_2)
	s_or_b32 exec_lo, exec_lo, s7
	v_bfe_u32 v32, v11, 24, 2
	v_bfe_u32 v40, v11, 26, 5
	s_mov_b32 s7, exec_lo
	v_clz_i32_u32_e32 v30, v32
	s_delay_alu instid0(VALU_DEP_2) | instskip(NEXT) | instid1(VALU_DEP_2)
	v_cmp_eq_u32_e32 vcc_lo, 0, v40
	v_min_u32_e32 v83, 32, v30
	v_lshrrev_b32_e32 v30, 24, v11
	s_delay_alu instid0(VALU_DEP_2) | instskip(NEXT) | instid1(VALU_DEP_1)
	v_subrev_nc_u32_e32 v84, 29, v83
	v_lshlrev_b64_e32 v[84:85], v84, v[30:31]
	v_and_b32_e32 v85, 0x80000000, v11
	s_delay_alu instid0(VALU_DEP_2) | instskip(NEXT) | instid1(VALU_DEP_1)
	v_dual_sub_nc_u32 v83, 30, v83 :: v_dual_bitop2_b32 v84, 3, v84 bitop3:0x40
	v_cndmask_b32_e32 v84, v32, v84, vcc_lo
	s_delay_alu instid0(VALU_DEP_2) | instskip(SKIP_1) | instid1(VALU_DEP_2)
	v_cndmask_b32_e32 v83, v40, v83, vcc_lo
	v_cmp_lt_i64_e32 vcc_lo, -1, v[10:11]
	v_lshl_add_u32 v83, v83, 23, v85
	v_cndmask_b32_e32 v85, 0xff800000, v45, vcc_lo
	v_cmp_eq_u32_e32 vcc_lo, 0, v32
	s_delay_alu instid0(VALU_DEP_3) | instskip(SKIP_1) | instid1(VALU_DEP_4)
	v_lshl_or_b32 v83, v84, 21, v83
	v_and_b32_e32 v84, 0x7c000000, v11
	v_cndmask_b32_e32 v32, 0x7f800001, v85, vcc_lo
	s_delay_alu instid0(VALU_DEP_3) | instskip(NEXT) | instid1(VALU_DEP_3)
	v_add_nc_u32_e32 v83, 0x38000000, v83
	v_cmp_eq_u32_e32 vcc_lo, 0x7c000000, v84
	s_delay_alu instid0(VALU_DEP_2) | instskip(SKIP_1) | instid1(VALU_DEP_2)
	v_cndmask_b32_e32 v32, v83, v32, vcc_lo
	v_cmp_ne_u32_e32 vcc_lo, 0x80, v30
	v_dual_mov_b32 v83, v33 :: v_dual_cndmask_b32 v30, 0x80000000, v32
	v_cmp_lt_u64_e32 vcc_lo, s[12:13], v[10:11]
	s_delay_alu instid0(VALU_DEP_2) | instskip(NEXT) | instid1(VALU_DEP_1)
	v_cndmask_b32_e32 v10, 0, v30, vcc_lo
                                        ; implicit-def: $vgpr30
	v_add_f32_e32 v10, v10, v82
	s_delay_alu instid0(VALU_DEP_1) | instskip(SKIP_2) | instid1(VALU_DEP_3)
	v_and_b32_e32 v82, 0x7f800000, v10
	v_and_b32_e32 v32, 0x7fffff, v10
	v_lshrrev_b32_e32 v11, 24, v10
	v_cmpx_ne_u64_e32 0x7f800000, v[82:83]
	s_xor_b32 s28, exec_lo, s7
	s_cbranch_execz .LBB2_4966
; %bb.4953:                             ;   in Loop: Header=BB2_4220 Depth=2
	v_and_b32_e32 v82, 0x7fffffff, v10
	v_mov_b32_e32 v83, v33
	v_and_b32_e32 v84, 0x80, v11
                                        ; implicit-def: $vgpr30
	s_mov_b32 s7, exec_lo
	s_delay_alu instid0(VALU_DEP_2)
	v_cmpx_gt_u64_e32 0x47600001, v[82:83]
	s_xor_b32 s29, exec_lo, s7
	s_cbranch_execz .LBB2_4963
; %bb.4954:                             ;   in Loop: Header=BB2_4220 Depth=2
	v_mov_b32_e32 v30, 0
	s_mov_b32 s40, exec_lo
	v_cmpx_ne_u32_e32 0, v10
	s_cbranch_execz .LBB2_4962
; %bb.4955:                             ;   in Loop: Header=BB2_4220 Depth=2
	v_bfe_u32 v30, v10, 23, 8
	v_or_b32_e32 v82, 0x800000, v32
	s_delay_alu instid0(VALU_DEP_2) | instskip(SKIP_1) | instid1(VALU_DEP_2)
	v_sub_nc_u32_e32 v10, 0x71, v30
	v_cmp_gt_u32_e32 vcc_lo, 0x72, v30
	v_cndmask_b32_e32 v10, 0, v10, vcc_lo
	v_cmp_eq_u32_e32 vcc_lo, 0, v30
	s_delay_alu instid0(VALU_DEP_2) | instskip(NEXT) | instid1(VALU_DEP_1)
	v_cndmask_b32_e64 v85, v10, 0x70, vcc_lo
	v_dual_cndmask_b32 v32, v82, v32, vcc_lo :: v_dual_add_nc_u32 v10, 21, v85
	v_add_nc_u32_e32 v83, 20, v85
	s_delay_alu instid0(VALU_DEP_2) | instskip(NEXT) | instid1(VALU_DEP_2)
	v_lshlrev_b64_e64 v[10:11], v10, -1
	v_lshlrev_b64_e64 v[82:83], v83, 1
	s_delay_alu instid0(VALU_DEP_2) | instskip(NEXT) | instid1(VALU_DEP_3)
	v_bfi_b32 v41, v11, 0, 0
	v_bfi_b32 v40, v10, 0, v32
	v_lshrrev_b64 v[10:11], v85, v[32:33]
	s_delay_alu instid0(VALU_DEP_2) | instskip(NEXT) | instid1(VALU_DEP_2)
	v_cmp_eq_u64_e64 s7, v[40:41], v[82:83]
	v_mov_b64_e32 v[82:83], v[10:11]
	s_and_saveexec_b32 s41, s7
; %bb.4956:                             ;   in Loop: Header=BB2_4220 Depth=2
	v_bfe_u32 v32, v10, 21, 1
	s_delay_alu instid0(VALU_DEP_1) | instskip(NEXT) | instid1(VALU_DEP_1)
	v_add_nc_u64_e32 v[82:83], v[10:11], v[32:33]
	v_add_nc_u64_e32 v[82:83], -1, v[82:83]
; %bb.4957:                             ;   in Loop: Header=BB2_4220 Depth=2
	s_or_b32 exec_lo, exec_lo, s41
	v_add_nc_u32_e32 v11, 0xffffff81, v30
	v_lshrrev_b32_e32 v30, 23, v10
	s_mov_b32 s7, exec_lo
	s_delay_alu instid0(VALU_DEP_2) | instskip(NEXT) | instid1(VALU_DEP_1)
	v_cndmask_b32_e64 v11, v11, 0xffffff82, vcc_lo
	v_add3_u32 v83, v85, v11, v30
	v_and_b32_e32 v11, 0x1fffff, v82
                                        ; implicit-def: $vgpr30
	s_delay_alu instid0(VALU_DEP_1) | instskip(NEXT) | instid1(VALU_DEP_1)
	v_dual_add_nc_u32 v82, 14, v83 :: v_dual_add_nc_u32 v32, v11, v10
                                        ; implicit-def: $vgpr10_vgpr11
	v_cmpx_ne_u32_e32 0, v82
	s_xor_b32 s7, exec_lo, s7
; %bb.4958:                             ;   in Loop: Header=BB2_4220 Depth=2
	s_delay_alu instid0(VALU_DEP_2) | instskip(SKIP_1) | instid1(VALU_DEP_1)
	v_cmp_lt_u64_e32 vcc_lo, 0xffffff, v[32:33]
	v_add_nc_u32_e32 v10, 15, v83
	v_cndmask_b32_e32 v30, v82, v10, vcc_lo
	v_cndmask_b32_e64 v10, 0, 1, vcc_lo
	s_delay_alu instid0(VALU_DEP_1)
	v_lshrrev_b64 v[10:11], v10, v[32:33]
; %bb.4959:                             ;   in Loop: Header=BB2_4220 Depth=2
	s_and_not1_saveexec_b32 s7, s7
; %bb.4960:                             ;   in Loop: Header=BB2_4220 Depth=2
	v_mov_b64_e32 v[10:11], v[32:33]
	v_bfe_u32 v30, v32, 23, 1
; %bb.4961:                             ;   in Loop: Header=BB2_4220 Depth=2
	s_or_b32 exec_lo, exec_lo, s7
	s_delay_alu instid0(VALU_DEP_2) | instskip(NEXT) | instid1(VALU_DEP_2)
	v_lshrrev_b64 v[10:11], 21, v[10:11]
	v_cmp_gt_i32_e32 vcc_lo, 32, v30
	v_min_i32_e32 v32, 31, v30
	v_cmp_eq_u32_e64 s7, 0, v30
	s_delay_alu instid0(VALU_DEP_2) | instskip(SKIP_1) | instid1(VALU_DEP_2)
	v_dual_cndmask_b32 v11, 0, v11 :: v_dual_lshlrev_b32 v32, 2, v32
	v_cndmask_b32_e32 v10, 3, v10, vcc_lo
	v_and_b32_e32 v32, 0xfc, v32
	s_delay_alu instid0(VALU_DEP_2) | instskip(NEXT) | instid1(VALU_DEP_2)
	v_cmp_eq_u64_e32 vcc_lo, 0, v[10:11]
	v_and_or_b32 v10, v10, 3, v32
	s_and_b32 s7, s7, vcc_lo
	s_delay_alu instid0(VALU_DEP_1) | instid1(SALU_CYCLE_1)
	v_cndmask_b32_e64 v10, v10, 0, s7
	s_delay_alu instid0(VALU_DEP_1)
	v_or_b32_e32 v30, v10, v84
.LBB2_4962:                             ;   in Loop: Header=BB2_4220 Depth=2
	s_or_b32 exec_lo, exec_lo, s40
                                        ; implicit-def: $vgpr84
.LBB2_4963:                             ;   in Loop: Header=BB2_4220 Depth=2
	s_and_not1_saveexec_b32 s7, s29
; %bb.4964:                             ;   in Loop: Header=BB2_4220 Depth=2
	v_or_b32_e32 v30, 0x7b, v84
; %bb.4965:                             ;   in Loop: Header=BB2_4220 Depth=2
	s_or_b32 exec_lo, exec_lo, s7
                                        ; implicit-def: $vgpr10
                                        ; implicit-def: $vgpr11
.LBB2_4966:                             ;   in Loop: Header=BB2_4220 Depth=2
	s_and_not1_saveexec_b32 s7, s28
	s_cbranch_execz .LBB2_4972
; %bb.4967:                             ;   in Loop: Header=BB2_4220 Depth=2
	s_mov_b32 s28, exec_lo
                                        ; implicit-def: $vgpr30
	v_cmpx_ne_u64_e32 0, v[32:33]
	s_xor_b32 s28, exec_lo, s28
; %bb.4968:                             ;   in Loop: Header=BB2_4220 Depth=2
	v_or_b32_e32 v30, 0x7f, v11
                                        ; implicit-def: $vgpr10
; %bb.4969:                             ;   in Loop: Header=BB2_4220 Depth=2
	s_and_not1_saveexec_b32 s28, s28
; %bb.4970:                             ;   in Loop: Header=BB2_4220 Depth=2
	v_cmp_lt_i32_e32 vcc_lo, -1, v10
	v_cndmask_b32_e32 v30, 0xfc, v46, vcc_lo
; %bb.4971:                             ;   in Loop: Header=BB2_4220 Depth=2
	s_or_b32 exec_lo, exec_lo, s28
.LBB2_4972:                             ;   in Loop: Header=BB2_4220 Depth=2
	s_delay_alu instid0(SALU_CYCLE_1) | instskip(SKIP_3) | instid1(VALU_DEP_1)
	s_or_b32 exec_lo, exec_lo, s7
	v_lshl_or_b32 v84, v114, 8, v102
	v_dual_lshlrev_b32 v10, 16, v117 :: v_dual_lshlrev_b32 v11, 24, v119
	s_mov_b32 s7, exec_lo
	v_or3_b32 v32, v10, v11, v84
	v_mov_b32_e32 v10, 0
	v_cmpx_ne_u32_e32 0, v102
	s_cbranch_execz .LBB2_4982
; %bb.4973:                             ;   in Loop: Header=BB2_4220 Depth=2
	v_bfrev_b32_e32 v10, 1
	s_mov_b32 s28, exec_lo
	v_cmpx_ne_u32_e32 0x80, v102
	s_cbranch_execz .LBB2_4981
; %bb.4974:                             ;   in Loop: Header=BB2_4220 Depth=2
	v_and_b32_e32 v10, 0x7c, v102
	v_and_b32_e32 v11, 3, v102
	s_delay_alu instid0(VALU_DEP_2) | instskip(SKIP_1) | instid1(SALU_CYCLE_1)
	v_cmp_ne_u32_e32 vcc_lo, 0x7c, v10
                                        ; implicit-def: $vgpr10
	s_and_saveexec_b32 s29, vcc_lo
	s_xor_b32 s29, exec_lo, s29
	s_cbranch_execz .LBB2_4978
; %bb.4975:                             ;   in Loop: Header=BB2_4220 Depth=2
	v_bfe_u32 v10, v102, 2, 5
	s_mov_b32 s40, exec_lo
	s_delay_alu instid0(VALU_DEP_1)
	v_cmpx_eq_u32_e32 0, v10
; %bb.4976:                             ;   in Loop: Header=BB2_4220 Depth=2
	v_clz_i32_u32_e32 v10, v11
	s_delay_alu instid0(VALU_DEP_1) | instskip(NEXT) | instid1(VALU_DEP_1)
	v_min_u32_e32 v10, 32, v10
	v_subrev_nc_u32_e32 v11, 29, v10
	v_sub_nc_u32_e32 v10, 30, v10
	s_delay_alu instid0(VALU_DEP_2) | instskip(NEXT) | instid1(VALU_DEP_1)
	v_lshlrev_b64_e32 v[82:83], v11, v[32:33]
	v_and_b32_e32 v11, 3, v82
; %bb.4977:                             ;   in Loop: Header=BB2_4220 Depth=2
	s_or_b32 exec_lo, exec_lo, s40
	v_lshlrev_b32_e32 v82, 24, v102
                                        ; implicit-def: $vgpr102
	s_delay_alu instid0(VALU_DEP_1) | instskip(NEXT) | instid1(VALU_DEP_1)
	v_and_b32_e32 v82, 0x80000000, v82
	v_lshl_add_u32 v10, v10, 23, v82
	s_delay_alu instid0(VALU_DEP_1) | instskip(NEXT) | instid1(VALU_DEP_1)
	v_lshl_or_b32 v10, v11, 21, v10
                                        ; implicit-def: $vgpr11
	v_add_nc_u32_e32 v10, 0x38000000, v10
.LBB2_4978:                             ;   in Loop: Header=BB2_4220 Depth=2
	s_and_not1_saveexec_b32 s29, s29
; %bb.4979:                             ;   in Loop: Header=BB2_4220 Depth=2
	v_and_b32_e32 v10, 0x80, v102
	s_delay_alu instid0(VALU_DEP_1) | instskip(SKIP_2) | instid1(VALU_DEP_2)
	v_cmp_eq_u32_e32 vcc_lo, 0, v10
	v_cndmask_b32_e32 v10, 0xff800000, v45, vcc_lo
	v_cmp_eq_u32_e32 vcc_lo, 0, v11
	v_cndmask_b32_e32 v10, 0x7f800001, v10, vcc_lo
; %bb.4980:                             ;   in Loop: Header=BB2_4220 Depth=2
	s_or_b32 exec_lo, exec_lo, s29
.LBB2_4981:                             ;   in Loop: Header=BB2_4220 Depth=2
	s_delay_alu instid0(SALU_CYCLE_1)
	s_or_b32 exec_lo, exec_lo, s28
.LBB2_4982:                             ;   in Loop: Header=BB2_4220 Depth=2
	s_delay_alu instid0(SALU_CYCLE_1) | instskip(SKIP_3) | instid1(VALU_DEP_1)
	s_or_b32 exec_lo, exec_lo, s7
	v_and_b32_e32 v82, 0xff, v12
	s_mov_b32 s28, 0
	s_mov_b32 s7, exec_lo
	v_cmpx_lt_i16_e32 0x7f, v82
	s_xor_b32 s7, exec_lo, s7
	s_cbranch_execnz .LBB2_5259
; %bb.4983:                             ;   in Loop: Header=BB2_4220 Depth=2
	s_or_saveexec_b32 s7, s7
	v_bfrev_b32_e32 v11, 1
	s_xor_b32 exec_lo, exec_lo, s7
	s_cbranch_execnz .LBB2_5262
.LBB2_4984:                             ;   in Loop: Header=BB2_4220 Depth=2
	s_or_b32 exec_lo, exec_lo, s7
	s_and_saveexec_b32 s7, s28
	s_cbranch_execz .LBB2_4986
.LBB2_4985:                             ;   in Loop: Header=BB2_4220 Depth=2
	v_and_b32_e32 v11, 3, v12
	v_bfe_u32 v102, v12, 2, 5
	s_delay_alu instid0(VALU_DEP_2) | instskip(NEXT) | instid1(VALU_DEP_2)
	v_clz_i32_u32_e32 v82, v11
	v_cmp_eq_u32_e32 vcc_lo, 0, v102
	s_delay_alu instid0(VALU_DEP_2) | instskip(NEXT) | instid1(VALU_DEP_1)
	v_min_u32_e32 v85, 32, v82
	v_subrev_nc_u32_e32 v82, 29, v85
	s_delay_alu instid0(VALU_DEP_1) | instskip(SKIP_1) | instid1(VALU_DEP_1)
	v_lshlrev_b64_e32 v[82:83], v82, v[12:13]
	v_dual_lshlrev_b32 v83, 24, v12 :: v_dual_sub_nc_u32 v85, 30, v85
	v_and_b32_e32 v83, 0x80000000, v83
	s_delay_alu instid0(VALU_DEP_2) | instskip(SKIP_1) | instid1(VALU_DEP_2)
	v_dual_cndmask_b32 v85, v102, v85, vcc_lo :: v_dual_bitop2_b32 v82, 3, v82 bitop3:0x40
	v_bfe_i32 v102, v12, 0, 8
	v_cndmask_b32_e32 v82, v11, v82, vcc_lo
	s_delay_alu instid0(VALU_DEP_3) | instskip(NEXT) | instid1(VALU_DEP_3)
	v_lshl_add_u32 v83, v85, 23, v83
	v_cmp_lt_i16_e32 vcc_lo, -1, v102
	s_delay_alu instid0(VALU_DEP_2) | instskip(SKIP_3) | instid1(VALU_DEP_4)
	v_lshl_or_b32 v82, v82, 21, v83
	v_cndmask_b32_e32 v85, 0xff800000, v45, vcc_lo
	v_and_b32_e32 v83, 0x7c, v12
	v_cmp_eq_u32_e32 vcc_lo, 0, v11
	v_add_nc_u32_e32 v82, 0x38000000, v82
	s_delay_alu instid0(VALU_DEP_4) | instskip(NEXT) | instid1(VALU_DEP_4)
	v_cndmask_b32_e32 v11, 0x7f800001, v85, vcc_lo
	v_cmp_eq_u32_e32 vcc_lo, 0x7c, v83
	s_delay_alu instid0(VALU_DEP_2)
	v_cndmask_b32_e32 v11, v82, v11, vcc_lo
.LBB2_4986:                             ;   in Loop: Header=BB2_4220 Depth=2
	s_or_b32 exec_lo, exec_lo, s7
	s_delay_alu instid0(VALU_DEP_1) | instskip(SKIP_2) | instid1(VALU_DEP_2)
	v_dual_add_f32 v82, v10, v11 :: v_dual_mov_b32 v41, v33
	v_mov_b32_e32 v11, v33
                                        ; implicit-def: $vgpr102
	s_mov_b32 s7, exec_lo
	v_and_b32_e32 v40, 0x7f800000, v82
	v_and_b32_e32 v10, 0x7fffff, v82
	v_lshrrev_b32_e32 v83, 24, v82
	s_delay_alu instid0(VALU_DEP_3)
	v_cmpx_ne_u64_e32 0x7f800000, v[40:41]
	s_xor_b32 s28, exec_lo, s7
	s_cbranch_execz .LBB2_5000
; %bb.4987:                             ;   in Loop: Header=BB2_4220 Depth=2
	v_and_b32_e32 v40, 0x7fffffff, v82
	v_mov_b32_e32 v41, v33
	v_and_b32_e32 v85, 0x80, v83
                                        ; implicit-def: $vgpr102
	s_mov_b32 s7, exec_lo
	s_delay_alu instid0(VALU_DEP_2)
	v_cmpx_gt_u64_e32 0x47600001, v[40:41]
	s_xor_b32 s29, exec_lo, s7
	s_cbranch_execz .LBB2_4997
; %bb.4988:                             ;   in Loop: Header=BB2_4220 Depth=2
	v_mov_b32_e32 v102, 0
	s_mov_b32 s40, exec_lo
	v_cmpx_ne_u32_e32 0, v82
	s_cbranch_execz .LBB2_4996
; %bb.4989:                             ;   in Loop: Header=BB2_4220 Depth=2
	v_bfe_u32 v102, v82, 23, 8
	v_or_b32_e32 v117, 0x800000, v10
	s_delay_alu instid0(VALU_DEP_2) | instskip(SKIP_1) | instid1(VALU_DEP_2)
	v_sub_nc_u32_e32 v82, 0x71, v102
	v_cmp_gt_u32_e32 vcc_lo, 0x72, v102
	v_cndmask_b32_e32 v82, 0, v82, vcc_lo
	v_cmp_eq_u32_e32 vcc_lo, 0, v102
	s_delay_alu instid0(VALU_DEP_2) | instskip(SKIP_1) | instid1(VALU_DEP_2)
	v_cndmask_b32_e64 v114, v82, 0x70, vcc_lo
	v_cndmask_b32_e32 v10, v117, v10, vcc_lo
	v_dual_add_nc_u32 v82, 21, v114 :: v_dual_add_nc_u32 v119, 20, v114
	s_delay_alu instid0(VALU_DEP_1) | instskip(NEXT) | instid1(VALU_DEP_2)
	v_lshlrev_b64_e64 v[82:83], v82, -1
	v_lshlrev_b64_e64 v[40:41], v119, 1
	s_delay_alu instid0(VALU_DEP_2) | instskip(SKIP_1) | instid1(VALU_DEP_4)
	v_bfi_b32 v82, v82, 0, v10
	v_lshrrev_b64 v[10:11], v114, v[10:11]
	v_bfi_b32 v83, v83, 0, 0
	s_delay_alu instid0(VALU_DEP_1) | instskip(NEXT) | instid1(VALU_DEP_3)
	v_cmp_eq_u64_e64 s7, v[82:83], v[40:41]
	v_mov_b64_e32 v[82:83], v[10:11]
	s_and_saveexec_b32 s41, s7
; %bb.4990:                             ;   in Loop: Header=BB2_4220 Depth=2
	v_bfe_u32 v82, v10, 21, 1
	v_mov_b32_e32 v83, v33
	s_delay_alu instid0(VALU_DEP_1) | instskip(NEXT) | instid1(VALU_DEP_1)
	v_add_nc_u64_e32 v[82:83], v[10:11], v[82:83]
	v_add_nc_u64_e32 v[82:83], -1, v[82:83]
; %bb.4991:                             ;   in Loop: Header=BB2_4220 Depth=2
	s_or_b32 exec_lo, exec_lo, s41
	v_add_nc_u32_e32 v11, 0xffffff81, v102
	v_lshrrev_b32_e32 v83, 23, v10
	s_mov_b32 s7, exec_lo
	s_delay_alu instid0(VALU_DEP_2) | instskip(NEXT) | instid1(VALU_DEP_1)
	v_cndmask_b32_e64 v11, v11, 0xffffff82, vcc_lo
	v_add3_u32 v83, v114, v11, v83
	v_and_b32_e32 v11, 0x1fffff, v82
                                        ; implicit-def: $vgpr82
	s_delay_alu instid0(VALU_DEP_1) | instskip(SKIP_1) | instid1(VALU_DEP_2)
	v_dual_add_nc_u32 v102, 14, v83 :: v_dual_add_nc_u32 v10, v11, v10
	v_mov_b32_e32 v11, v33
	v_cmpx_ne_u32_e32 0, v102
	s_xor_b32 s7, exec_lo, s7
; %bb.4992:                             ;   in Loop: Header=BB2_4220 Depth=2
	s_delay_alu instid0(VALU_DEP_2) | instskip(SKIP_2) | instid1(VALU_DEP_2)
	v_cmp_lt_u64_e32 vcc_lo, 0xffffff, v[10:11]
	v_add_nc_u32_e32 v82, 15, v83
	v_cndmask_b32_e64 v83, 0, 1, vcc_lo
	v_cndmask_b32_e32 v82, v102, v82, vcc_lo
	s_delay_alu instid0(VALU_DEP_2)
	v_lshrrev_b64 v[10:11], v83, v[10:11]
; %bb.4993:                             ;   in Loop: Header=BB2_4220 Depth=2
	s_and_not1_saveexec_b32 s7, s7
; %bb.4994:                             ;   in Loop: Header=BB2_4220 Depth=2
	s_delay_alu instid0(VALU_DEP_1)
	v_bfe_u32 v82, v10, 23, 1
; %bb.4995:                             ;   in Loop: Header=BB2_4220 Depth=2
	s_or_b32 exec_lo, exec_lo, s7
	s_delay_alu instid0(VALU_DEP_2) | instskip(NEXT) | instid1(VALU_DEP_2)
	v_lshrrev_b64 v[10:11], 21, v[10:11]
	v_cmp_gt_i32_e32 vcc_lo, 32, v82
	v_min_i32_e32 v83, 31, v82
	v_cmp_eq_u32_e64 s7, 0, v82
	s_delay_alu instid0(VALU_DEP_4) | instskip(NEXT) | instid1(VALU_DEP_3)
	v_cndmask_b32_e32 v11, 0, v11, vcc_lo
	v_dual_cndmask_b32 v10, 3, v10 :: v_dual_lshlrev_b32 v83, 2, v83
	s_delay_alu instid0(VALU_DEP_1) | instskip(NEXT) | instid1(VALU_DEP_2)
	v_and_b32_e32 v83, 0xfc, v83
	v_cmp_eq_u64_e32 vcc_lo, 0, v[10:11]
	s_delay_alu instid0(VALU_DEP_2)
	v_and_or_b32 v10, v10, 3, v83
	s_and_b32 s7, s7, vcc_lo
	s_delay_alu instid0(VALU_DEP_1) | instid1(SALU_CYCLE_1)
	v_cndmask_b32_e64 v10, v10, 0, s7
	s_delay_alu instid0(VALU_DEP_1)
	v_or_b32_e32 v102, v10, v85
.LBB2_4996:                             ;   in Loop: Header=BB2_4220 Depth=2
	s_or_b32 exec_lo, exec_lo, s40
                                        ; implicit-def: $vgpr85
.LBB2_4997:                             ;   in Loop: Header=BB2_4220 Depth=2
	s_and_not1_saveexec_b32 s7, s29
; %bb.4998:                             ;   in Loop: Header=BB2_4220 Depth=2
	v_or_b32_e32 v102, 0x7b, v85
; %bb.4999:                             ;   in Loop: Header=BB2_4220 Depth=2
	s_or_b32 exec_lo, exec_lo, s7
                                        ; implicit-def: $vgpr82
                                        ; implicit-def: $vgpr10_vgpr11
                                        ; implicit-def: $vgpr83
.LBB2_5000:                             ;   in Loop: Header=BB2_4220 Depth=2
	s_and_not1_saveexec_b32 s7, s28
	s_cbranch_execz .LBB2_5006
; %bb.5001:                             ;   in Loop: Header=BB2_4220 Depth=2
	s_mov_b32 s28, exec_lo
                                        ; implicit-def: $vgpr102
	v_cmpx_ne_u64_e32 0, v[10:11]
	s_xor_b32 s28, exec_lo, s28
; %bb.5002:                             ;   in Loop: Header=BB2_4220 Depth=2
	v_or_b32_e32 v102, 0x7f, v83
                                        ; implicit-def: $vgpr82
; %bb.5003:                             ;   in Loop: Header=BB2_4220 Depth=2
	s_and_not1_saveexec_b32 s28, s28
; %bb.5004:                             ;   in Loop: Header=BB2_4220 Depth=2
	v_cmp_lt_i32_e32 vcc_lo, -1, v82
	v_cndmask_b32_e32 v102, 0xfc, v46, vcc_lo
; %bb.5005:                             ;   in Loop: Header=BB2_4220 Depth=2
	s_or_b32 exec_lo, exec_lo, s28
.LBB2_5006:                             ;   in Loop: Header=BB2_4220 Depth=2
	s_delay_alu instid0(SALU_CYCLE_1) | instskip(SKIP_3) | instid1(VALU_DEP_2)
	s_or_b32 exec_lo, exec_lo, s7
	v_lshrrev_b16 v10, 8, v84
	v_mov_b32_e32 v82, 0
	s_mov_b32 s7, exec_lo
	v_cmpx_ne_u16_e32 0, v10
	s_cbranch_execz .LBB2_5016
; %bb.5007:                             ;   in Loop: Header=BB2_4220 Depth=2
	v_bfrev_b32_e32 v82, 1
	s_mov_b32 s28, exec_lo
	v_cmpx_ne_u16_e32 0x80, v10
	s_cbranch_execz .LBB2_5015
; %bb.5008:                             ;   in Loop: Header=BB2_4220 Depth=2
	v_and_b32_e32 v83, 0xffff, v10
	s_delay_alu instid0(VALU_DEP_1) | instskip(SKIP_1) | instid1(VALU_DEP_2)
	v_and_b32_e32 v82, 0x7c, v83
	v_and_b32_e32 v11, 3, v83
	v_cmp_ne_u32_e32 vcc_lo, 0x7c, v82
                                        ; implicit-def: $vgpr82
	s_and_saveexec_b32 s29, vcc_lo
	s_delay_alu instid0(SALU_CYCLE_1)
	s_xor_b32 s29, exec_lo, s29
	s_cbranch_execz .LBB2_5012
; %bb.5009:                             ;   in Loop: Header=BB2_4220 Depth=2
	v_bfe_u32 v82, v83, 2, 5
	s_mov_b32 s40, exec_lo
	s_delay_alu instid0(VALU_DEP_1)
	v_cmpx_eq_u32_e32 0, v82
	s_cbranch_execz .LBB2_5011
; %bb.5010:                             ;   in Loop: Header=BB2_4220 Depth=2
	v_clz_i32_u32_e32 v11, v11
	s_delay_alu instid0(VALU_DEP_1) | instskip(SKIP_1) | instid1(VALU_DEP_2)
	v_min_u32_e32 v82, 32, v11
	v_mov_b32_e32 v11, v33
	v_subrev_nc_u32_e32 v83, 29, v82
	v_sub_nc_u32_e32 v82, 30, v82
	s_delay_alu instid0(VALU_DEP_2) | instskip(NEXT) | instid1(VALU_DEP_1)
	v_lshlrev_b64_e32 v[10:11], v83, v[10:11]
	v_and_b32_e32 v11, 3, v10
.LBB2_5011:                             ;   in Loop: Header=BB2_4220 Depth=2
	s_or_b32 exec_lo, exec_lo, s40
	v_lshlrev_b32_e32 v10, 16, v84
                                        ; implicit-def: $vgpr84
	s_delay_alu instid0(VALU_DEP_1) | instskip(NEXT) | instid1(VALU_DEP_1)
	v_and_b32_e32 v10, 0x80000000, v10
	v_lshl_add_u32 v10, v82, 23, v10
	s_delay_alu instid0(VALU_DEP_1) | instskip(NEXT) | instid1(VALU_DEP_1)
	v_lshl_or_b32 v10, v11, 21, v10
                                        ; implicit-def: $vgpr11
	v_add_nc_u32_e32 v82, 0x38000000, v10
.LBB2_5012:                             ;   in Loop: Header=BB2_4220 Depth=2
	s_and_not1_saveexec_b32 s29, s29
; %bb.5013:                             ;   in Loop: Header=BB2_4220 Depth=2
	v_cmp_lt_i16_e32 vcc_lo, -1, v84
	v_cndmask_b32_e32 v10, 0xff800000, v45, vcc_lo
	v_cmp_eq_u32_e32 vcc_lo, 0, v11
	s_delay_alu instid0(VALU_DEP_2)
	v_cndmask_b32_e32 v82, 0x7f800001, v10, vcc_lo
; %bb.5014:                             ;   in Loop: Header=BB2_4220 Depth=2
	s_or_b32 exec_lo, exec_lo, s29
.LBB2_5015:                             ;   in Loop: Header=BB2_4220 Depth=2
	s_delay_alu instid0(SALU_CYCLE_1)
	s_or_b32 exec_lo, exec_lo, s28
.LBB2_5016:                             ;   in Loop: Header=BB2_4220 Depth=2
	s_delay_alu instid0(SALU_CYCLE_1) | instskip(SKIP_3) | instid1(VALU_DEP_1)
	s_or_b32 exec_lo, exec_lo, s7
	v_lshrrev_b16 v10, 8, v12
	s_mov_b32 s28, 0
	s_mov_b32 s7, exec_lo
	v_cmpx_lt_i16_e32 0x7f, v10
	s_xor_b32 s7, exec_lo, s7
	s_cbranch_execnz .LBB2_5263
; %bb.5017:                             ;   in Loop: Header=BB2_4220 Depth=2
	s_or_saveexec_b32 s7, s7
	v_bfrev_b32_e32 v11, 1
	s_xor_b32 exec_lo, exec_lo, s7
	s_cbranch_execnz .LBB2_5266
.LBB2_5018:                             ;   in Loop: Header=BB2_4220 Depth=2
	s_or_b32 exec_lo, exec_lo, s7
	s_and_saveexec_b32 s7, s28
	s_cbranch_execz .LBB2_5020
.LBB2_5019:                             ;   in Loop: Header=BB2_4220 Depth=2
	v_and_b32_e32 v83, 0xffff, v10
	s_delay_alu instid0(VALU_DEP_1) | instskip(NEXT) | instid1(VALU_DEP_1)
	v_and_b32_e32 v114, 3, v83
	v_clz_i32_u32_e32 v11, v114
	s_delay_alu instid0(VALU_DEP_1) | instskip(SKIP_1) | instid1(VALU_DEP_2)
	v_min_u32_e32 v117, 32, v11
	v_mov_b32_e32 v11, v33
	v_subrev_nc_u32_e32 v84, 29, v117
	s_delay_alu instid0(VALU_DEP_1) | instskip(SKIP_3) | instid1(VALU_DEP_3)
	v_lshlrev_b64_e32 v[84:85], v84, v[10:11]
	v_bfe_u32 v11, v83, 2, 5
	v_dual_lshlrev_b32 v10, 24, v10 :: v_dual_sub_nc_u32 v85, 30, v117
	v_and_b32_e32 v83, 0x7c, v83
	v_cmp_eq_u32_e32 vcc_lo, 0, v11
	s_delay_alu instid0(VALU_DEP_3) | instskip(NEXT) | instid1(VALU_DEP_4)
	v_and_b32_e32 v10, 0x80000000, v10
	v_dual_cndmask_b32 v11, v11, v85, vcc_lo :: v_dual_bitop2_b32 v84, 3, v84 bitop3:0x40
	s_delay_alu instid0(VALU_DEP_1) | instskip(SKIP_1) | instid1(VALU_DEP_3)
	v_cndmask_b32_e32 v84, v114, v84, vcc_lo
	v_cmp_lt_i16_e32 vcc_lo, -1, v12
	v_lshl_add_u32 v10, v11, 23, v10
	v_cndmask_b32_e32 v11, 0xff800000, v45, vcc_lo
	v_cmp_eq_u32_e32 vcc_lo, 0, v114
	s_delay_alu instid0(VALU_DEP_3) | instskip(NEXT) | instid1(VALU_DEP_3)
	v_lshl_or_b32 v10, v84, 21, v10
	v_cndmask_b32_e32 v11, 0x7f800001, v11, vcc_lo
	s_delay_alu instid0(VALU_DEP_2) | instskip(SKIP_1) | instid1(VALU_DEP_2)
	v_add_nc_u32_e32 v10, 0x38000000, v10
	v_cmp_eq_u32_e32 vcc_lo, 0x7c, v83
	v_cndmask_b32_e32 v11, v10, v11, vcc_lo
.LBB2_5020:                             ;   in Loop: Header=BB2_4220 Depth=2
	s_or_b32 exec_lo, exec_lo, s7
	s_delay_alu instid0(VALU_DEP_1) | instskip(SKIP_2) | instid1(VALU_DEP_2)
	v_dual_add_f32 v82, v82, v11 :: v_dual_mov_b32 v85, v33
	v_mov_b32_e32 v11, v33
                                        ; implicit-def: $vgpr114
	s_mov_b32 s7, exec_lo
	v_and_b32_e32 v84, 0x7f800000, v82
	v_and_b32_e32 v10, 0x7fffff, v82
	v_lshrrev_b32_e32 v83, 24, v82
	s_delay_alu instid0(VALU_DEP_3)
	v_cmpx_ne_u64_e32 0x7f800000, v[84:85]
	s_xor_b32 s28, exec_lo, s7
	s_cbranch_execz .LBB2_5034
; %bb.5021:                             ;   in Loop: Header=BB2_4220 Depth=2
	v_and_b32_e32 v84, 0x7fffffff, v82
	v_mov_b32_e32 v85, v33
                                        ; implicit-def: $vgpr114
	s_delay_alu instid0(VALU_DEP_1) | instskip(SKIP_2) | instid1(SALU_CYCLE_1)
	v_cmp_gt_u64_e32 vcc_lo, 0x47600001, v[84:85]
	v_and_b32_e32 v84, 0x80, v83
	s_and_saveexec_b32 s7, vcc_lo
	s_xor_b32 s29, exec_lo, s7
	s_cbranch_execz .LBB2_5031
; %bb.5022:                             ;   in Loop: Header=BB2_4220 Depth=2
	v_mov_b32_e32 v114, 0
	s_mov_b32 s40, exec_lo
	v_cmpx_ne_u32_e32 0, v82
	s_cbranch_execz .LBB2_5030
; %bb.5023:                             ;   in Loop: Header=BB2_4220 Depth=2
	v_bfe_u32 v85, v82, 23, 8
	v_or_b32_e32 v117, 0x800000, v10
	s_delay_alu instid0(VALU_DEP_2) | instskip(SKIP_1) | instid1(VALU_DEP_2)
	v_sub_nc_u32_e32 v82, 0x71, v85
	v_cmp_gt_u32_e32 vcc_lo, 0x72, v85
	v_cndmask_b32_e32 v82, 0, v82, vcc_lo
	v_cmp_eq_u32_e32 vcc_lo, 0, v85
	s_delay_alu instid0(VALU_DEP_2) | instskip(SKIP_1) | instid1(VALU_DEP_2)
	v_cndmask_b32_e64 v114, v82, 0x70, vcc_lo
	v_cndmask_b32_e32 v10, v117, v10, vcc_lo
	v_dual_add_nc_u32 v82, 21, v114 :: v_dual_add_nc_u32 v119, 20, v114
	s_delay_alu instid0(VALU_DEP_1) | instskip(NEXT) | instid1(VALU_DEP_2)
	v_lshlrev_b64_e64 v[82:83], v82, -1
	v_lshlrev_b64_e64 v[40:41], v119, 1
	s_delay_alu instid0(VALU_DEP_2) | instskip(SKIP_1) | instid1(VALU_DEP_4)
	v_bfi_b32 v82, v82, 0, v10
	v_lshrrev_b64 v[10:11], v114, v[10:11]
	v_bfi_b32 v83, v83, 0, 0
	s_delay_alu instid0(VALU_DEP_1) | instskip(NEXT) | instid1(VALU_DEP_3)
	v_cmp_eq_u64_e64 s7, v[82:83], v[40:41]
	v_mov_b64_e32 v[82:83], v[10:11]
	s_and_saveexec_b32 s41, s7
; %bb.5024:                             ;   in Loop: Header=BB2_4220 Depth=2
	v_bfe_u32 v82, v10, 21, 1
	v_mov_b32_e32 v83, v33
	s_delay_alu instid0(VALU_DEP_1) | instskip(NEXT) | instid1(VALU_DEP_1)
	v_add_nc_u64_e32 v[82:83], v[10:11], v[82:83]
	v_add_nc_u64_e32 v[82:83], -1, v[82:83]
; %bb.5025:                             ;   in Loop: Header=BB2_4220 Depth=2
	s_or_b32 exec_lo, exec_lo, s41
	v_add_nc_u32_e32 v11, 0xffffff81, v85
	v_lshrrev_b32_e32 v83, 23, v10
	s_mov_b32 s7, exec_lo
	s_delay_alu instid0(VALU_DEP_2) | instskip(NEXT) | instid1(VALU_DEP_1)
	v_cndmask_b32_e64 v11, v11, 0xffffff82, vcc_lo
	v_add3_u32 v83, v114, v11, v83
	v_and_b32_e32 v11, 0x1fffff, v82
                                        ; implicit-def: $vgpr82
	s_delay_alu instid0(VALU_DEP_1) | instskip(SKIP_1) | instid1(VALU_DEP_2)
	v_dual_add_nc_u32 v85, 14, v83 :: v_dual_add_nc_u32 v10, v11, v10
	v_mov_b32_e32 v11, v33
	v_cmpx_ne_u32_e32 0, v85
	s_xor_b32 s7, exec_lo, s7
; %bb.5026:                             ;   in Loop: Header=BB2_4220 Depth=2
	s_delay_alu instid0(VALU_DEP_2) | instskip(SKIP_2) | instid1(VALU_DEP_2)
	v_cmp_lt_u64_e32 vcc_lo, 0xffffff, v[10:11]
	v_add_nc_u32_e32 v82, 15, v83
	v_cndmask_b32_e64 v83, 0, 1, vcc_lo
	v_cndmask_b32_e32 v82, v85, v82, vcc_lo
	s_delay_alu instid0(VALU_DEP_2)
	v_lshrrev_b64 v[10:11], v83, v[10:11]
; %bb.5027:                             ;   in Loop: Header=BB2_4220 Depth=2
	s_and_not1_saveexec_b32 s7, s7
; %bb.5028:                             ;   in Loop: Header=BB2_4220 Depth=2
	s_delay_alu instid0(VALU_DEP_1)
	v_bfe_u32 v82, v10, 23, 1
; %bb.5029:                             ;   in Loop: Header=BB2_4220 Depth=2
	s_or_b32 exec_lo, exec_lo, s7
	s_delay_alu instid0(VALU_DEP_2) | instskip(NEXT) | instid1(VALU_DEP_2)
	v_lshrrev_b64 v[10:11], 21, v[10:11]
	v_cmp_gt_i32_e32 vcc_lo, 32, v82
	v_min_i32_e32 v83, 31, v82
	v_cmp_eq_u32_e64 s7, 0, v82
	s_delay_alu instid0(VALU_DEP_4) | instskip(NEXT) | instid1(VALU_DEP_3)
	v_cndmask_b32_e32 v11, 0, v11, vcc_lo
	v_dual_cndmask_b32 v10, 3, v10 :: v_dual_lshlrev_b32 v83, 2, v83
	s_delay_alu instid0(VALU_DEP_1) | instskip(NEXT) | instid1(VALU_DEP_2)
	v_and_b32_e32 v83, 0xfc, v83
	v_cmp_eq_u64_e32 vcc_lo, 0, v[10:11]
	s_delay_alu instid0(VALU_DEP_2)
	v_and_or_b32 v10, v10, 3, v83
	s_and_b32 s7, s7, vcc_lo
	s_delay_alu instid0(VALU_DEP_1) | instid1(SALU_CYCLE_1)
	v_cndmask_b32_e64 v10, v10, 0, s7
	s_delay_alu instid0(VALU_DEP_1)
	v_or_b32_e32 v114, v10, v84
.LBB2_5030:                             ;   in Loop: Header=BB2_4220 Depth=2
	s_or_b32 exec_lo, exec_lo, s40
                                        ; implicit-def: $vgpr84
.LBB2_5031:                             ;   in Loop: Header=BB2_4220 Depth=2
	s_and_not1_saveexec_b32 s7, s29
; %bb.5032:                             ;   in Loop: Header=BB2_4220 Depth=2
	v_or_b32_e32 v114, 0x7b, v84
; %bb.5033:                             ;   in Loop: Header=BB2_4220 Depth=2
	s_or_b32 exec_lo, exec_lo, s7
                                        ; implicit-def: $vgpr82
                                        ; implicit-def: $vgpr10_vgpr11
                                        ; implicit-def: $vgpr83
.LBB2_5034:                             ;   in Loop: Header=BB2_4220 Depth=2
	s_and_not1_saveexec_b32 s7, s28
	s_cbranch_execz .LBB2_5040
; %bb.5035:                             ;   in Loop: Header=BB2_4220 Depth=2
	s_mov_b32 s28, exec_lo
                                        ; implicit-def: $vgpr114
	v_cmpx_ne_u64_e32 0, v[10:11]
	s_xor_b32 s28, exec_lo, s28
; %bb.5036:                             ;   in Loop: Header=BB2_4220 Depth=2
	v_or_b32_e32 v114, 0x7f, v83
                                        ; implicit-def: $vgpr82
; %bb.5037:                             ;   in Loop: Header=BB2_4220 Depth=2
	s_and_not1_saveexec_b32 s28, s28
; %bb.5038:                             ;   in Loop: Header=BB2_4220 Depth=2
	v_cmp_lt_i32_e32 vcc_lo, -1, v82
	v_cndmask_b32_e32 v114, 0xfc, v46, vcc_lo
; %bb.5039:                             ;   in Loop: Header=BB2_4220 Depth=2
	s_or_b32 exec_lo, exec_lo, s28
.LBB2_5040:                             ;   in Loop: Header=BB2_4220 Depth=2
	s_delay_alu instid0(SALU_CYCLE_1) | instskip(SKIP_2) | instid1(VALU_DEP_1)
	s_or_b32 exec_lo, exec_lo, s7
	v_dual_mov_b32 v11, 0 :: v_dual_lshrrev_b32 v10, 16, v32
	s_mov_b32 s7, exec_lo
	v_and_b32_e32 v82, 0xff, v10
	s_delay_alu instid0(VALU_DEP_1)
	v_cmpx_ne_u16_e32 0, v82
	s_cbranch_execz .LBB2_5050
; %bb.5041:                             ;   in Loop: Header=BB2_4220 Depth=2
	v_bfrev_b32_e32 v11, 1
	s_mov_b32 s28, exec_lo
	v_cmpx_ne_u16_e32 0x80, v82
	s_cbranch_execz .LBB2_5049
; %bb.5042:                             ;   in Loop: Header=BB2_4220 Depth=2
	v_and_b32_e32 v11, 0x7c0000, v32
	v_bfe_u32 v82, v32, 16, 2
	s_delay_alu instid0(VALU_DEP_2) | instskip(SKIP_1) | instid1(SALU_CYCLE_1)
	v_cmp_ne_u32_e32 vcc_lo, 0x7c0000, v11
                                        ; implicit-def: $vgpr11
	s_and_saveexec_b32 s29, vcc_lo
	s_xor_b32 s29, exec_lo, s29
	s_cbranch_execz .LBB2_5046
; %bb.5043:                             ;   in Loop: Header=BB2_4220 Depth=2
	v_bfe_u32 v11, v32, 18, 5
	s_mov_b32 s40, exec_lo
	s_delay_alu instid0(VALU_DEP_1)
	v_cmpx_eq_u32_e32 0, v11
; %bb.5044:                             ;   in Loop: Header=BB2_4220 Depth=2
	v_clz_i32_u32_e32 v11, v82
	s_delay_alu instid0(VALU_DEP_1) | instskip(NEXT) | instid1(VALU_DEP_1)
	v_min_u32_e32 v11, 32, v11
	v_subrev_nc_u32_e32 v82, 29, v11
	s_delay_alu instid0(VALU_DEP_1) | instskip(NEXT) | instid1(VALU_DEP_1)
	v_lshlrev_b64_e32 v[82:83], v82, v[10:11]
	v_dual_sub_nc_u32 v11, 30, v11 :: v_dual_bitop2_b32 v82, 3, v82 bitop3:0x40
; %bb.5045:                             ;   in Loop: Header=BB2_4220 Depth=2
	s_or_b32 exec_lo, exec_lo, s40
	v_lshlrev_b32_e32 v10, 24, v10
	s_delay_alu instid0(VALU_DEP_1) | instskip(NEXT) | instid1(VALU_DEP_1)
	v_and_b32_e32 v10, 0x80000000, v10
	v_lshl_add_u32 v10, v11, 23, v10
	s_delay_alu instid0(VALU_DEP_1) | instskip(NEXT) | instid1(VALU_DEP_1)
	v_lshl_or_b32 v10, v82, 21, v10
                                        ; implicit-def: $vgpr82
	v_add_nc_u32_e32 v11, 0x38000000, v10
                                        ; implicit-def: $vgpr10
.LBB2_5046:                             ;   in Loop: Header=BB2_4220 Depth=2
	s_and_not1_saveexec_b32 s29, s29
; %bb.5047:                             ;   in Loop: Header=BB2_4220 Depth=2
	v_bfe_i32 v10, v10, 0, 8
	s_delay_alu instid0(VALU_DEP_1) | instskip(SKIP_2) | instid1(VALU_DEP_2)
	v_cmp_lt_i16_e32 vcc_lo, -1, v10
	v_cndmask_b32_e32 v10, 0xff800000, v45, vcc_lo
	v_cmp_eq_u32_e32 vcc_lo, 0, v82
	v_cndmask_b32_e32 v11, 0x7f800001, v10, vcc_lo
; %bb.5048:                             ;   in Loop: Header=BB2_4220 Depth=2
	s_or_b32 exec_lo, exec_lo, s29
.LBB2_5049:                             ;   in Loop: Header=BB2_4220 Depth=2
	s_delay_alu instid0(SALU_CYCLE_1)
	s_or_b32 exec_lo, exec_lo, s28
.LBB2_5050:                             ;   in Loop: Header=BB2_4220 Depth=2
	s_delay_alu instid0(SALU_CYCLE_1) | instskip(SKIP_3) | instid1(VALU_DEP_1)
	s_or_b32 exec_lo, exec_lo, s7
	v_lshrrev_b32_e32 v10, 16, v12
	s_mov_b32 s28, 0
	s_mov_b32 s7, exec_lo
	v_and_b32_e32 v83, 0xff, v10
	s_delay_alu instid0(VALU_DEP_1)
	v_cmpx_lt_i16_e32 0x7f, v83
	s_xor_b32 s7, exec_lo, s7
	s_cbranch_execnz .LBB2_5267
; %bb.5051:                             ;   in Loop: Header=BB2_4220 Depth=2
	s_or_saveexec_b32 s7, s7
	v_bfrev_b32_e32 v82, 1
	s_xor_b32 exec_lo, exec_lo, s7
	s_cbranch_execnz .LBB2_5270
.LBB2_5052:                             ;   in Loop: Header=BB2_4220 Depth=2
	s_or_b32 exec_lo, exec_lo, s7
	s_and_saveexec_b32 s7, s28
	s_cbranch_execz .LBB2_5054
.LBB2_5053:                             ;   in Loop: Header=BB2_4220 Depth=2
	v_and_b32_e32 v84, 3, v10
	v_bfe_u32 v117, v12, 18, 5
	s_delay_alu instid0(VALU_DEP_2) | instskip(NEXT) | instid1(VALU_DEP_2)
	v_clz_i32_u32_e32 v82, v84
	v_cmp_eq_u32_e32 vcc_lo, 0, v117
	s_delay_alu instid0(VALU_DEP_2) | instskip(NEXT) | instid1(VALU_DEP_1)
	v_min_u32_e32 v85, 32, v82
	v_subrev_nc_u32_e32 v82, 29, v85
	s_delay_alu instid0(VALU_DEP_1) | instskip(SKIP_2) | instid1(VALU_DEP_2)
	v_lshlrev_b64_e32 v[82:83], v82, v[10:11]
	v_dual_lshlrev_b32 v83, 24, v10 :: v_dual_sub_nc_u32 v85, 30, v85
	v_bfe_i32 v10, v10, 0, 8
	v_and_b32_e32 v83, 0x80000000, v83
	s_delay_alu instid0(VALU_DEP_3) | instskip(NEXT) | instid1(VALU_DEP_1)
	v_dual_cndmask_b32 v85, v117, v85, vcc_lo :: v_dual_bitop2_b32 v82, 3, v82 bitop3:0x40
	v_cndmask_b32_e32 v82, v84, v82, vcc_lo
	s_delay_alu instid0(VALU_DEP_2) | instskip(SKIP_1) | instid1(VALU_DEP_2)
	v_lshl_add_u32 v83, v85, 23, v83
	v_cmp_lt_i16_e32 vcc_lo, -1, v10
	v_lshl_or_b32 v82, v82, 21, v83
	v_cndmask_b32_e32 v10, 0xff800000, v45, vcc_lo
	v_and_b32_e32 v83, 0x7c0000, v12
	v_cmp_eq_u32_e32 vcc_lo, 0, v84
	s_delay_alu instid0(VALU_DEP_4) | instskip(NEXT) | instid1(VALU_DEP_4)
	v_add_nc_u32_e32 v82, 0x38000000, v82
	v_cndmask_b32_e32 v10, 0x7f800001, v10, vcc_lo
	s_delay_alu instid0(VALU_DEP_4) | instskip(NEXT) | instid1(VALU_DEP_2)
	v_cmp_eq_u32_e32 vcc_lo, 0x7c0000, v83
	v_cndmask_b32_e32 v82, v82, v10, vcc_lo
.LBB2_5054:                             ;   in Loop: Header=BB2_4220 Depth=2
	s_or_b32 exec_lo, exec_lo, s7
	s_delay_alu instid0(VALU_DEP_1) | instskip(SKIP_2) | instid1(VALU_DEP_2)
	v_dual_add_f32 v82, v11, v82 :: v_dual_mov_b32 v85, v33
	v_mov_b32_e32 v11, v33
                                        ; implicit-def: $vgpr117
	s_mov_b32 s7, exec_lo
	v_and_b32_e32 v84, 0x7f800000, v82
	v_and_b32_e32 v10, 0x7fffff, v82
	v_lshrrev_b32_e32 v83, 24, v82
	s_delay_alu instid0(VALU_DEP_3)
	v_cmpx_ne_u64_e32 0x7f800000, v[84:85]
	s_xor_b32 s28, exec_lo, s7
	s_cbranch_execz .LBB2_5068
; %bb.5055:                             ;   in Loop: Header=BB2_4220 Depth=2
	v_and_b32_e32 v84, 0x7fffffff, v82
	v_mov_b32_e32 v85, v33
                                        ; implicit-def: $vgpr117
	s_delay_alu instid0(VALU_DEP_1) | instskip(SKIP_2) | instid1(SALU_CYCLE_1)
	v_cmp_gt_u64_e32 vcc_lo, 0x47600001, v[84:85]
	v_and_b32_e32 v84, 0x80, v83
	s_and_saveexec_b32 s7, vcc_lo
	s_xor_b32 s29, exec_lo, s7
	s_cbranch_execz .LBB2_5065
; %bb.5056:                             ;   in Loop: Header=BB2_4220 Depth=2
	v_mov_b32_e32 v117, 0
	s_mov_b32 s40, exec_lo
	v_cmpx_ne_u32_e32 0, v82
	s_cbranch_execz .LBB2_5064
; %bb.5057:                             ;   in Loop: Header=BB2_4220 Depth=2
	v_bfe_u32 v85, v82, 23, 8
	v_or_b32_e32 v119, 0x800000, v10
	s_delay_alu instid0(VALU_DEP_2) | instskip(SKIP_1) | instid1(VALU_DEP_2)
	v_sub_nc_u32_e32 v82, 0x71, v85
	v_cmp_gt_u32_e32 vcc_lo, 0x72, v85
	v_cndmask_b32_e32 v82, 0, v82, vcc_lo
	v_cmp_eq_u32_e32 vcc_lo, 0, v85
	s_delay_alu instid0(VALU_DEP_2) | instskip(NEXT) | instid1(VALU_DEP_1)
	v_cndmask_b32_e64 v117, v82, 0x70, vcc_lo
	v_dual_cndmask_b32 v10, v119, v10, vcc_lo :: v_dual_add_nc_u32 v82, 21, v117
	v_add_nc_u32_e32 v40, 20, v117
	s_delay_alu instid0(VALU_DEP_2) | instskip(NEXT) | instid1(VALU_DEP_2)
	v_lshlrev_b64_e64 v[82:83], v82, -1
	v_lshlrev_b64_e64 v[40:41], v40, 1
	s_delay_alu instid0(VALU_DEP_2) | instskip(SKIP_1) | instid1(VALU_DEP_4)
	v_bfi_b32 v82, v82, 0, v10
	v_lshrrev_b64 v[10:11], v117, v[10:11]
	v_bfi_b32 v83, v83, 0, 0
	s_delay_alu instid0(VALU_DEP_1) | instskip(NEXT) | instid1(VALU_DEP_3)
	v_cmp_eq_u64_e64 s7, v[82:83], v[40:41]
	v_mov_b64_e32 v[82:83], v[10:11]
	s_and_saveexec_b32 s41, s7
; %bb.5058:                             ;   in Loop: Header=BB2_4220 Depth=2
	v_bfe_u32 v82, v10, 21, 1
	v_mov_b32_e32 v83, v33
	s_delay_alu instid0(VALU_DEP_1) | instskip(NEXT) | instid1(VALU_DEP_1)
	v_add_nc_u64_e32 v[82:83], v[10:11], v[82:83]
	v_add_nc_u64_e32 v[82:83], -1, v[82:83]
; %bb.5059:                             ;   in Loop: Header=BB2_4220 Depth=2
	s_or_b32 exec_lo, exec_lo, s41
	v_add_nc_u32_e32 v11, 0xffffff81, v85
	v_lshrrev_b32_e32 v83, 23, v10
	s_mov_b32 s7, exec_lo
	s_delay_alu instid0(VALU_DEP_2) | instskip(NEXT) | instid1(VALU_DEP_1)
	v_cndmask_b32_e64 v11, v11, 0xffffff82, vcc_lo
	v_add3_u32 v83, v117, v11, v83
	v_and_b32_e32 v11, 0x1fffff, v82
                                        ; implicit-def: $vgpr82
	s_delay_alu instid0(VALU_DEP_1) | instskip(SKIP_1) | instid1(VALU_DEP_2)
	v_dual_add_nc_u32 v85, 14, v83 :: v_dual_add_nc_u32 v10, v11, v10
	v_mov_b32_e32 v11, v33
	v_cmpx_ne_u32_e32 0, v85
	s_xor_b32 s7, exec_lo, s7
; %bb.5060:                             ;   in Loop: Header=BB2_4220 Depth=2
	s_delay_alu instid0(VALU_DEP_2) | instskip(SKIP_2) | instid1(VALU_DEP_2)
	v_cmp_lt_u64_e32 vcc_lo, 0xffffff, v[10:11]
	v_add_nc_u32_e32 v82, 15, v83
	v_cndmask_b32_e64 v83, 0, 1, vcc_lo
	v_cndmask_b32_e32 v82, v85, v82, vcc_lo
	s_delay_alu instid0(VALU_DEP_2)
	v_lshrrev_b64 v[10:11], v83, v[10:11]
; %bb.5061:                             ;   in Loop: Header=BB2_4220 Depth=2
	s_and_not1_saveexec_b32 s7, s7
; %bb.5062:                             ;   in Loop: Header=BB2_4220 Depth=2
	s_delay_alu instid0(VALU_DEP_1)
	v_bfe_u32 v82, v10, 23, 1
; %bb.5063:                             ;   in Loop: Header=BB2_4220 Depth=2
	s_or_b32 exec_lo, exec_lo, s7
	s_delay_alu instid0(VALU_DEP_2) | instskip(NEXT) | instid1(VALU_DEP_2)
	v_lshrrev_b64 v[10:11], 21, v[10:11]
	v_cmp_gt_i32_e32 vcc_lo, 32, v82
	v_min_i32_e32 v83, 31, v82
	v_cmp_eq_u32_e64 s7, 0, v82
	s_delay_alu instid0(VALU_DEP_4) | instskip(NEXT) | instid1(VALU_DEP_3)
	v_cndmask_b32_e32 v11, 0, v11, vcc_lo
	v_dual_cndmask_b32 v10, 3, v10 :: v_dual_lshlrev_b32 v83, 2, v83
	s_delay_alu instid0(VALU_DEP_1) | instskip(NEXT) | instid1(VALU_DEP_2)
	v_and_b32_e32 v83, 0xfc, v83
	v_cmp_eq_u64_e32 vcc_lo, 0, v[10:11]
	s_delay_alu instid0(VALU_DEP_2)
	v_and_or_b32 v10, v10, 3, v83
	s_and_b32 s7, s7, vcc_lo
	s_delay_alu instid0(VALU_DEP_1) | instid1(SALU_CYCLE_1)
	v_cndmask_b32_e64 v10, v10, 0, s7
	s_delay_alu instid0(VALU_DEP_1)
	v_or_b32_e32 v117, v10, v84
.LBB2_5064:                             ;   in Loop: Header=BB2_4220 Depth=2
	s_or_b32 exec_lo, exec_lo, s40
                                        ; implicit-def: $vgpr84
.LBB2_5065:                             ;   in Loop: Header=BB2_4220 Depth=2
	s_and_not1_saveexec_b32 s7, s29
; %bb.5066:                             ;   in Loop: Header=BB2_4220 Depth=2
	v_or_b32_e32 v117, 0x7b, v84
; %bb.5067:                             ;   in Loop: Header=BB2_4220 Depth=2
	s_or_b32 exec_lo, exec_lo, s7
                                        ; implicit-def: $vgpr82
                                        ; implicit-def: $vgpr10_vgpr11
                                        ; implicit-def: $vgpr83
.LBB2_5068:                             ;   in Loop: Header=BB2_4220 Depth=2
	s_and_not1_saveexec_b32 s7, s28
	s_cbranch_execz .LBB2_5074
; %bb.5069:                             ;   in Loop: Header=BB2_4220 Depth=2
	s_mov_b32 s28, exec_lo
                                        ; implicit-def: $vgpr117
	v_cmpx_ne_u64_e32 0, v[10:11]
	s_xor_b32 s28, exec_lo, s28
; %bb.5070:                             ;   in Loop: Header=BB2_4220 Depth=2
	v_or_b32_e32 v117, 0x7f, v83
                                        ; implicit-def: $vgpr82
; %bb.5071:                             ;   in Loop: Header=BB2_4220 Depth=2
	s_and_not1_saveexec_b32 s28, s28
; %bb.5072:                             ;   in Loop: Header=BB2_4220 Depth=2
	v_cmp_lt_i32_e32 vcc_lo, -1, v82
	v_cndmask_b32_e32 v117, 0xfc, v46, vcc_lo
; %bb.5073:                             ;   in Loop: Header=BB2_4220 Depth=2
	s_or_b32 exec_lo, exec_lo, s28
.LBB2_5074:                             ;   in Loop: Header=BB2_4220 Depth=2
	s_delay_alu instid0(SALU_CYCLE_1)
	s_or_b32 exec_lo, exec_lo, s7
	v_mov_b32_e32 v11, 0
	s_mov_b32 s7, exec_lo
	v_cmpx_lt_u32_e32 0xffffff, v32
	s_cbranch_execz .LBB2_5084
; %bb.5075:                             ;   in Loop: Header=BB2_4220 Depth=2
	v_lshrrev_b32_e32 v10, 24, v32
	v_bfrev_b32_e32 v11, 1
	s_mov_b32 s28, exec_lo
	s_delay_alu instid0(VALU_DEP_2)
	v_cmpx_ne_u32_e32 0x80, v10
	s_cbranch_execz .LBB2_5083
; %bb.5076:                             ;   in Loop: Header=BB2_4220 Depth=2
	v_and_b32_e32 v11, 0x7c000000, v32
	v_bfe_u32 v82, v32, 24, 2
	s_delay_alu instid0(VALU_DEP_2) | instskip(SKIP_1) | instid1(SALU_CYCLE_1)
	v_cmp_ne_u32_e32 vcc_lo, 0x7c000000, v11
                                        ; implicit-def: $vgpr11
	s_and_saveexec_b32 s29, vcc_lo
	s_xor_b32 s29, exec_lo, s29
	s_cbranch_execz .LBB2_5080
; %bb.5077:                             ;   in Loop: Header=BB2_4220 Depth=2
	v_bfe_u32 v11, v32, 26, 5
	s_mov_b32 s40, exec_lo
	s_delay_alu instid0(VALU_DEP_1)
	v_cmpx_eq_u32_e32 0, v11
; %bb.5078:                             ;   in Loop: Header=BB2_4220 Depth=2
	v_clz_i32_u32_e32 v11, v82
	s_delay_alu instid0(VALU_DEP_1) | instskip(NEXT) | instid1(VALU_DEP_1)
	v_min_u32_e32 v82, 32, v11
	v_subrev_nc_u32_e32 v11, 29, v82
	s_delay_alu instid0(VALU_DEP_1) | instskip(SKIP_1) | instid1(VALU_DEP_2)
	v_lshlrev_b64_e32 v[10:11], v11, v[10:11]
	v_sub_nc_u32_e32 v11, 30, v82
	v_and_b32_e32 v82, 3, v10
; %bb.5079:                             ;   in Loop: Header=BB2_4220 Depth=2
	s_or_b32 exec_lo, exec_lo, s40
	v_and_b32_e32 v10, 0x80000000, v32
	s_delay_alu instid0(VALU_DEP_1) | instskip(NEXT) | instid1(VALU_DEP_1)
	v_lshl_add_u32 v10, v11, 23, v10
	v_lshl_or_b32 v10, v82, 21, v10
                                        ; implicit-def: $vgpr82
	s_delay_alu instid0(VALU_DEP_1)
	v_add_nc_u32_e32 v11, 0x38000000, v10
.LBB2_5080:                             ;   in Loop: Header=BB2_4220 Depth=2
	s_and_not1_saveexec_b32 s29, s29
; %bb.5081:                             ;   in Loop: Header=BB2_4220 Depth=2
	v_cmp_lt_i32_e32 vcc_lo, -1, v32
	v_cndmask_b32_e32 v10, 0xff800000, v45, vcc_lo
	v_cmp_eq_u32_e32 vcc_lo, 0, v82
	s_delay_alu instid0(VALU_DEP_2)
	v_cndmask_b32_e32 v11, 0x7f800001, v10, vcc_lo
; %bb.5082:                             ;   in Loop: Header=BB2_4220 Depth=2
	s_or_b32 exec_lo, exec_lo, s29
.LBB2_5083:                             ;   in Loop: Header=BB2_4220 Depth=2
	s_delay_alu instid0(SALU_CYCLE_1)
	s_or_b32 exec_lo, exec_lo, s28
.LBB2_5084:                             ;   in Loop: Header=BB2_4220 Depth=2
	s_delay_alu instid0(SALU_CYCLE_1) | instskip(SKIP_3) | instid1(VALU_DEP_2)
	s_or_b32 exec_lo, exec_lo, s7
	v_bfe_u32 v32, v12, 24, 2
	v_bfe_u32 v85, v12, 26, 5
                                        ; implicit-def: $vgpr119
	s_mov_b32 s7, exec_lo
	v_clz_i32_u32_e32 v10, v32
	s_delay_alu instid0(VALU_DEP_2) | instskip(NEXT) | instid1(VALU_DEP_2)
	v_cmp_eq_u32_e32 vcc_lo, 0, v85
	v_min_u32_e32 v84, 32, v10
	v_lshrrev_b32_e32 v10, 24, v12
	s_delay_alu instid0(VALU_DEP_2) | instskip(NEXT) | instid1(VALU_DEP_1)
	v_subrev_nc_u32_e32 v82, 29, v84
	v_lshlrev_b64_e32 v[82:83], v82, v[10:11]
	v_sub_nc_u32_e32 v83, 30, v84
	v_and_b32_e32 v84, 0x80000000, v12
	s_delay_alu instid0(VALU_DEP_2) | instskip(NEXT) | instid1(VALU_DEP_1)
	v_dual_cndmask_b32 v83, v85, v83, vcc_lo :: v_dual_bitop2_b32 v82, 3, v82 bitop3:0x40
	v_cndmask_b32_e32 v82, v32, v82, vcc_lo
	s_delay_alu instid0(VALU_DEP_2) | instskip(SKIP_1) | instid1(VALU_DEP_2)
	v_lshl_add_u32 v83, v83, 23, v84
	v_cmp_lt_i32_e32 vcc_lo, -1, v12
	v_lshl_or_b32 v82, v82, 21, v83
	v_cndmask_b32_e32 v84, 0xff800000, v45, vcc_lo
	v_and_b32_e32 v83, 0x7c000000, v12
	v_cmp_eq_u32_e32 vcc_lo, 0, v32
	s_delay_alu instid0(VALU_DEP_4) | instskip(NEXT) | instid1(VALU_DEP_4)
	v_add_nc_u32_e32 v82, 0x38000000, v82
	v_cndmask_b32_e32 v32, 0x7f800001, v84, vcc_lo
	s_delay_alu instid0(VALU_DEP_4) | instskip(NEXT) | instid1(VALU_DEP_2)
	v_cmp_eq_u32_e32 vcc_lo, 0x7c000000, v83
	v_dual_mov_b32 v83, v33 :: v_dual_cndmask_b32 v32, v82, v32
	v_cmp_ne_u32_e32 vcc_lo, 0x80, v10
	s_delay_alu instid0(VALU_DEP_2) | instskip(SKIP_1) | instid1(VALU_DEP_2)
	v_cndmask_b32_e32 v10, 0x80000000, v32, vcc_lo
	v_cmp_lt_u32_e32 vcc_lo, 0xffffff, v12
	v_cndmask_b32_e32 v10, 0, v10, vcc_lo
	s_delay_alu instid0(VALU_DEP_1) | instskip(NEXT) | instid1(VALU_DEP_1)
	v_add_f32_e32 v10, v10, v11
	v_and_b32_e32 v82, 0x7f800000, v10
	v_and_b32_e32 v32, 0x7fffff, v10
	v_lshrrev_b32_e32 v11, 24, v10
	s_delay_alu instid0(VALU_DEP_3)
	v_cmpx_ne_u64_e32 0x7f800000, v[82:83]
	s_xor_b32 s28, exec_lo, s7
	s_cbranch_execz .LBB2_5098
; %bb.5085:                             ;   in Loop: Header=BB2_4220 Depth=2
	v_and_b32_e32 v82, 0x7fffffff, v10
	v_mov_b32_e32 v83, v33
	v_and_b32_e32 v84, 0x80, v11
                                        ; implicit-def: $vgpr119
	s_mov_b32 s7, exec_lo
	s_delay_alu instid0(VALU_DEP_2)
	v_cmpx_gt_u64_e32 0x47600001, v[82:83]
	s_xor_b32 s29, exec_lo, s7
	s_cbranch_execz .LBB2_5095
; %bb.5086:                             ;   in Loop: Header=BB2_4220 Depth=2
	v_mov_b32_e32 v119, 0
	s_mov_b32 s40, exec_lo
	v_cmpx_ne_u32_e32 0, v10
	s_cbranch_execz .LBB2_5094
; %bb.5087:                             ;   in Loop: Header=BB2_4220 Depth=2
	v_bfe_u32 v85, v10, 23, 8
	v_or_b32_e32 v82, 0x800000, v32
	s_delay_alu instid0(VALU_DEP_2) | instskip(SKIP_1) | instid1(VALU_DEP_2)
	v_sub_nc_u32_e32 v10, 0x71, v85
	v_cmp_gt_u32_e32 vcc_lo, 0x72, v85
	v_cndmask_b32_e32 v10, 0, v10, vcc_lo
	v_cmp_eq_u32_e32 vcc_lo, 0, v85
	s_delay_alu instid0(VALU_DEP_2) | instskip(NEXT) | instid1(VALU_DEP_1)
	v_cndmask_b32_e64 v119, v10, 0x70, vcc_lo
	v_dual_cndmask_b32 v32, v82, v32, vcc_lo :: v_dual_add_nc_u32 v10, 21, v119
	v_add_nc_u32_e32 v83, 20, v119
	s_delay_alu instid0(VALU_DEP_2) | instskip(NEXT) | instid1(VALU_DEP_2)
	v_lshlrev_b64_e64 v[10:11], v10, -1
	v_lshlrev_b64_e64 v[82:83], v83, 1
	s_delay_alu instid0(VALU_DEP_2) | instskip(NEXT) | instid1(VALU_DEP_3)
	v_bfi_b32 v41, v11, 0, 0
	v_bfi_b32 v40, v10, 0, v32
	v_lshrrev_b64 v[10:11], v119, v[32:33]
	s_delay_alu instid0(VALU_DEP_2) | instskip(NEXT) | instid1(VALU_DEP_2)
	v_cmp_eq_u64_e64 s7, v[40:41], v[82:83]
	v_mov_b64_e32 v[82:83], v[10:11]
	s_and_saveexec_b32 s41, s7
; %bb.5088:                             ;   in Loop: Header=BB2_4220 Depth=2
	v_bfe_u32 v32, v10, 21, 1
	s_delay_alu instid0(VALU_DEP_1) | instskip(NEXT) | instid1(VALU_DEP_1)
	v_add_nc_u64_e32 v[82:83], v[10:11], v[32:33]
	v_add_nc_u64_e32 v[82:83], -1, v[82:83]
; %bb.5089:                             ;   in Loop: Header=BB2_4220 Depth=2
	s_or_b32 exec_lo, exec_lo, s41
	v_add_nc_u32_e32 v11, 0xffffff81, v85
	v_lshrrev_b32_e32 v32, 23, v10
	s_mov_b32 s7, exec_lo
	s_delay_alu instid0(VALU_DEP_2) | instskip(NEXT) | instid1(VALU_DEP_1)
	v_cndmask_b32_e64 v11, v11, 0xffffff82, vcc_lo
	v_add3_u32 v83, v119, v11, v32
	v_and_b32_e32 v11, 0x1fffff, v82
                                        ; implicit-def: $vgpr82
	s_delay_alu instid0(VALU_DEP_1) | instskip(NEXT) | instid1(VALU_DEP_1)
	v_dual_add_nc_u32 v85, 14, v83 :: v_dual_add_nc_u32 v32, v11, v10
                                        ; implicit-def: $vgpr10_vgpr11
	v_cmpx_ne_u32_e32 0, v85
	s_xor_b32 s7, exec_lo, s7
; %bb.5090:                             ;   in Loop: Header=BB2_4220 Depth=2
	s_delay_alu instid0(VALU_DEP_2) | instskip(SKIP_1) | instid1(VALU_DEP_1)
	v_cmp_lt_u64_e32 vcc_lo, 0xffffff, v[32:33]
	v_add_nc_u32_e32 v10, 15, v83
	v_cndmask_b32_e32 v82, v85, v10, vcc_lo
	v_cndmask_b32_e64 v10, 0, 1, vcc_lo
	s_delay_alu instid0(VALU_DEP_1)
	v_lshrrev_b64 v[10:11], v10, v[32:33]
; %bb.5091:                             ;   in Loop: Header=BB2_4220 Depth=2
	s_and_not1_saveexec_b32 s7, s7
; %bb.5092:                             ;   in Loop: Header=BB2_4220 Depth=2
	v_mov_b64_e32 v[10:11], v[32:33]
	v_bfe_u32 v82, v32, 23, 1
; %bb.5093:                             ;   in Loop: Header=BB2_4220 Depth=2
	s_or_b32 exec_lo, exec_lo, s7
	s_delay_alu instid0(VALU_DEP_2) | instskip(NEXT) | instid1(VALU_DEP_2)
	v_lshrrev_b64 v[10:11], 21, v[10:11]
	v_cmp_gt_i32_e32 vcc_lo, 32, v82
	v_min_i32_e32 v32, 31, v82
	v_cmp_eq_u32_e64 s7, 0, v82
	s_delay_alu instid0(VALU_DEP_2) | instskip(SKIP_1) | instid1(VALU_DEP_2)
	v_dual_cndmask_b32 v11, 0, v11 :: v_dual_lshlrev_b32 v32, 2, v32
	v_cndmask_b32_e32 v10, 3, v10, vcc_lo
	v_and_b32_e32 v32, 0xfc, v32
	s_delay_alu instid0(VALU_DEP_2) | instskip(NEXT) | instid1(VALU_DEP_2)
	v_cmp_eq_u64_e32 vcc_lo, 0, v[10:11]
	v_and_or_b32 v10, v10, 3, v32
	s_and_b32 s7, s7, vcc_lo
	s_delay_alu instid0(VALU_DEP_1) | instid1(SALU_CYCLE_1)
	v_cndmask_b32_e64 v10, v10, 0, s7
	s_delay_alu instid0(VALU_DEP_1)
	v_or_b32_e32 v119, v10, v84
.LBB2_5094:                             ;   in Loop: Header=BB2_4220 Depth=2
	s_or_b32 exec_lo, exec_lo, s40
                                        ; implicit-def: $vgpr84
.LBB2_5095:                             ;   in Loop: Header=BB2_4220 Depth=2
	s_and_not1_saveexec_b32 s7, s29
; %bb.5096:                             ;   in Loop: Header=BB2_4220 Depth=2
	v_or_b32_e32 v119, 0x7b, v84
; %bb.5097:                             ;   in Loop: Header=BB2_4220 Depth=2
	s_or_b32 exec_lo, exec_lo, s7
                                        ; implicit-def: $vgpr10
                                        ; implicit-def: $vgpr11
.LBB2_5098:                             ;   in Loop: Header=BB2_4220 Depth=2
	s_and_not1_saveexec_b32 s7, s28
	s_cbranch_execz .LBB2_5104
; %bb.5099:                             ;   in Loop: Header=BB2_4220 Depth=2
	s_mov_b32 s28, exec_lo
                                        ; implicit-def: $vgpr119
	v_cmpx_ne_u64_e32 0, v[32:33]
	s_xor_b32 s28, exec_lo, s28
; %bb.5100:                             ;   in Loop: Header=BB2_4220 Depth=2
	v_or_b32_e32 v119, 0x7f, v11
                                        ; implicit-def: $vgpr10
; %bb.5101:                             ;   in Loop: Header=BB2_4220 Depth=2
	s_and_not1_saveexec_b32 s28, s28
; %bb.5102:                             ;   in Loop: Header=BB2_4220 Depth=2
	v_cmp_lt_i32_e32 vcc_lo, -1, v10
	v_cndmask_b32_e32 v119, 0xfc, v46, vcc_lo
; %bb.5103:                             ;   in Loop: Header=BB2_4220 Depth=2
	s_or_b32 exec_lo, exec_lo, s28
.LBB2_5104:                             ;   in Loop: Header=BB2_4220 Depth=2
	s_delay_alu instid0(SALU_CYCLE_1) | instskip(SKIP_4) | instid1(VALU_DEP_2)
	s_or_b32 exec_lo, exec_lo, s7
	v_dual_lshlrev_b32 v10, 24, v116 :: v_dual_lshlrev_b32 v11, 16, v113
	v_lshl_or_b32 v103, v103, 8, v100
	v_mov_b32_e32 v82, 0
	s_mov_b32 s7, exec_lo
	v_or3_b32 v32, v11, v10, v103
	v_cmpx_ne_u32_e32 0, v100
	s_cbranch_execz .LBB2_5114
; %bb.5105:                             ;   in Loop: Header=BB2_4220 Depth=2
	v_bfrev_b32_e32 v82, 1
	s_mov_b32 s28, exec_lo
	v_cmpx_ne_u32_e32 0x80, v100
	s_cbranch_execz .LBB2_5113
; %bb.5106:                             ;   in Loop: Header=BB2_4220 Depth=2
	v_and_b32_e32 v11, 0x7c, v100
	v_and_b32_e32 v10, 3, v100
	s_mov_b32 s29, exec_lo
                                        ; implicit-def: $vgpr82
	s_delay_alu instid0(VALU_DEP_2)
	v_cmpx_ne_u32_e32 0x7c, v11
	s_xor_b32 s29, exec_lo, s29
	s_cbranch_execz .LBB2_5110
; %bb.5107:                             ;   in Loop: Header=BB2_4220 Depth=2
	v_bfe_u32 v11, v100, 2, 5
	s_mov_b32 s40, exec_lo
	s_delay_alu instid0(VALU_DEP_1)
	v_cmpx_eq_u32_e32 0, v11
; %bb.5108:                             ;   in Loop: Header=BB2_4220 Depth=2
	v_clz_i32_u32_e32 v10, v10
	s_delay_alu instid0(VALU_DEP_1) | instskip(NEXT) | instid1(VALU_DEP_1)
	v_min_u32_e32 v82, 32, v10
	v_subrev_nc_u32_e32 v10, 29, v82
	s_delay_alu instid0(VALU_DEP_1) | instskip(SKIP_1) | instid1(VALU_DEP_2)
	v_lshlrev_b64_e32 v[10:11], v10, v[32:33]
	v_sub_nc_u32_e32 v11, 30, v82
	v_and_b32_e32 v10, 3, v10
; %bb.5109:                             ;   in Loop: Header=BB2_4220 Depth=2
	s_or_b32 exec_lo, exec_lo, s40
	v_lshlrev_b32_e32 v82, 24, v100
                                        ; implicit-def: $vgpr100
	s_delay_alu instid0(VALU_DEP_1) | instskip(NEXT) | instid1(VALU_DEP_1)
	v_and_b32_e32 v82, 0x80000000, v82
	v_lshl_add_u32 v11, v11, 23, v82
	s_delay_alu instid0(VALU_DEP_1) | instskip(NEXT) | instid1(VALU_DEP_1)
	v_lshl_or_b32 v10, v10, 21, v11
	v_add_nc_u32_e32 v82, 0x38000000, v10
                                        ; implicit-def: $vgpr10
.LBB2_5110:                             ;   in Loop: Header=BB2_4220 Depth=2
	s_and_not1_saveexec_b32 s29, s29
; %bb.5111:                             ;   in Loop: Header=BB2_4220 Depth=2
	v_and_b32_e32 v11, 0x80, v100
	s_delay_alu instid0(VALU_DEP_1) | instskip(SKIP_2) | instid1(VALU_DEP_2)
	v_cmp_eq_u32_e32 vcc_lo, 0, v11
	v_cndmask_b32_e32 v11, 0xff800000, v45, vcc_lo
	v_cmp_eq_u32_e32 vcc_lo, 0, v10
	v_cndmask_b32_e32 v82, 0x7f800001, v11, vcc_lo
; %bb.5112:                             ;   in Loop: Header=BB2_4220 Depth=2
	s_or_b32 exec_lo, exec_lo, s29
.LBB2_5113:                             ;   in Loop: Header=BB2_4220 Depth=2
	s_delay_alu instid0(SALU_CYCLE_1)
	s_or_b32 exec_lo, exec_lo, s28
.LBB2_5114:                             ;   in Loop: Header=BB2_4220 Depth=2
	s_delay_alu instid0(SALU_CYCLE_1) | instskip(SKIP_4) | instid1(VALU_DEP_2)
	s_or_b32 exec_lo, exec_lo, s7
	v_and_b32_e32 v11, 0xff, v13
	v_mov_b32_e32 v10, v13
	s_mov_b32 s28, 0
	s_mov_b32 s7, exec_lo
	v_cmpx_lt_i16_e32 0x7f, v11
	s_xor_b32 s7, exec_lo, s7
	s_cbranch_execnz .LBB2_5271
; %bb.5115:                             ;   in Loop: Header=BB2_4220 Depth=2
	s_or_saveexec_b32 s7, s7
	v_bfrev_b32_e32 v83, 1
	s_xor_b32 exec_lo, exec_lo, s7
	s_cbranch_execnz .LBB2_5274
.LBB2_5116:                             ;   in Loop: Header=BB2_4220 Depth=2
	s_or_b32 exec_lo, exec_lo, s7
	v_mov_b32_e32 v11, v33
	s_and_saveexec_b32 s7, s28
	s_cbranch_execz .LBB2_5118
.LBB2_5117:                             ;   in Loop: Header=BB2_4220 Depth=2
	v_and_b32_e32 v83, 3, v13
	s_delay_alu instid0(VALU_DEP_1) | instskip(NEXT) | instid1(VALU_DEP_1)
	v_clz_i32_u32_e32 v84, v83
	v_min_u32_e32 v100, 32, v84
	s_delay_alu instid0(VALU_DEP_1) | instskip(SKIP_1) | instid1(VALU_DEP_2)
	v_subrev_nc_u32_e32 v84, 29, v100
	v_sub_nc_u32_e32 v100, 30, v100
	v_lshlrev_b64_e32 v[84:85], v84, v[10:11]
	v_bfe_u32 v85, v13, 2, 5
	v_lshlrev_b32_e32 v11, 24, v13
	s_delay_alu instid0(VALU_DEP_2) | instskip(NEXT) | instid1(VALU_DEP_2)
	v_cmp_eq_u32_e32 vcc_lo, 0, v85
	v_and_b32_e32 v11, 0x80000000, v11
	v_and_b32_e32 v84, 3, v84
	v_cndmask_b32_e32 v85, v85, v100, vcc_lo
	v_bfe_i32 v100, v13, 0, 8
	s_delay_alu instid0(VALU_DEP_3) | instskip(NEXT) | instid1(VALU_DEP_3)
	v_cndmask_b32_e32 v84, v83, v84, vcc_lo
	v_lshl_add_u32 v11, v85, 23, v11
	s_delay_alu instid0(VALU_DEP_3) | instskip(NEXT) | instid1(VALU_DEP_2)
	v_cmp_lt_i16_e32 vcc_lo, -1, v100
	v_lshl_or_b32 v11, v84, 21, v11
	v_cndmask_b32_e32 v85, 0xff800000, v45, vcc_lo
	v_and_b32_e32 v84, 0x7c, v13
	v_cmp_eq_u32_e32 vcc_lo, 0, v83
	s_delay_alu instid0(VALU_DEP_4) | instskip(NEXT) | instid1(VALU_DEP_4)
	v_add_nc_u32_e32 v11, 0x38000000, v11
	v_cndmask_b32_e32 v83, 0x7f800001, v85, vcc_lo
	s_delay_alu instid0(VALU_DEP_4) | instskip(NEXT) | instid1(VALU_DEP_2)
	v_cmp_eq_u32_e32 vcc_lo, 0x7c, v84
	v_cndmask_b32_e32 v83, v11, v83, vcc_lo
.LBB2_5118:                             ;   in Loop: Header=BB2_4220 Depth=2
	s_or_b32 exec_lo, exec_lo, s7
	s_delay_alu instid0(VALU_DEP_1) | instskip(SKIP_2) | instid1(VALU_DEP_2)
	v_dual_add_f32 v85, v82, v83 :: v_dual_mov_b32 v41, v33
	v_mov_b32_e32 v83, v33
                                        ; implicit-def: $vgpr84
	s_mov_b32 s7, exec_lo
	v_and_b32_e32 v40, 0x7f800000, v85
	v_and_b32_e32 v82, 0x7fffff, v85
	v_lshrrev_b32_e32 v11, 24, v85
	s_delay_alu instid0(VALU_DEP_3)
	v_cmpx_ne_u64_e32 0x7f800000, v[40:41]
	s_xor_b32 s28, exec_lo, s7
	s_cbranch_execz .LBB2_5132
; %bb.5119:                             ;   in Loop: Header=BB2_4220 Depth=2
	v_and_b32_e32 v40, 0x7fffffff, v85
	v_mov_b32_e32 v41, v33
	v_and_b32_e32 v11, 0x80, v11
                                        ; implicit-def: $vgpr84
	s_mov_b32 s7, exec_lo
	s_delay_alu instid0(VALU_DEP_2)
	v_cmpx_gt_u64_e32 0x47600001, v[40:41]
	s_xor_b32 s29, exec_lo, s7
	s_cbranch_execz .LBB2_5129
; %bb.5120:                             ;   in Loop: Header=BB2_4220 Depth=2
	v_mov_b32_e32 v84, 0
	s_mov_b32 s40, exec_lo
	v_cmpx_ne_u32_e32 0, v85
	s_cbranch_execz .LBB2_5128
; %bb.5121:                             ;   in Loop: Header=BB2_4220 Depth=2
	v_bfe_u32 v100, v85, 23, 8
	v_or_b32_e32 v116, 0x800000, v82
	s_delay_alu instid0(VALU_DEP_2) | instskip(SKIP_1) | instid1(VALU_DEP_2)
	v_sub_nc_u32_e32 v84, 0x71, v100
	v_cmp_gt_u32_e32 vcc_lo, 0x72, v100
	v_cndmask_b32_e32 v84, 0, v84, vcc_lo
	v_cmp_eq_u32_e32 vcc_lo, 0, v100
	s_delay_alu instid0(VALU_DEP_2) | instskip(NEXT) | instid1(VALU_DEP_1)
	v_cndmask_b32_e64 v113, v84, 0x70, vcc_lo
	v_dual_cndmask_b32 v82, v116, v82, vcc_lo :: v_dual_add_nc_u32 v84, 21, v113
	v_add_nc_u32_e32 v40, 20, v113
	s_delay_alu instid0(VALU_DEP_2) | instskip(NEXT) | instid1(VALU_DEP_2)
	v_lshlrev_b64_e64 v[84:85], v84, -1
	v_lshlrev_b64_e64 v[40:41], v40, 1
	s_delay_alu instid0(VALU_DEP_2) | instskip(SKIP_1) | instid1(VALU_DEP_4)
	v_bfi_b32 v84, v84, 0, v82
	v_lshrrev_b64 v[82:83], v113, v[82:83]
	v_bfi_b32 v85, v85, 0, 0
	s_delay_alu instid0(VALU_DEP_1) | instskip(NEXT) | instid1(VALU_DEP_3)
	v_cmp_eq_u64_e64 s7, v[84:85], v[40:41]
	v_mov_b64_e32 v[84:85], v[82:83]
	s_and_saveexec_b32 s41, s7
; %bb.5122:                             ;   in Loop: Header=BB2_4220 Depth=2
	v_bfe_u32 v84, v82, 21, 1
	v_mov_b32_e32 v85, v33
	s_delay_alu instid0(VALU_DEP_1) | instskip(NEXT) | instid1(VALU_DEP_1)
	v_add_nc_u64_e32 v[84:85], v[82:83], v[84:85]
	v_add_nc_u64_e32 v[84:85], -1, v[84:85]
; %bb.5123:                             ;   in Loop: Header=BB2_4220 Depth=2
	s_or_b32 exec_lo, exec_lo, s41
	v_add_nc_u32_e32 v83, 0xffffff81, v100
	v_lshrrev_b32_e32 v85, 23, v82
	s_mov_b32 s7, exec_lo
	s_delay_alu instid0(VALU_DEP_2) | instskip(NEXT) | instid1(VALU_DEP_1)
	v_cndmask_b32_e64 v83, v83, 0xffffff82, vcc_lo
	v_add3_u32 v85, v113, v83, v85
	v_and_b32_e32 v83, 0x1fffff, v84
                                        ; implicit-def: $vgpr84
	s_delay_alu instid0(VALU_DEP_1) | instskip(SKIP_1) | instid1(VALU_DEP_2)
	v_dual_add_nc_u32 v100, 14, v85 :: v_dual_add_nc_u32 v82, v83, v82
	v_mov_b32_e32 v83, v33
	v_cmpx_ne_u32_e32 0, v100
	s_xor_b32 s7, exec_lo, s7
; %bb.5124:                             ;   in Loop: Header=BB2_4220 Depth=2
	s_delay_alu instid0(VALU_DEP_2) | instskip(SKIP_2) | instid1(VALU_DEP_2)
	v_cmp_lt_u64_e32 vcc_lo, 0xffffff, v[82:83]
	v_add_nc_u32_e32 v84, 15, v85
	v_cndmask_b32_e64 v85, 0, 1, vcc_lo
	v_cndmask_b32_e32 v84, v100, v84, vcc_lo
	s_delay_alu instid0(VALU_DEP_2)
	v_lshrrev_b64 v[82:83], v85, v[82:83]
; %bb.5125:                             ;   in Loop: Header=BB2_4220 Depth=2
	s_and_not1_saveexec_b32 s7, s7
; %bb.5126:                             ;   in Loop: Header=BB2_4220 Depth=2
	s_delay_alu instid0(VALU_DEP_1)
	v_bfe_u32 v84, v82, 23, 1
; %bb.5127:                             ;   in Loop: Header=BB2_4220 Depth=2
	s_or_b32 exec_lo, exec_lo, s7
	s_delay_alu instid0(VALU_DEP_2) | instskip(NEXT) | instid1(VALU_DEP_2)
	v_lshrrev_b64 v[82:83], 21, v[82:83]
	v_cmp_gt_i32_e32 vcc_lo, 32, v84
	v_min_i32_e32 v85, 31, v84
	v_cmp_eq_u32_e64 s7, 0, v84
	s_delay_alu instid0(VALU_DEP_2) | instskip(SKIP_1) | instid1(VALU_DEP_2)
	v_dual_cndmask_b32 v83, 0, v83, vcc_lo :: v_dual_lshlrev_b32 v85, 2, v85
	v_cndmask_b32_e32 v82, 3, v82, vcc_lo
	v_and_b32_e32 v85, 0xfc, v85
	s_delay_alu instid0(VALU_DEP_2) | instskip(NEXT) | instid1(VALU_DEP_2)
	v_cmp_eq_u64_e32 vcc_lo, 0, v[82:83]
	v_and_or_b32 v82, v82, 3, v85
	s_and_b32 s7, s7, vcc_lo
	s_delay_alu instid0(VALU_DEP_1) | instid1(SALU_CYCLE_1)
	v_cndmask_b32_e64 v82, v82, 0, s7
	s_delay_alu instid0(VALU_DEP_1)
	v_or_b32_e32 v84, v82, v11
.LBB2_5128:                             ;   in Loop: Header=BB2_4220 Depth=2
	s_or_b32 exec_lo, exec_lo, s40
                                        ; implicit-def: $vgpr11
.LBB2_5129:                             ;   in Loop: Header=BB2_4220 Depth=2
	s_and_not1_saveexec_b32 s7, s29
; %bb.5130:                             ;   in Loop: Header=BB2_4220 Depth=2
	v_or_b32_e32 v84, 0x7b, v11
; %bb.5131:                             ;   in Loop: Header=BB2_4220 Depth=2
	s_or_b32 exec_lo, exec_lo, s7
                                        ; implicit-def: $vgpr85
                                        ; implicit-def: $vgpr82_vgpr83
                                        ; implicit-def: $vgpr11
.LBB2_5132:                             ;   in Loop: Header=BB2_4220 Depth=2
	s_and_not1_saveexec_b32 s7, s28
	s_cbranch_execz .LBB2_5138
; %bb.5133:                             ;   in Loop: Header=BB2_4220 Depth=2
	s_mov_b32 s28, exec_lo
                                        ; implicit-def: $vgpr84
	v_cmpx_ne_u64_e32 0, v[82:83]
	s_xor_b32 s28, exec_lo, s28
; %bb.5134:                             ;   in Loop: Header=BB2_4220 Depth=2
	v_or_b32_e32 v84, 0x7f, v11
                                        ; implicit-def: $vgpr85
; %bb.5135:                             ;   in Loop: Header=BB2_4220 Depth=2
	s_and_not1_saveexec_b32 s28, s28
; %bb.5136:                             ;   in Loop: Header=BB2_4220 Depth=2
	v_cmp_lt_i32_e32 vcc_lo, -1, v85
	v_cndmask_b32_e32 v84, 0xfc, v46, vcc_lo
; %bb.5137:                             ;   in Loop: Header=BB2_4220 Depth=2
	s_or_b32 exec_lo, exec_lo, s28
.LBB2_5138:                             ;   in Loop: Header=BB2_4220 Depth=2
	s_delay_alu instid0(SALU_CYCLE_1) | instskip(SKIP_3) | instid1(VALU_DEP_2)
	s_or_b32 exec_lo, exec_lo, s7
	v_lshrrev_b16 v82, 8, v103
	v_mov_b32_e32 v11, 0
	s_mov_b32 s7, exec_lo
	v_cmpx_ne_u16_e32 0, v82
	s_cbranch_execz .LBB2_5148
; %bb.5139:                             ;   in Loop: Header=BB2_4220 Depth=2
	v_bfrev_b32_e32 v11, 1
	s_mov_b32 s28, exec_lo
	v_cmpx_ne_u16_e32 0x80, v82
	s_cbranch_execz .LBB2_5147
; %bb.5140:                             ;   in Loop: Header=BB2_4220 Depth=2
	v_and_b32_e32 v85, 0xffff, v82
	s_delay_alu instid0(VALU_DEP_1) | instskip(SKIP_1) | instid1(VALU_DEP_2)
	v_and_b32_e32 v11, 0x7c, v85
	v_and_b32_e32 v83, 3, v85
	v_cmp_ne_u32_e32 vcc_lo, 0x7c, v11
                                        ; implicit-def: $vgpr11
	s_and_saveexec_b32 s29, vcc_lo
	s_delay_alu instid0(SALU_CYCLE_1)
	s_xor_b32 s29, exec_lo, s29
	s_cbranch_execz .LBB2_5144
; %bb.5141:                             ;   in Loop: Header=BB2_4220 Depth=2
	v_bfe_u32 v11, v85, 2, 5
	s_mov_b32 s40, exec_lo
	s_delay_alu instid0(VALU_DEP_1)
	v_cmpx_eq_u32_e32 0, v11
	s_cbranch_execz .LBB2_5143
; %bb.5142:                             ;   in Loop: Header=BB2_4220 Depth=2
	v_clz_i32_u32_e32 v11, v83
	s_delay_alu instid0(VALU_DEP_1) | instskip(SKIP_1) | instid1(VALU_DEP_2)
	v_min_u32_e32 v11, 32, v11
	v_mov_b32_e32 v83, v33
	v_subrev_nc_u32_e32 v85, 29, v11
	v_sub_nc_u32_e32 v11, 30, v11
	s_delay_alu instid0(VALU_DEP_2) | instskip(NEXT) | instid1(VALU_DEP_1)
	v_lshlrev_b64_e32 v[82:83], v85, v[82:83]
	v_and_b32_e32 v83, 3, v82
.LBB2_5143:                             ;   in Loop: Header=BB2_4220 Depth=2
	s_or_b32 exec_lo, exec_lo, s40
	v_lshlrev_b32_e32 v82, 16, v103
                                        ; implicit-def: $vgpr103
	s_delay_alu instid0(VALU_DEP_1) | instskip(NEXT) | instid1(VALU_DEP_1)
	v_and_b32_e32 v82, 0x80000000, v82
	v_lshl_add_u32 v11, v11, 23, v82
	s_delay_alu instid0(VALU_DEP_1) | instskip(NEXT) | instid1(VALU_DEP_1)
	v_lshl_or_b32 v11, v83, 21, v11
                                        ; implicit-def: $vgpr83
	v_add_nc_u32_e32 v11, 0x38000000, v11
.LBB2_5144:                             ;   in Loop: Header=BB2_4220 Depth=2
	s_and_not1_saveexec_b32 s29, s29
; %bb.5145:                             ;   in Loop: Header=BB2_4220 Depth=2
	v_cmp_lt_i16_e32 vcc_lo, -1, v103
	v_cndmask_b32_e32 v11, 0xff800000, v45, vcc_lo
	v_cmp_eq_u32_e32 vcc_lo, 0, v83
	s_delay_alu instid0(VALU_DEP_2)
	v_cndmask_b32_e32 v11, 0x7f800001, v11, vcc_lo
; %bb.5146:                             ;   in Loop: Header=BB2_4220 Depth=2
	s_or_b32 exec_lo, exec_lo, s29
.LBB2_5147:                             ;   in Loop: Header=BB2_4220 Depth=2
	s_delay_alu instid0(SALU_CYCLE_1)
	s_or_b32 exec_lo, exec_lo, s28
.LBB2_5148:                             ;   in Loop: Header=BB2_4220 Depth=2
	s_delay_alu instid0(SALU_CYCLE_1) | instskip(SKIP_3) | instid1(VALU_DEP_1)
	s_or_b32 exec_lo, exec_lo, s7
	v_lshrrev_b16 v82, 8, v10
	s_mov_b32 s28, 0
	s_mov_b32 s7, exec_lo
	v_cmpx_lt_i16_e32 0x7f, v82
	s_xor_b32 s7, exec_lo, s7
	s_cbranch_execnz .LBB2_5275
; %bb.5149:                             ;   in Loop: Header=BB2_4220 Depth=2
	s_or_saveexec_b32 s7, s7
	v_bfrev_b32_e32 v83, 1
	s_xor_b32 exec_lo, exec_lo, s7
	s_cbranch_execnz .LBB2_5278
.LBB2_5150:                             ;   in Loop: Header=BB2_4220 Depth=2
	s_or_b32 exec_lo, exec_lo, s7
	s_and_saveexec_b32 s7, s28
	s_cbranch_execz .LBB2_5152
.LBB2_5151:                             ;   in Loop: Header=BB2_4220 Depth=2
	v_and_b32_e32 v85, 0xffff, v82
	s_delay_alu instid0(VALU_DEP_1) | instskip(NEXT) | instid1(VALU_DEP_1)
	v_and_b32_e32 v100, 3, v85
	v_clz_i32_u32_e32 v83, v100
	s_delay_alu instid0(VALU_DEP_1) | instskip(SKIP_1) | instid1(VALU_DEP_2)
	v_min_u32_e32 v103, 32, v83
	v_mov_b32_e32 v83, v33
	v_subrev_nc_u32_e32 v113, 29, v103
	v_sub_nc_u32_e32 v103, 30, v103
	s_delay_alu instid0(VALU_DEP_2) | instskip(SKIP_2) | instid1(VALU_DEP_2)
	v_lshlrev_b64_e32 v[40:41], v113, v[82:83]
	v_bfe_u32 v83, v85, 2, 5
	v_lshlrev_b32_e32 v82, 24, v82
	v_cmp_eq_u32_e32 vcc_lo, 0, v83
	s_delay_alu instid0(VALU_DEP_2) | instskip(SKIP_1) | instid1(VALU_DEP_1)
	v_and_b32_e32 v82, 0x80000000, v82
	v_dual_cndmask_b32 v83, v83, v103, vcc_lo :: v_dual_bitop2_b32 v113, 3, v40 bitop3:0x40
	v_cndmask_b32_e32 v103, v100, v113, vcc_lo
	v_cmp_lt_i16_e32 vcc_lo, -1, v10
	s_delay_alu instid0(VALU_DEP_3) | instskip(SKIP_3) | instid1(VALU_DEP_4)
	v_lshl_add_u32 v82, v83, 23, v82
	v_and_b32_e32 v83, 0x7c, v85
	v_cndmask_b32_e32 v10, 0xff800000, v45, vcc_lo
	v_cmp_eq_u32_e32 vcc_lo, 0, v100
	v_lshl_or_b32 v82, v103, 21, v82
	s_delay_alu instid0(VALU_DEP_3) | instskip(NEXT) | instid1(VALU_DEP_2)
	v_cndmask_b32_e32 v10, 0x7f800001, v10, vcc_lo
	v_add_nc_u32_e32 v82, 0x38000000, v82
	v_cmp_eq_u32_e32 vcc_lo, 0x7c, v83
	s_delay_alu instid0(VALU_DEP_2)
	v_cndmask_b32_e32 v83, v82, v10, vcc_lo
.LBB2_5152:                             ;   in Loop: Header=BB2_4220 Depth=2
	s_or_b32 exec_lo, exec_lo, s7
	s_delay_alu instid0(VALU_DEP_1) | instskip(SKIP_2) | instid1(VALU_DEP_2)
	v_dual_add_f32 v82, v11, v83 :: v_dual_mov_b32 v41, v33
	v_mov_b32_e32 v11, v33
                                        ; implicit-def: $vgpr85
	s_mov_b32 s7, exec_lo
	v_and_b32_e32 v40, 0x7f800000, v82
	v_and_b32_e32 v10, 0x7fffff, v82
	v_lshrrev_b32_e32 v83, 24, v82
	s_delay_alu instid0(VALU_DEP_3)
	v_cmpx_ne_u64_e32 0x7f800000, v[40:41]
	s_xor_b32 s28, exec_lo, s7
	s_cbranch_execz .LBB2_5166
; %bb.5153:                             ;   in Loop: Header=BB2_4220 Depth=2
	v_and_b32_e32 v40, 0x7fffffff, v82
	v_mov_b32_e32 v41, v33
	v_and_b32_e32 v100, 0x80, v83
                                        ; implicit-def: $vgpr85
	s_mov_b32 s7, exec_lo
	s_delay_alu instid0(VALU_DEP_2)
	v_cmpx_gt_u64_e32 0x47600001, v[40:41]
	s_xor_b32 s29, exec_lo, s7
	s_cbranch_execz .LBB2_5163
; %bb.5154:                             ;   in Loop: Header=BB2_4220 Depth=2
	v_mov_b32_e32 v85, 0
	s_mov_b32 s40, exec_lo
	v_cmpx_ne_u32_e32 0, v82
	s_cbranch_execz .LBB2_5162
; %bb.5155:                             ;   in Loop: Header=BB2_4220 Depth=2
	v_bfe_u32 v85, v82, 23, 8
	v_or_b32_e32 v113, 0x800000, v10
	s_delay_alu instid0(VALU_DEP_2) | instskip(SKIP_1) | instid1(VALU_DEP_2)
	v_sub_nc_u32_e32 v82, 0x71, v85
	v_cmp_gt_u32_e32 vcc_lo, 0x72, v85
	v_cndmask_b32_e32 v82, 0, v82, vcc_lo
	v_cmp_eq_u32_e32 vcc_lo, 0, v85
	s_delay_alu instid0(VALU_DEP_2) | instskip(NEXT) | instid1(VALU_DEP_1)
	v_cndmask_b32_e64 v103, v82, 0x70, vcc_lo
	v_dual_cndmask_b32 v10, v113, v10, vcc_lo :: v_dual_add_nc_u32 v82, 21, v103
	v_add_nc_u32_e32 v116, 20, v103
	s_delay_alu instid0(VALU_DEP_2) | instskip(NEXT) | instid1(VALU_DEP_2)
	v_lshlrev_b64_e64 v[82:83], v82, -1
	v_lshlrev_b64_e64 v[40:41], v116, 1
	s_delay_alu instid0(VALU_DEP_2) | instskip(SKIP_1) | instid1(VALU_DEP_4)
	v_bfi_b32 v82, v82, 0, v10
	v_lshrrev_b64 v[10:11], v103, v[10:11]
	v_bfi_b32 v83, v83, 0, 0
	s_delay_alu instid0(VALU_DEP_1) | instskip(NEXT) | instid1(VALU_DEP_3)
	v_cmp_eq_u64_e64 s7, v[82:83], v[40:41]
	v_mov_b64_e32 v[82:83], v[10:11]
	s_and_saveexec_b32 s41, s7
; %bb.5156:                             ;   in Loop: Header=BB2_4220 Depth=2
	v_bfe_u32 v82, v10, 21, 1
	v_mov_b32_e32 v83, v33
	s_delay_alu instid0(VALU_DEP_1) | instskip(NEXT) | instid1(VALU_DEP_1)
	v_add_nc_u64_e32 v[82:83], v[10:11], v[82:83]
	v_add_nc_u64_e32 v[82:83], -1, v[82:83]
; %bb.5157:                             ;   in Loop: Header=BB2_4220 Depth=2
	s_or_b32 exec_lo, exec_lo, s41
	v_add_nc_u32_e32 v11, 0xffffff81, v85
	v_lshrrev_b32_e32 v83, 23, v10
	s_mov_b32 s7, exec_lo
	s_delay_alu instid0(VALU_DEP_2) | instskip(NEXT) | instid1(VALU_DEP_1)
	v_cndmask_b32_e64 v11, v11, 0xffffff82, vcc_lo
	v_add3_u32 v83, v103, v11, v83
	v_and_b32_e32 v11, 0x1fffff, v82
                                        ; implicit-def: $vgpr82
	s_delay_alu instid0(VALU_DEP_1) | instskip(SKIP_1) | instid1(VALU_DEP_2)
	v_dual_add_nc_u32 v85, 14, v83 :: v_dual_add_nc_u32 v10, v11, v10
	v_mov_b32_e32 v11, v33
	v_cmpx_ne_u32_e32 0, v85
	s_xor_b32 s7, exec_lo, s7
; %bb.5158:                             ;   in Loop: Header=BB2_4220 Depth=2
	s_delay_alu instid0(VALU_DEP_2) | instskip(SKIP_2) | instid1(VALU_DEP_2)
	v_cmp_lt_u64_e32 vcc_lo, 0xffffff, v[10:11]
	v_add_nc_u32_e32 v82, 15, v83
	v_cndmask_b32_e64 v83, 0, 1, vcc_lo
	v_cndmask_b32_e32 v82, v85, v82, vcc_lo
	s_delay_alu instid0(VALU_DEP_2)
	v_lshrrev_b64 v[10:11], v83, v[10:11]
; %bb.5159:                             ;   in Loop: Header=BB2_4220 Depth=2
	s_and_not1_saveexec_b32 s7, s7
; %bb.5160:                             ;   in Loop: Header=BB2_4220 Depth=2
	s_delay_alu instid0(VALU_DEP_1)
	v_bfe_u32 v82, v10, 23, 1
; %bb.5161:                             ;   in Loop: Header=BB2_4220 Depth=2
	s_or_b32 exec_lo, exec_lo, s7
	s_delay_alu instid0(VALU_DEP_2) | instskip(NEXT) | instid1(VALU_DEP_2)
	v_lshrrev_b64 v[10:11], 21, v[10:11]
	v_cmp_gt_i32_e32 vcc_lo, 32, v82
	v_min_i32_e32 v83, 31, v82
	v_cmp_eq_u32_e64 s7, 0, v82
	s_delay_alu instid0(VALU_DEP_4) | instskip(NEXT) | instid1(VALU_DEP_3)
	v_cndmask_b32_e32 v11, 0, v11, vcc_lo
	v_dual_cndmask_b32 v10, 3, v10 :: v_dual_lshlrev_b32 v83, 2, v83
	s_delay_alu instid0(VALU_DEP_1) | instskip(NEXT) | instid1(VALU_DEP_2)
	v_and_b32_e32 v83, 0xfc, v83
	v_cmp_eq_u64_e32 vcc_lo, 0, v[10:11]
	s_delay_alu instid0(VALU_DEP_2)
	v_and_or_b32 v10, v10, 3, v83
	s_and_b32 s7, s7, vcc_lo
	s_delay_alu instid0(VALU_DEP_1) | instid1(SALU_CYCLE_1)
	v_cndmask_b32_e64 v10, v10, 0, s7
	s_delay_alu instid0(VALU_DEP_1)
	v_or_b32_e32 v85, v10, v100
.LBB2_5162:                             ;   in Loop: Header=BB2_4220 Depth=2
	s_or_b32 exec_lo, exec_lo, s40
                                        ; implicit-def: $vgpr100
.LBB2_5163:                             ;   in Loop: Header=BB2_4220 Depth=2
	s_and_not1_saveexec_b32 s7, s29
; %bb.5164:                             ;   in Loop: Header=BB2_4220 Depth=2
	v_or_b32_e32 v85, 0x7b, v100
; %bb.5165:                             ;   in Loop: Header=BB2_4220 Depth=2
	s_or_b32 exec_lo, exec_lo, s7
                                        ; implicit-def: $vgpr82
                                        ; implicit-def: $vgpr10_vgpr11
                                        ; implicit-def: $vgpr83
.LBB2_5166:                             ;   in Loop: Header=BB2_4220 Depth=2
	s_and_not1_saveexec_b32 s7, s28
	s_cbranch_execz .LBB2_5172
; %bb.5167:                             ;   in Loop: Header=BB2_4220 Depth=2
	s_mov_b32 s28, exec_lo
                                        ; implicit-def: $vgpr85
	v_cmpx_ne_u64_e32 0, v[10:11]
	s_xor_b32 s28, exec_lo, s28
; %bb.5168:                             ;   in Loop: Header=BB2_4220 Depth=2
	v_or_b32_e32 v85, 0x7f, v83
                                        ; implicit-def: $vgpr82
; %bb.5169:                             ;   in Loop: Header=BB2_4220 Depth=2
	s_and_not1_saveexec_b32 s28, s28
; %bb.5170:                             ;   in Loop: Header=BB2_4220 Depth=2
	v_cmp_lt_i32_e32 vcc_lo, -1, v82
	v_cndmask_b32_e32 v85, 0xfc, v46, vcc_lo
; %bb.5171:                             ;   in Loop: Header=BB2_4220 Depth=2
	s_or_b32 exec_lo, exec_lo, s28
.LBB2_5172:                             ;   in Loop: Header=BB2_4220 Depth=2
	s_delay_alu instid0(SALU_CYCLE_1) | instskip(SKIP_2) | instid1(VALU_DEP_1)
	s_or_b32 exec_lo, exec_lo, s7
	v_dual_mov_b32 v11, 0 :: v_dual_lshrrev_b32 v10, 16, v32
	s_mov_b32 s7, exec_lo
	v_and_b32_e32 v82, 0xff, v10
	s_delay_alu instid0(VALU_DEP_1)
	v_cmpx_ne_u16_e32 0, v82
	s_cbranch_execz .LBB2_5182
; %bb.5173:                             ;   in Loop: Header=BB2_4220 Depth=2
	v_bfrev_b32_e32 v11, 1
	s_mov_b32 s28, exec_lo
	v_cmpx_ne_u16_e32 0x80, v82
	s_cbranch_execz .LBB2_5181
; %bb.5174:                             ;   in Loop: Header=BB2_4220 Depth=2
	v_and_b32_e32 v11, 0x7c0000, v32
	v_bfe_u32 v82, v32, 16, 2
	s_delay_alu instid0(VALU_DEP_2) | instskip(SKIP_1) | instid1(SALU_CYCLE_1)
	v_cmp_ne_u32_e32 vcc_lo, 0x7c0000, v11
                                        ; implicit-def: $vgpr11
	s_and_saveexec_b32 s29, vcc_lo
	s_xor_b32 s29, exec_lo, s29
	s_cbranch_execz .LBB2_5178
; %bb.5175:                             ;   in Loop: Header=BB2_4220 Depth=2
	v_bfe_u32 v11, v32, 18, 5
	s_mov_b32 s40, exec_lo
	s_delay_alu instid0(VALU_DEP_1)
	v_cmpx_eq_u32_e32 0, v11
; %bb.5176:                             ;   in Loop: Header=BB2_4220 Depth=2
	v_clz_i32_u32_e32 v11, v82
	s_delay_alu instid0(VALU_DEP_1) | instskip(NEXT) | instid1(VALU_DEP_1)
	v_min_u32_e32 v11, 32, v11
	v_subrev_nc_u32_e32 v82, 29, v11
	s_delay_alu instid0(VALU_DEP_1) | instskip(NEXT) | instid1(VALU_DEP_1)
	v_lshlrev_b64_e32 v[82:83], v82, v[10:11]
	v_dual_sub_nc_u32 v11, 30, v11 :: v_dual_bitop2_b32 v82, 3, v82 bitop3:0x40
; %bb.5177:                             ;   in Loop: Header=BB2_4220 Depth=2
	s_or_b32 exec_lo, exec_lo, s40
	v_lshlrev_b32_e32 v10, 24, v10
	s_delay_alu instid0(VALU_DEP_1) | instskip(NEXT) | instid1(VALU_DEP_1)
	v_and_b32_e32 v10, 0x80000000, v10
	v_lshl_add_u32 v10, v11, 23, v10
	s_delay_alu instid0(VALU_DEP_1) | instskip(NEXT) | instid1(VALU_DEP_1)
	v_lshl_or_b32 v10, v82, 21, v10
                                        ; implicit-def: $vgpr82
	v_add_nc_u32_e32 v11, 0x38000000, v10
                                        ; implicit-def: $vgpr10
.LBB2_5178:                             ;   in Loop: Header=BB2_4220 Depth=2
	s_and_not1_saveexec_b32 s29, s29
; %bb.5179:                             ;   in Loop: Header=BB2_4220 Depth=2
	v_bfe_i32 v10, v10, 0, 8
	s_delay_alu instid0(VALU_DEP_1) | instskip(SKIP_2) | instid1(VALU_DEP_2)
	v_cmp_lt_i16_e32 vcc_lo, -1, v10
	v_cndmask_b32_e32 v10, 0xff800000, v45, vcc_lo
	v_cmp_eq_u32_e32 vcc_lo, 0, v82
	v_cndmask_b32_e32 v11, 0x7f800001, v10, vcc_lo
; %bb.5180:                             ;   in Loop: Header=BB2_4220 Depth=2
	s_or_b32 exec_lo, exec_lo, s29
.LBB2_5181:                             ;   in Loop: Header=BB2_4220 Depth=2
	s_delay_alu instid0(SALU_CYCLE_1)
	s_or_b32 exec_lo, exec_lo, s28
.LBB2_5182:                             ;   in Loop: Header=BB2_4220 Depth=2
	s_delay_alu instid0(SALU_CYCLE_1) | instskip(SKIP_3) | instid1(VALU_DEP_1)
	s_or_b32 exec_lo, exec_lo, s7
	v_lshrrev_b32_e32 v10, 16, v13
	s_mov_b32 s28, 0
	s_mov_b32 s7, exec_lo
	v_and_b32_e32 v83, 0xff, v10
	s_delay_alu instid0(VALU_DEP_1)
	v_cmpx_lt_i16_e32 0x7f, v83
	s_xor_b32 s7, exec_lo, s7
	s_cbranch_execnz .LBB2_5279
; %bb.5183:                             ;   in Loop: Header=BB2_4220 Depth=2
	s_or_saveexec_b32 s7, s7
	v_bfrev_b32_e32 v82, 1
	s_xor_b32 exec_lo, exec_lo, s7
	s_cbranch_execnz .LBB2_5282
.LBB2_5184:                             ;   in Loop: Header=BB2_4220 Depth=2
	s_or_b32 exec_lo, exec_lo, s7
	s_and_saveexec_b32 s7, s28
	s_cbranch_execz .LBB2_5186
.LBB2_5185:                             ;   in Loop: Header=BB2_4220 Depth=2
	v_and_b32_e32 v100, 3, v10
	v_bfe_u32 v113, v13, 18, 5
	s_delay_alu instid0(VALU_DEP_2) | instskip(NEXT) | instid1(VALU_DEP_2)
	v_clz_i32_u32_e32 v82, v100
	v_cmp_eq_u32_e32 vcc_lo, 0, v113
	s_delay_alu instid0(VALU_DEP_2) | instskip(NEXT) | instid1(VALU_DEP_1)
	v_min_u32_e32 v103, 32, v82
	v_subrev_nc_u32_e32 v82, 29, v103
	s_delay_alu instid0(VALU_DEP_1) | instskip(SKIP_2) | instid1(VALU_DEP_2)
	v_lshlrev_b64_e32 v[82:83], v82, v[10:11]
	v_dual_lshlrev_b32 v83, 24, v10 :: v_dual_sub_nc_u32 v103, 30, v103
	v_bfe_i32 v10, v10, 0, 8
	v_and_b32_e32 v83, 0x80000000, v83
	s_delay_alu instid0(VALU_DEP_3) | instskip(NEXT) | instid1(VALU_DEP_1)
	v_dual_cndmask_b32 v103, v113, v103, vcc_lo :: v_dual_bitop2_b32 v82, 3, v82 bitop3:0x40
	v_cndmask_b32_e32 v82, v100, v82, vcc_lo
	s_delay_alu instid0(VALU_DEP_2) | instskip(SKIP_1) | instid1(VALU_DEP_2)
	v_lshl_add_u32 v83, v103, 23, v83
	v_cmp_lt_i16_e32 vcc_lo, -1, v10
	v_lshl_or_b32 v82, v82, 21, v83
	v_cndmask_b32_e32 v10, 0xff800000, v45, vcc_lo
	v_and_b32_e32 v83, 0x7c0000, v13
	v_cmp_eq_u32_e32 vcc_lo, 0, v100
	s_delay_alu instid0(VALU_DEP_4) | instskip(NEXT) | instid1(VALU_DEP_4)
	v_add_nc_u32_e32 v82, 0x38000000, v82
	v_cndmask_b32_e32 v10, 0x7f800001, v10, vcc_lo
	s_delay_alu instid0(VALU_DEP_4) | instskip(NEXT) | instid1(VALU_DEP_2)
	v_cmp_eq_u32_e32 vcc_lo, 0x7c0000, v83
	v_cndmask_b32_e32 v82, v82, v10, vcc_lo
.LBB2_5186:                             ;   in Loop: Header=BB2_4220 Depth=2
	s_or_b32 exec_lo, exec_lo, s7
	s_delay_alu instid0(VALU_DEP_1) | instskip(SKIP_2) | instid1(VALU_DEP_2)
	v_dual_add_f32 v83, v11, v82 :: v_dual_mov_b32 v41, v33
	v_mov_b32_e32 v11, v33
                                        ; implicit-def: $vgpr82
	s_mov_b32 s7, exec_lo
	v_and_b32_e32 v40, 0x7f800000, v83
	v_and_b32_e32 v10, 0x7fffff, v83
	v_lshrrev_b32_e32 v100, 24, v83
	s_delay_alu instid0(VALU_DEP_3)
	v_cmpx_ne_u64_e32 0x7f800000, v[40:41]
	s_xor_b32 s28, exec_lo, s7
	s_cbranch_execz .LBB2_5200
; %bb.5187:                             ;   in Loop: Header=BB2_4220 Depth=2
	v_and_b32_e32 v40, 0x7fffffff, v83
	v_mov_b32_e32 v41, v33
	v_and_b32_e32 v100, 0x80, v100
                                        ; implicit-def: $vgpr82
	s_mov_b32 s7, exec_lo
	s_delay_alu instid0(VALU_DEP_2)
	v_cmpx_gt_u64_e32 0x47600001, v[40:41]
	s_xor_b32 s29, exec_lo, s7
	s_cbranch_execz .LBB2_5197
; %bb.5188:                             ;   in Loop: Header=BB2_4220 Depth=2
	v_mov_b32_e32 v82, 0
	s_mov_b32 s40, exec_lo
	v_cmpx_ne_u32_e32 0, v83
	s_cbranch_execz .LBB2_5196
; %bb.5189:                             ;   in Loop: Header=BB2_4220 Depth=2
	v_bfe_u32 v103, v83, 23, 8
	v_or_b32_e32 v116, 0x800000, v10
	s_delay_alu instid0(VALU_DEP_2) | instskip(SKIP_1) | instid1(VALU_DEP_2)
	v_sub_nc_u32_e32 v82, 0x71, v103
	v_cmp_gt_u32_e32 vcc_lo, 0x72, v103
	v_cndmask_b32_e32 v82, 0, v82, vcc_lo
	v_cmp_eq_u32_e32 vcc_lo, 0, v103
	s_delay_alu instid0(VALU_DEP_2) | instskip(NEXT) | instid1(VALU_DEP_1)
	v_cndmask_b32_e64 v113, v82, 0x70, vcc_lo
	v_dual_cndmask_b32 v10, v116, v10, vcc_lo :: v_dual_add_nc_u32 v82, 21, v113
	v_add_nc_u32_e32 v40, 20, v113
	s_delay_alu instid0(VALU_DEP_2) | instskip(NEXT) | instid1(VALU_DEP_2)
	v_lshlrev_b64_e64 v[82:83], v82, -1
	v_lshlrev_b64_e64 v[40:41], v40, 1
	s_delay_alu instid0(VALU_DEP_2) | instskip(SKIP_1) | instid1(VALU_DEP_4)
	v_bfi_b32 v82, v82, 0, v10
	v_lshrrev_b64 v[10:11], v113, v[10:11]
	v_bfi_b32 v83, v83, 0, 0
	s_delay_alu instid0(VALU_DEP_1) | instskip(NEXT) | instid1(VALU_DEP_3)
	v_cmp_eq_u64_e64 s7, v[82:83], v[40:41]
	v_mov_b64_e32 v[82:83], v[10:11]
	s_and_saveexec_b32 s41, s7
; %bb.5190:                             ;   in Loop: Header=BB2_4220 Depth=2
	v_bfe_u32 v82, v10, 21, 1
	v_mov_b32_e32 v83, v33
	s_delay_alu instid0(VALU_DEP_1) | instskip(NEXT) | instid1(VALU_DEP_1)
	v_add_nc_u64_e32 v[82:83], v[10:11], v[82:83]
	v_add_nc_u64_e32 v[82:83], -1, v[82:83]
; %bb.5191:                             ;   in Loop: Header=BB2_4220 Depth=2
	s_or_b32 exec_lo, exec_lo, s41
	v_add_nc_u32_e32 v11, 0xffffff81, v103
	v_lshrrev_b32_e32 v83, 23, v10
	s_mov_b32 s7, exec_lo
	s_delay_alu instid0(VALU_DEP_2) | instskip(NEXT) | instid1(VALU_DEP_1)
	v_cndmask_b32_e64 v11, v11, 0xffffff82, vcc_lo
	v_add3_u32 v83, v113, v11, v83
	v_and_b32_e32 v11, 0x1fffff, v82
                                        ; implicit-def: $vgpr82
	s_delay_alu instid0(VALU_DEP_1) | instskip(SKIP_1) | instid1(VALU_DEP_2)
	v_dual_add_nc_u32 v103, 14, v83 :: v_dual_add_nc_u32 v10, v11, v10
	v_mov_b32_e32 v11, v33
	v_cmpx_ne_u32_e32 0, v103
	s_xor_b32 s7, exec_lo, s7
; %bb.5192:                             ;   in Loop: Header=BB2_4220 Depth=2
	s_delay_alu instid0(VALU_DEP_2) | instskip(SKIP_2) | instid1(VALU_DEP_2)
	v_cmp_lt_u64_e32 vcc_lo, 0xffffff, v[10:11]
	v_add_nc_u32_e32 v82, 15, v83
	v_cndmask_b32_e64 v83, 0, 1, vcc_lo
	v_cndmask_b32_e32 v82, v103, v82, vcc_lo
	s_delay_alu instid0(VALU_DEP_2)
	v_lshrrev_b64 v[10:11], v83, v[10:11]
; %bb.5193:                             ;   in Loop: Header=BB2_4220 Depth=2
	s_and_not1_saveexec_b32 s7, s7
; %bb.5194:                             ;   in Loop: Header=BB2_4220 Depth=2
	s_delay_alu instid0(VALU_DEP_1)
	v_bfe_u32 v82, v10, 23, 1
; %bb.5195:                             ;   in Loop: Header=BB2_4220 Depth=2
	s_or_b32 exec_lo, exec_lo, s7
	s_delay_alu instid0(VALU_DEP_2) | instskip(NEXT) | instid1(VALU_DEP_2)
	v_lshrrev_b64 v[10:11], 21, v[10:11]
	v_cmp_gt_i32_e32 vcc_lo, 32, v82
	v_min_i32_e32 v83, 31, v82
	v_cmp_eq_u32_e64 s7, 0, v82
	s_delay_alu instid0(VALU_DEP_4) | instskip(NEXT) | instid1(VALU_DEP_3)
	v_cndmask_b32_e32 v11, 0, v11, vcc_lo
	v_dual_cndmask_b32 v10, 3, v10 :: v_dual_lshlrev_b32 v83, 2, v83
	s_delay_alu instid0(VALU_DEP_1) | instskip(NEXT) | instid1(VALU_DEP_2)
	v_and_b32_e32 v83, 0xfc, v83
	v_cmp_eq_u64_e32 vcc_lo, 0, v[10:11]
	s_delay_alu instid0(VALU_DEP_2)
	v_and_or_b32 v10, v10, 3, v83
	s_and_b32 s7, s7, vcc_lo
	s_delay_alu instid0(VALU_DEP_1) | instid1(SALU_CYCLE_1)
	v_cndmask_b32_e64 v10, v10, 0, s7
	s_delay_alu instid0(VALU_DEP_1)
	v_or_b32_e32 v82, v10, v100
.LBB2_5196:                             ;   in Loop: Header=BB2_4220 Depth=2
	s_or_b32 exec_lo, exec_lo, s40
                                        ; implicit-def: $vgpr100
.LBB2_5197:                             ;   in Loop: Header=BB2_4220 Depth=2
	s_and_not1_saveexec_b32 s7, s29
; %bb.5198:                             ;   in Loop: Header=BB2_4220 Depth=2
	v_or_b32_e32 v82, 0x7b, v100
; %bb.5199:                             ;   in Loop: Header=BB2_4220 Depth=2
	s_or_b32 exec_lo, exec_lo, s7
                                        ; implicit-def: $vgpr83
                                        ; implicit-def: $vgpr10_vgpr11
                                        ; implicit-def: $vgpr100
.LBB2_5200:                             ;   in Loop: Header=BB2_4220 Depth=2
	s_and_not1_saveexec_b32 s7, s28
	s_cbranch_execz .LBB2_5206
; %bb.5201:                             ;   in Loop: Header=BB2_4220 Depth=2
	s_mov_b32 s28, exec_lo
                                        ; implicit-def: $vgpr82
	v_cmpx_ne_u64_e32 0, v[10:11]
	s_xor_b32 s28, exec_lo, s28
; %bb.5202:                             ;   in Loop: Header=BB2_4220 Depth=2
	v_or_b32_e32 v82, 0x7f, v100
                                        ; implicit-def: $vgpr83
; %bb.5203:                             ;   in Loop: Header=BB2_4220 Depth=2
	s_and_not1_saveexec_b32 s28, s28
; %bb.5204:                             ;   in Loop: Header=BB2_4220 Depth=2
	v_cmp_lt_i32_e32 vcc_lo, -1, v83
	v_cndmask_b32_e32 v82, 0xfc, v46, vcc_lo
; %bb.5205:                             ;   in Loop: Header=BB2_4220 Depth=2
	s_or_b32 exec_lo, exec_lo, s28
.LBB2_5206:                             ;   in Loop: Header=BB2_4220 Depth=2
	s_delay_alu instid0(SALU_CYCLE_1)
	s_or_b32 exec_lo, exec_lo, s7
	v_mov_b32_e32 v11, 0
	s_mov_b32 s7, exec_lo
	v_cmpx_lt_u32_e32 0xffffff, v32
	s_cbranch_execz .LBB2_5216
; %bb.5207:                             ;   in Loop: Header=BB2_4220 Depth=2
	v_lshrrev_b32_e32 v10, 24, v32
	v_bfrev_b32_e32 v11, 1
	s_mov_b32 s28, exec_lo
	s_delay_alu instid0(VALU_DEP_2)
	v_cmpx_ne_u32_e32 0x80, v10
	s_cbranch_execz .LBB2_5215
; %bb.5208:                             ;   in Loop: Header=BB2_4220 Depth=2
	v_and_b32_e32 v11, 0x7c000000, v32
	v_bfe_u32 v83, v32, 24, 2
	s_delay_alu instid0(VALU_DEP_2) | instskip(SKIP_1) | instid1(SALU_CYCLE_1)
	v_cmp_ne_u32_e32 vcc_lo, 0x7c000000, v11
                                        ; implicit-def: $vgpr11
	s_and_saveexec_b32 s29, vcc_lo
	s_xor_b32 s29, exec_lo, s29
	s_cbranch_execz .LBB2_5212
; %bb.5209:                             ;   in Loop: Header=BB2_4220 Depth=2
	v_bfe_u32 v11, v32, 26, 5
	s_mov_b32 s40, exec_lo
	s_delay_alu instid0(VALU_DEP_1)
	v_cmpx_eq_u32_e32 0, v11
; %bb.5210:                             ;   in Loop: Header=BB2_4220 Depth=2
	v_clz_i32_u32_e32 v11, v83
	s_delay_alu instid0(VALU_DEP_1) | instskip(NEXT) | instid1(VALU_DEP_1)
	v_min_u32_e32 v83, 32, v11
	v_subrev_nc_u32_e32 v11, 29, v83
	s_delay_alu instid0(VALU_DEP_1) | instskip(NEXT) | instid1(VALU_DEP_1)
	v_lshlrev_b64_e32 v[10:11], v11, v[10:11]
	v_dual_sub_nc_u32 v11, 30, v83 :: v_dual_bitop2_b32 v83, 3, v10 bitop3:0x40
; %bb.5211:                             ;   in Loop: Header=BB2_4220 Depth=2
	s_or_b32 exec_lo, exec_lo, s40
	v_and_b32_e32 v10, 0x80000000, v32
	s_delay_alu instid0(VALU_DEP_1) | instskip(NEXT) | instid1(VALU_DEP_1)
	v_lshl_add_u32 v10, v11, 23, v10
	v_lshl_or_b32 v10, v83, 21, v10
                                        ; implicit-def: $vgpr83
	s_delay_alu instid0(VALU_DEP_1)
	v_add_nc_u32_e32 v11, 0x38000000, v10
.LBB2_5212:                             ;   in Loop: Header=BB2_4220 Depth=2
	s_and_not1_saveexec_b32 s29, s29
; %bb.5213:                             ;   in Loop: Header=BB2_4220 Depth=2
	v_cmp_lt_i32_e32 vcc_lo, -1, v32
	v_cndmask_b32_e32 v10, 0xff800000, v45, vcc_lo
	v_cmp_eq_u32_e32 vcc_lo, 0, v83
	s_delay_alu instid0(VALU_DEP_2)
	v_cndmask_b32_e32 v11, 0x7f800001, v10, vcc_lo
; %bb.5214:                             ;   in Loop: Header=BB2_4220 Depth=2
	s_or_b32 exec_lo, exec_lo, s29
.LBB2_5215:                             ;   in Loop: Header=BB2_4220 Depth=2
	s_delay_alu instid0(SALU_CYCLE_1)
	s_or_b32 exec_lo, exec_lo, s28
.LBB2_5216:                             ;   in Loop: Header=BB2_4220 Depth=2
	s_delay_alu instid0(SALU_CYCLE_1) | instskip(SKIP_2) | instid1(VALU_DEP_2)
	s_or_b32 exec_lo, exec_lo, s7
	v_bfe_u32 v32, v13, 24, 2
	v_bfe_u32 v103, v13, 26, 5
	v_clz_i32_u32_e32 v10, v32
	s_delay_alu instid0(VALU_DEP_2) | instskip(NEXT) | instid1(VALU_DEP_2)
	v_cmp_eq_u32_e32 vcc_lo, 0, v103
	v_min_u32_e32 v83, 32, v10
	v_lshrrev_b32_e32 v10, 24, v13
	s_delay_alu instid0(VALU_DEP_2) | instskip(SKIP_1) | instid1(VALU_DEP_2)
	v_subrev_nc_u32_e32 v100, 29, v83
	v_sub_nc_u32_e32 v83, 30, v83
	v_lshlrev_b64_e32 v[40:41], v100, v[10:11]
	v_and_b32_e32 v100, 0x80000000, v13
	s_delay_alu instid0(VALU_DEP_2) | instskip(NEXT) | instid1(VALU_DEP_1)
	v_dual_cndmask_b32 v83, v103, v83, vcc_lo :: v_dual_bitop2_b32 v103, 3, v40 bitop3:0x40
	v_lshl_add_u32 v83, v83, 23, v100
	s_delay_alu instid0(VALU_DEP_2) | instskip(SKIP_1) | instid1(VALU_DEP_2)
	v_cndmask_b32_e32 v100, v32, v103, vcc_lo
	v_cmp_lt_i64_e32 vcc_lo, -1, v[12:13]
	v_lshl_or_b32 v83, v100, 21, v83
	v_and_b32_e32 v100, 0x7c000000, v13
	v_cndmask_b32_e32 v103, 0xff800000, v45, vcc_lo
	v_cmp_eq_u32_e32 vcc_lo, 0, v32
	s_delay_alu instid0(VALU_DEP_4) | instskip(NEXT) | instid1(VALU_DEP_3)
	v_add_nc_u32_e32 v83, 0x38000000, v83
	v_cndmask_b32_e32 v32, 0x7f800001, v103, vcc_lo
	v_cmp_eq_u32_e32 vcc_lo, 0x7c000000, v100
	s_delay_alu instid0(VALU_DEP_2) | instskip(SKIP_1) | instid1(VALU_DEP_2)
	v_cndmask_b32_e32 v32, v83, v32, vcc_lo
	v_cmp_ne_u32_e32 vcc_lo, 0x80, v10
	v_cndmask_b32_e32 v10, 0x80000000, v32, vcc_lo
	v_cmp_lt_u64_e32 vcc_lo, s[12:13], v[12:13]
	s_delay_alu instid0(VALU_DEP_2) | instskip(NEXT) | instid1(VALU_DEP_1)
	v_dual_mov_b32 v13, v33 :: v_dual_cndmask_b32 v10, 0, v10
	v_add_f32_e32 v11, v10, v11
                                        ; implicit-def: $vgpr10
	s_delay_alu instid0(VALU_DEP_1) | instskip(SKIP_1) | instid1(VALU_DEP_2)
	v_and_b32_e32 v12, 0x7f800000, v11
	v_and_b32_e32 v32, 0x7fffff, v11
	v_cmp_ne_u64_e32 vcc_lo, 0x7f800000, v[12:13]
	v_lshrrev_b32_e32 v12, 24, v11
	s_and_saveexec_b32 s7, vcc_lo
	s_delay_alu instid0(SALU_CYCLE_1)
	s_xor_b32 s28, exec_lo, s7
	s_cbranch_execz .LBB2_5230
; %bb.5217:                             ;   in Loop: Header=BB2_4220 Depth=2
	v_and_b32_e32 v40, 0x7fffffff, v11
	v_mov_b32_e32 v41, v33
	v_and_b32_e32 v83, 0x80, v12
                                        ; implicit-def: $vgpr10
	s_mov_b32 s7, exec_lo
	s_delay_alu instid0(VALU_DEP_2)
	v_cmpx_gt_u64_e32 0x47600001, v[40:41]
	s_xor_b32 s29, exec_lo, s7
	s_cbranch_execz .LBB2_5227
; %bb.5218:                             ;   in Loop: Header=BB2_4220 Depth=2
	v_mov_b32_e32 v10, 0
	s_mov_b32 s40, exec_lo
	v_cmpx_ne_u32_e32 0, v11
	s_cbranch_execz .LBB2_5226
; %bb.5219:                             ;   in Loop: Header=BB2_4220 Depth=2
	v_bfe_u32 v100, v11, 23, 8
	v_or_b32_e32 v12, 0x800000, v32
	s_delay_alu instid0(VALU_DEP_2) | instskip(SKIP_1) | instid1(VALU_DEP_2)
	v_sub_nc_u32_e32 v10, 0x71, v100
	v_cmp_gt_u32_e32 vcc_lo, 0x72, v100
	v_cndmask_b32_e32 v10, 0, v10, vcc_lo
	v_cmp_eq_u32_e32 vcc_lo, 0, v100
	s_delay_alu instid0(VALU_DEP_2) | instskip(NEXT) | instid1(VALU_DEP_1)
	v_cndmask_b32_e64 v103, v10, 0x70, vcc_lo
	v_dual_cndmask_b32 v32, v12, v32, vcc_lo :: v_dual_add_nc_u32 v10, 21, v103
	v_add_nc_u32_e32 v13, 20, v103
	s_delay_alu instid0(VALU_DEP_2) | instskip(NEXT) | instid1(VALU_DEP_2)
	v_lshlrev_b64_e64 v[10:11], v10, -1
	v_lshlrev_b64_e64 v[12:13], v13, 1
	s_delay_alu instid0(VALU_DEP_2) | instskip(NEXT) | instid1(VALU_DEP_3)
	v_bfi_b32 v41, v11, 0, 0
	v_bfi_b32 v40, v10, 0, v32
	v_lshrrev_b64 v[10:11], v103, v[32:33]
	s_delay_alu instid0(VALU_DEP_2) | instskip(NEXT) | instid1(VALU_DEP_2)
	v_cmp_eq_u64_e64 s7, v[40:41], v[12:13]
	v_mov_b64_e32 v[12:13], v[10:11]
	s_and_saveexec_b32 s41, s7
; %bb.5220:                             ;   in Loop: Header=BB2_4220 Depth=2
	v_bfe_u32 v32, v10, 21, 1
	s_delay_alu instid0(VALU_DEP_1) | instskip(NEXT) | instid1(VALU_DEP_1)
	v_add_nc_u64_e32 v[12:13], v[10:11], v[32:33]
	v_add_nc_u64_e32 v[12:13], -1, v[12:13]
; %bb.5221:                             ;   in Loop: Header=BB2_4220 Depth=2
	s_or_b32 exec_lo, exec_lo, s41
	v_add_nc_u32_e32 v11, 0xffffff81, v100
	v_lshrrev_b32_e32 v13, 23, v10
	s_mov_b32 s7, exec_lo
	s_delay_alu instid0(VALU_DEP_2) | instskip(NEXT) | instid1(VALU_DEP_1)
	v_cndmask_b32_e64 v11, v11, 0xffffff82, vcc_lo
	v_add3_u32 v13, v103, v11, v13
	v_and_b32_e32 v11, 0x1fffff, v12
                                        ; implicit-def: $vgpr12
	s_delay_alu instid0(VALU_DEP_1) | instskip(NEXT) | instid1(VALU_DEP_1)
	v_dual_add_nc_u32 v100, 14, v13 :: v_dual_add_nc_u32 v32, v11, v10
                                        ; implicit-def: $vgpr10_vgpr11
	v_cmpx_ne_u32_e32 0, v100
	s_xor_b32 s7, exec_lo, s7
; %bb.5222:                             ;   in Loop: Header=BB2_4220 Depth=2
	s_delay_alu instid0(VALU_DEP_2) | instskip(SKIP_1) | instid1(VALU_DEP_1)
	v_cmp_lt_u64_e32 vcc_lo, 0xffffff, v[32:33]
	v_add_nc_u32_e32 v10, 15, v13
	v_cndmask_b32_e32 v12, v100, v10, vcc_lo
	v_cndmask_b32_e64 v10, 0, 1, vcc_lo
	s_delay_alu instid0(VALU_DEP_1)
	v_lshrrev_b64 v[10:11], v10, v[32:33]
; %bb.5223:                             ;   in Loop: Header=BB2_4220 Depth=2
	s_and_not1_saveexec_b32 s7, s7
; %bb.5224:                             ;   in Loop: Header=BB2_4220 Depth=2
	v_mov_b64_e32 v[10:11], v[32:33]
	v_bfe_u32 v12, v32, 23, 1
; %bb.5225:                             ;   in Loop: Header=BB2_4220 Depth=2
	s_or_b32 exec_lo, exec_lo, s7
	s_delay_alu instid0(VALU_DEP_2) | instskip(NEXT) | instid1(VALU_DEP_2)
	v_lshrrev_b64 v[10:11], 21, v[10:11]
	v_cmp_gt_i32_e32 vcc_lo, 32, v12
	v_min_i32_e32 v13, 31, v12
	v_cmp_eq_u32_e64 s7, 0, v12
	s_delay_alu instid0(VALU_DEP_2) | instskip(SKIP_1) | instid1(VALU_DEP_2)
	v_dual_cndmask_b32 v11, 0, v11, vcc_lo :: v_dual_lshlrev_b32 v13, 2, v13
	v_cndmask_b32_e32 v10, 3, v10, vcc_lo
	v_and_b32_e32 v13, 0xfc, v13
	s_delay_alu instid0(VALU_DEP_2) | instskip(NEXT) | instid1(VALU_DEP_2)
	v_cmp_eq_u64_e32 vcc_lo, 0, v[10:11]
	v_and_or_b32 v10, v10, 3, v13
	s_and_b32 s7, s7, vcc_lo
	s_delay_alu instid0(VALU_DEP_1) | instid1(SALU_CYCLE_1)
	v_cndmask_b32_e64 v10, v10, 0, s7
	s_delay_alu instid0(VALU_DEP_1)
	v_or_b32_e32 v10, v10, v83
.LBB2_5226:                             ;   in Loop: Header=BB2_4220 Depth=2
	s_or_b32 exec_lo, exec_lo, s40
                                        ; implicit-def: $vgpr83
.LBB2_5227:                             ;   in Loop: Header=BB2_4220 Depth=2
	s_and_not1_saveexec_b32 s7, s29
; %bb.5228:                             ;   in Loop: Header=BB2_4220 Depth=2
	v_or_b32_e32 v10, 0x7b, v83
; %bb.5229:                             ;   in Loop: Header=BB2_4220 Depth=2
	s_or_b32 exec_lo, exec_lo, s7
                                        ; implicit-def: $vgpr11
                                        ; implicit-def: $vgpr12
.LBB2_5230:                             ;   in Loop: Header=BB2_4220 Depth=2
	s_and_not1_saveexec_b32 s7, s28
	s_cbranch_execz .LBB2_4219
; %bb.5231:                             ;   in Loop: Header=BB2_4220 Depth=2
	s_mov_b32 s28, exec_lo
                                        ; implicit-def: $vgpr10
	v_cmpx_ne_u64_e32 0, v[32:33]
	s_xor_b32 s28, exec_lo, s28
; %bb.5232:                             ;   in Loop: Header=BB2_4220 Depth=2
	v_or_b32_e32 v10, 0x7f, v12
                                        ; implicit-def: $vgpr11
; %bb.5233:                             ;   in Loop: Header=BB2_4220 Depth=2
	s_and_not1_saveexec_b32 s28, s28
	s_cbranch_execz .LBB2_4218
; %bb.5234:                             ;   in Loop: Header=BB2_4220 Depth=2
	v_cmp_lt_i32_e32 vcc_lo, -1, v11
	v_cndmask_b32_e32 v10, 0xfc, v46, vcc_lo
	s_branch .LBB2_4218
.LBB2_5235:                             ;   in Loop: Header=BB2_4220 Depth=2
	s_mov_b32 s28, -1
	s_mov_b32 s29, exec_lo
	v_cmpx_eq_u16_e32 0x80, v84
; %bb.5236:                             ;   in Loop: Header=BB2_4220 Depth=2
	s_xor_b32 s28, exec_lo, -1
; %bb.5237:                             ;   in Loop: Header=BB2_4220 Depth=2
	s_or_b32 exec_lo, exec_lo, s29
	s_delay_alu instid0(SALU_CYCLE_1)
	s_and_b32 s28, s28, exec_lo
                                        ; implicit-def: $vgpr84
	s_or_saveexec_b32 s7, s7
	v_bfrev_b32_e32 v83, 1
	s_xor_b32 exec_lo, exec_lo, s7
	s_cbranch_execz .LBB2_4720
.LBB2_5238:                             ;   in Loop: Header=BB2_4220 Depth=2
	v_cmp_ne_u16_e32 vcc_lo, 0, v84
	v_mov_b32_e32 v83, 0
	s_and_not1_b32 s28, s28, exec_lo
	s_and_b32 s29, vcc_lo, exec_lo
	s_delay_alu instid0(SALU_CYCLE_1)
	s_or_b32 s28, s28, s29
	s_or_b32 exec_lo, exec_lo, s7
	s_and_saveexec_b32 s7, s28
	s_cbranch_execnz .LBB2_4721
	s_branch .LBB2_4722
.LBB2_5239:                             ;   in Loop: Header=BB2_4220 Depth=2
	s_mov_b32 s28, -1
	s_mov_b32 s29, exec_lo
	v_cmpx_eq_u16_e32 0x80, v82
; %bb.5240:                             ;   in Loop: Header=BB2_4220 Depth=2
	s_xor_b32 s28, exec_lo, -1
; %bb.5241:                             ;   in Loop: Header=BB2_4220 Depth=2
	s_or_b32 exec_lo, exec_lo, s29
	s_delay_alu instid0(SALU_CYCLE_1)
	s_and_b32 s28, s28, exec_lo
	s_or_saveexec_b32 s7, s7
	v_bfrev_b32_e32 v30, 1
	s_xor_b32 exec_lo, exec_lo, s7
	s_cbranch_execz .LBB2_4754
.LBB2_5242:                             ;   in Loop: Header=BB2_4220 Depth=2
	v_cmp_ne_u16_e32 vcc_lo, 0, v82
	v_mov_b32_e32 v30, 0
	s_and_not1_b32 s28, s28, exec_lo
	s_and_b32 s29, vcc_lo, exec_lo
	s_delay_alu instid0(SALU_CYCLE_1)
	s_or_b32 s28, s28, s29
	s_or_b32 exec_lo, exec_lo, s7
	s_and_saveexec_b32 s7, s28
	s_cbranch_execnz .LBB2_4755
	s_branch .LBB2_4756
.LBB2_5243:                             ;   in Loop: Header=BB2_4220 Depth=2
	s_mov_b32 s28, -1
	s_mov_b32 s29, exec_lo
	v_cmpx_eq_u16_e32 0x80, v84
; %bb.5244:                             ;   in Loop: Header=BB2_4220 Depth=2
	s_xor_b32 s28, exec_lo, -1
; %bb.5245:                             ;   in Loop: Header=BB2_4220 Depth=2
	s_or_b32 exec_lo, exec_lo, s29
	s_delay_alu instid0(SALU_CYCLE_1)
	s_and_b32 s28, s28, exec_lo
                                        ; implicit-def: $vgpr84
	s_or_saveexec_b32 s7, s7
	v_bfrev_b32_e32 v83, 1
	s_xor_b32 exec_lo, exec_lo, s7
	s_cbranch_execz .LBB2_4788
.LBB2_5246:                             ;   in Loop: Header=BB2_4220 Depth=2
	v_cmp_ne_u16_e32 vcc_lo, 0, v84
	v_mov_b32_e32 v83, 0
	s_and_not1_b32 s28, s28, exec_lo
	s_and_b32 s29, vcc_lo, exec_lo
	s_delay_alu instid0(SALU_CYCLE_1)
	s_or_b32 s28, s28, s29
	s_or_b32 exec_lo, exec_lo, s7
	s_and_saveexec_b32 s7, s28
	s_cbranch_execnz .LBB2_4789
	s_branch .LBB2_4790
.LBB2_5247:                             ;   in Loop: Header=BB2_4220 Depth=2
	s_mov_b32 s28, -1
	s_mov_b32 s29, exec_lo
	v_cmpx_eq_u16_e32 0x80, v83
; %bb.5248:                             ;   in Loop: Header=BB2_4220 Depth=2
	s_xor_b32 s28, exec_lo, -1
; %bb.5249:                             ;   in Loop: Header=BB2_4220 Depth=2
	s_or_b32 exec_lo, exec_lo, s29
	s_delay_alu instid0(SALU_CYCLE_1)
	s_and_b32 s28, s28, exec_lo
                                        ; implicit-def: $vgpr83
	s_or_saveexec_b32 s7, s7
	v_bfrev_b32_e32 v85, 1
	s_xor_b32 exec_lo, exec_lo, s7
	s_cbranch_execz .LBB2_4852
.LBB2_5250:                             ;   in Loop: Header=BB2_4220 Depth=2
	v_cmp_ne_u16_e32 vcc_lo, 0, v83
	v_mov_b32_e32 v85, 0
	s_and_not1_b32 s28, s28, exec_lo
	s_and_b32 s29, vcc_lo, exec_lo
	s_delay_alu instid0(SALU_CYCLE_1)
	s_or_b32 s28, s28, s29
	s_or_b32 exec_lo, exec_lo, s7
	v_mov_b32_e32 v83, v33
	s_and_saveexec_b32 s7, s28
	s_cbranch_execnz .LBB2_4853
	s_branch .LBB2_4854
.LBB2_5251:                             ;   in Loop: Header=BB2_4220 Depth=2
	s_mov_b32 s28, -1
	s_mov_b32 s29, exec_lo
	v_cmpx_eq_u16_e32 0x80, v84
; %bb.5252:                             ;   in Loop: Header=BB2_4220 Depth=2
	s_xor_b32 s28, exec_lo, -1
; %bb.5253:                             ;   in Loop: Header=BB2_4220 Depth=2
	s_or_b32 exec_lo, exec_lo, s29
	s_delay_alu instid0(SALU_CYCLE_1)
	s_and_b32 s28, s28, exec_lo
	s_or_saveexec_b32 s7, s7
	v_bfrev_b32_e32 v30, 1
	s_xor_b32 exec_lo, exec_lo, s7
	s_cbranch_execz .LBB2_4886
.LBB2_5254:                             ;   in Loop: Header=BB2_4220 Depth=2
	v_cmp_ne_u16_e32 vcc_lo, 0, v84
	v_mov_b32_e32 v30, 0
	s_and_not1_b32 s28, s28, exec_lo
	s_and_b32 s29, vcc_lo, exec_lo
	s_delay_alu instid0(SALU_CYCLE_1)
	s_or_b32 s28, s28, s29
	s_or_b32 exec_lo, exec_lo, s7
	s_and_saveexec_b32 s7, s28
	s_cbranch_execnz .LBB2_4887
	s_branch .LBB2_4888
.LBB2_5255:                             ;   in Loop: Header=BB2_4220 Depth=2
	s_mov_b32 s28, -1
	s_mov_b32 s29, exec_lo
	v_cmpx_eq_u16_e32 0x80, v84
; %bb.5256:                             ;   in Loop: Header=BB2_4220 Depth=2
	s_xor_b32 s28, exec_lo, -1
; %bb.5257:                             ;   in Loop: Header=BB2_4220 Depth=2
	s_or_b32 exec_lo, exec_lo, s29
	s_delay_alu instid0(SALU_CYCLE_1)
	s_and_b32 s28, s28, exec_lo
                                        ; implicit-def: $vgpr84
	s_or_saveexec_b32 s7, s7
	v_bfrev_b32_e32 v83, 1
	s_xor_b32 exec_lo, exec_lo, s7
	s_cbranch_execz .LBB2_4920
.LBB2_5258:                             ;   in Loop: Header=BB2_4220 Depth=2
	v_cmp_ne_u16_e32 vcc_lo, 0, v84
	v_mov_b32_e32 v83, 0
	s_and_not1_b32 s28, s28, exec_lo
	s_and_b32 s29, vcc_lo, exec_lo
	s_delay_alu instid0(SALU_CYCLE_1)
	s_or_b32 s28, s28, s29
	s_or_b32 exec_lo, exec_lo, s7
	s_and_saveexec_b32 s7, s28
	s_cbranch_execnz .LBB2_4921
	s_branch .LBB2_4922
.LBB2_5259:                             ;   in Loop: Header=BB2_4220 Depth=2
	s_mov_b32 s28, -1
	s_mov_b32 s29, exec_lo
	v_cmpx_eq_u16_e32 0x80, v82
; %bb.5260:                             ;   in Loop: Header=BB2_4220 Depth=2
	s_xor_b32 s28, exec_lo, -1
; %bb.5261:                             ;   in Loop: Header=BB2_4220 Depth=2
	s_or_b32 exec_lo, exec_lo, s29
	s_delay_alu instid0(SALU_CYCLE_1)
	s_and_b32 s28, s28, exec_lo
                                        ; implicit-def: $vgpr82
	s_or_saveexec_b32 s7, s7
	v_bfrev_b32_e32 v11, 1
	s_xor_b32 exec_lo, exec_lo, s7
	s_cbranch_execz .LBB2_4984
.LBB2_5262:                             ;   in Loop: Header=BB2_4220 Depth=2
	v_cmp_ne_u16_e32 vcc_lo, 0, v82
	v_mov_b32_e32 v11, 0
	s_and_not1_b32 s28, s28, exec_lo
	s_and_b32 s29, vcc_lo, exec_lo
	s_delay_alu instid0(SALU_CYCLE_1)
	s_or_b32 s28, s28, s29
	s_or_b32 exec_lo, exec_lo, s7
	s_and_saveexec_b32 s7, s28
	s_cbranch_execnz .LBB2_4985
	s_branch .LBB2_4986
.LBB2_5263:                             ;   in Loop: Header=BB2_4220 Depth=2
	s_mov_b32 s28, -1
	s_mov_b32 s29, exec_lo
	v_cmpx_eq_u16_e32 0x80, v10
; %bb.5264:                             ;   in Loop: Header=BB2_4220 Depth=2
	s_xor_b32 s28, exec_lo, -1
; %bb.5265:                             ;   in Loop: Header=BB2_4220 Depth=2
	s_or_b32 exec_lo, exec_lo, s29
	s_delay_alu instid0(SALU_CYCLE_1)
	s_and_b32 s28, s28, exec_lo
	s_or_saveexec_b32 s7, s7
	v_bfrev_b32_e32 v11, 1
	s_xor_b32 exec_lo, exec_lo, s7
	s_cbranch_execz .LBB2_5018
.LBB2_5266:                             ;   in Loop: Header=BB2_4220 Depth=2
	v_cmp_ne_u16_e32 vcc_lo, 0, v10
	v_mov_b32_e32 v11, 0
	s_and_not1_b32 s28, s28, exec_lo
	s_and_b32 s29, vcc_lo, exec_lo
	s_delay_alu instid0(SALU_CYCLE_1)
	s_or_b32 s28, s28, s29
	s_or_b32 exec_lo, exec_lo, s7
	s_and_saveexec_b32 s7, s28
	s_cbranch_execnz .LBB2_5019
	s_branch .LBB2_5020
.LBB2_5267:                             ;   in Loop: Header=BB2_4220 Depth=2
	s_mov_b32 s28, -1
	s_mov_b32 s29, exec_lo
	v_cmpx_eq_u16_e32 0x80, v83
; %bb.5268:                             ;   in Loop: Header=BB2_4220 Depth=2
	s_xor_b32 s28, exec_lo, -1
; %bb.5269:                             ;   in Loop: Header=BB2_4220 Depth=2
	s_or_b32 exec_lo, exec_lo, s29
	s_delay_alu instid0(SALU_CYCLE_1)
	s_and_b32 s28, s28, exec_lo
                                        ; implicit-def: $vgpr83
	s_or_saveexec_b32 s7, s7
	v_bfrev_b32_e32 v82, 1
	s_xor_b32 exec_lo, exec_lo, s7
	s_cbranch_execz .LBB2_5052
.LBB2_5270:                             ;   in Loop: Header=BB2_4220 Depth=2
	v_cmp_ne_u16_e32 vcc_lo, 0, v83
	v_mov_b32_e32 v82, 0
	s_and_not1_b32 s28, s28, exec_lo
	s_and_b32 s29, vcc_lo, exec_lo
	s_delay_alu instid0(SALU_CYCLE_1)
	s_or_b32 s28, s28, s29
	s_or_b32 exec_lo, exec_lo, s7
	s_and_saveexec_b32 s7, s28
	s_cbranch_execnz .LBB2_5053
	s_branch .LBB2_5054
.LBB2_5271:                             ;   in Loop: Header=BB2_4220 Depth=2
	s_mov_b32 s28, -1
	s_mov_b32 s29, exec_lo
	v_cmpx_eq_u16_e32 0x80, v11
; %bb.5272:                             ;   in Loop: Header=BB2_4220 Depth=2
	s_xor_b32 s28, exec_lo, -1
; %bb.5273:                             ;   in Loop: Header=BB2_4220 Depth=2
	s_or_b32 exec_lo, exec_lo, s29
	s_delay_alu instid0(SALU_CYCLE_1)
	s_and_b32 s28, s28, exec_lo
                                        ; implicit-def: $vgpr11
	s_or_saveexec_b32 s7, s7
	v_bfrev_b32_e32 v83, 1
	s_xor_b32 exec_lo, exec_lo, s7
	s_cbranch_execz .LBB2_5116
.LBB2_5274:                             ;   in Loop: Header=BB2_4220 Depth=2
	v_cmp_ne_u16_e32 vcc_lo, 0, v11
	v_mov_b32_e32 v83, 0
	s_and_not1_b32 s28, s28, exec_lo
	s_and_b32 s29, vcc_lo, exec_lo
	s_delay_alu instid0(SALU_CYCLE_1)
	s_or_b32 s28, s28, s29
	s_or_b32 exec_lo, exec_lo, s7
	v_mov_b32_e32 v11, v33
	s_and_saveexec_b32 s7, s28
	s_cbranch_execnz .LBB2_5117
	s_branch .LBB2_5118
.LBB2_5275:                             ;   in Loop: Header=BB2_4220 Depth=2
	s_mov_b32 s28, -1
	s_mov_b32 s29, exec_lo
	v_cmpx_eq_u16_e32 0x80, v82
; %bb.5276:                             ;   in Loop: Header=BB2_4220 Depth=2
	s_xor_b32 s28, exec_lo, -1
; %bb.5277:                             ;   in Loop: Header=BB2_4220 Depth=2
	s_or_b32 exec_lo, exec_lo, s29
	s_delay_alu instid0(SALU_CYCLE_1)
	s_and_b32 s28, s28, exec_lo
	s_or_saveexec_b32 s7, s7
	v_bfrev_b32_e32 v83, 1
	s_xor_b32 exec_lo, exec_lo, s7
	s_cbranch_execz .LBB2_5150
.LBB2_5278:                             ;   in Loop: Header=BB2_4220 Depth=2
	v_cmp_ne_u16_e32 vcc_lo, 0, v82
	v_mov_b32_e32 v83, 0
	s_and_not1_b32 s28, s28, exec_lo
	s_and_b32 s29, vcc_lo, exec_lo
	s_delay_alu instid0(SALU_CYCLE_1)
	s_or_b32 s28, s28, s29
	s_or_b32 exec_lo, exec_lo, s7
	s_and_saveexec_b32 s7, s28
	s_cbranch_execnz .LBB2_5151
	s_branch .LBB2_5152
.LBB2_5279:                             ;   in Loop: Header=BB2_4220 Depth=2
	s_mov_b32 s28, -1
	s_mov_b32 s29, exec_lo
	v_cmpx_eq_u16_e32 0x80, v83
; %bb.5280:                             ;   in Loop: Header=BB2_4220 Depth=2
	s_xor_b32 s28, exec_lo, -1
; %bb.5281:                             ;   in Loop: Header=BB2_4220 Depth=2
	s_or_b32 exec_lo, exec_lo, s29
	s_delay_alu instid0(SALU_CYCLE_1)
	s_and_b32 s28, s28, exec_lo
                                        ; implicit-def: $vgpr83
	s_or_saveexec_b32 s7, s7
	v_bfrev_b32_e32 v82, 1
	s_xor_b32 exec_lo, exec_lo, s7
	s_cbranch_execz .LBB2_5184
.LBB2_5282:                             ;   in Loop: Header=BB2_4220 Depth=2
	v_cmp_ne_u16_e32 vcc_lo, 0, v83
	v_mov_b32_e32 v82, 0
	s_and_not1_b32 s28, s28, exec_lo
	s_and_b32 s29, vcc_lo, exec_lo
	s_delay_alu instid0(SALU_CYCLE_1)
	s_or_b32 s28, s28, s29
	s_or_b32 exec_lo, exec_lo, s7
	s_and_saveexec_b32 s7, s28
	s_cbranch_execnz .LBB2_5185
	s_branch .LBB2_5186
.LBB2_5283:                             ;   in Loop: Header=BB2_3075 Depth=1
	s_or_b32 exec_lo, exec_lo, s25
.LBB2_5284:                             ;   in Loop: Header=BB2_3075 Depth=1
	s_delay_alu instid0(SALU_CYCLE_1) | instskip(SKIP_3) | instid1(VALU_DEP_1)
	s_or_b32 exec_lo, exec_lo, s11
	v_cmp_lt_i32_e32 vcc_lo, 0, v97
	s_mov_b32 s11, exec_lo
	v_cndmask_b32_e32 v10, 0, v34, vcc_lo
	v_sub_nc_u32_e32 v10, v10, v97
	s_delay_alu instid0(VALU_DEP_1)
	v_lshl_add_u32 v30, v10, 5, v96
.LBB2_5285:                             ;   in Loop: Header=BB2_3075 Depth=1
	s_or_b32 exec_lo, exec_lo, s10
	s_and_saveexec_b32 s25, s11
	s_cbranch_execz .LBB2_6012
.LBB2_5286:                             ;   in Loop: Header=BB2_3075 Depth=1
	s_delay_alu instid0(VALU_DEP_1) | instskip(SKIP_1) | instid1(VALU_DEP_1)
	v_dual_ashrrev_i32 v10, 31, v30 :: v_dual_lshrrev_b32 v11, 8, v59
	s_mov_b32 s26, exec_lo
	v_lshrrev_b32_e32 v10, 27, v10
	s_delay_alu instid0(VALU_DEP_1) | instskip(NEXT) | instid1(VALU_DEP_1)
	v_add_nc_u32_e32 v10, v30, v10
	v_ashrrev_i32_e32 v60, 5, v10
	s_delay_alu instid0(VALU_DEP_1) | instskip(NEXT) | instid1(VALU_DEP_1)
	v_sub_nc_u32_e32 v61, v11, v60
	v_cmpx_lt_i32_e32 0, v61
	s_cbranch_execz .LBB2_5922
; %bb.5287:                             ;   in Loop: Header=BB2_3075 Depth=1
	v_and_b32_e32 v10, 0xffffffe0, v10
	s_trap 2
	ds_load_b64 v[12:13], v0
	v_lshlrev_b32_e32 v11, 8, v60
	v_add_nc_u64_e32 v[66:67], 0xe0, v[66:67]
	v_sub_nc_u32_e32 v10, v30, v10
	s_mov_b32 s27, 0
	s_delay_alu instid0(VALU_DEP_1) | instskip(NEXT) | instid1(VALU_DEP_1)
	v_add3_u32 v68, v58, v10, v11
	v_ashrrev_i32_e32 v69, 31, v68
	s_delay_alu instid0(VALU_DEP_1)
	v_add_nc_u64_e32 v[10:11], v[68:69], v[64:65]
	v_add_nc_u64_e32 v[64:65], v[66:67], v[68:69]
	s_wait_dscnt 0x0
	v_add_nc_u64_e32 v[12:13], v[12:13], v[68:69]
	s_branch .LBB2_5290
.LBB2_5288:                             ;   in Loop: Header=BB2_5290 Depth=2
	s_or_b32 exec_lo, exec_lo, s10
.LBB2_5289:                             ;   in Loop: Header=BB2_5290 Depth=2
	s_delay_alu instid0(SALU_CYCLE_1)
	s_or_b32 exec_lo, exec_lo, s7
	v_sub_nc_u32_e32 v61, v61, v34
	s_clause 0x7
	flat_store_b8 v[64:65], v40 offset:-224 th:TH_STORE_NT
	flat_store_b8 v[64:65], v100 offset:-192 th:TH_STORE_NT
	;; [unrolled: 1-line block ×7, first 2 shown]
	flat_store_b8 v[64:65], v67 th:TH_STORE_NT
	v_add_nc_u64_e32 v[10:11], v[10:11], v[48:49]
	v_add_nc_u64_e32 v[12:13], v[12:13], v[48:49]
	s_wait_xcnt 0x0
	v_add_nc_u64_e32 v[64:65], v[64:65], v[48:49]
	v_cmp_gt_i32_e32 vcc_lo, 1, v61
	s_or_b32 s27, vcc_lo, s27
	s_delay_alu instid0(SALU_CYCLE_1)
	s_and_not1_b32 exec_lo, exec_lo, s27
	s_cbranch_execz .LBB2_5921
.LBB2_5290:                             ;   Parent Loop BB2_3075 Depth=1
                                        ; =>  This Inner Loop Header: Depth=2
	s_trap 2
	ds_load_b64 v[66:67], v0
	s_mov_b32 s28, 0
	s_wait_dscnt 0x0
	v_and_b32_e32 v32, 0xff, v66
	v_readfirstlane_b32 s10, v66
	v_readfirstlane_b32 s11, v67
	s_delay_alu instid0(VALU_DEP_3)
	v_cmp_eq_u32_e32 vcc_lo, 0, v32
	s_cbranch_vccnz .LBB2_5298
; %bb.5291:                             ;   in Loop: Header=BB2_5290 Depth=2
	s_bfe_i32 s29, s10, 0x80000
	s_brev_b32 s28, 1
	s_and_b32 s7, 0xffff, s29
	s_delay_alu instid0(SALU_CYCLE_1)
	s_cmp_eq_u32 s7, 0xff80
	s_cbranch_scc1 .LBB2_5298
; %bb.5292:                             ;   in Loop: Header=BB2_5290 Depth=2
	s_and_b32 s28, s10, 0x7c
	s_and_b32 s7, s10, 3
	s_mov_b32 s40, -1
	s_cmp_lg_u32 s28, 0x7c
	s_sext_i32_i16 s29, s29
                                        ; implicit-def: $sgpr28
	s_cbranch_scc0 .LBB2_5296
; %bb.5293:                             ;   in Loop: Header=BB2_5290 Depth=2
	s_bfe_u32 s28, s10, 0x50002
	s_mov_b32 s40, s7
	s_cmp_lg_u32 s28, 0
	s_cbranch_scc1 .LBB2_5295
; %bb.5294:                             ;   in Loop: Header=BB2_5290 Depth=2
	s_clz_i32_u32 s28, s7
	s_delay_alu instid0(SALU_CYCLE_1) | instskip(NEXT) | instid1(SALU_CYCLE_1)
	s_min_u32 s28, s28, 32
	s_sub_co_i32 s40, s28, 29
	s_sub_co_i32 s28, 30, s28
	s_lshl_b64 s[10:11], s[10:11], s40
	s_delay_alu instid0(SALU_CYCLE_1)
	s_and_b32 s40, s10, 3
.LBB2_5295:                             ;   in Loop: Header=BB2_5290 Depth=2
	s_and_b32 s10, s29, 0x80000000
	s_lshl_b32 s11, s28, 23
	s_lshl_b32 s28, s40, 21
	s_add_co_i32 s11, s11, s10
	s_mov_b32 s40, 0
	s_or_b32 s10, s11, s28
	s_delay_alu instid0(SALU_CYCLE_1)
	s_add_co_i32 s28, s10, 0x38000000
.LBB2_5296:                             ;   in Loop: Header=BB2_5290 Depth=2
	s_and_b32 vcc_lo, exec_lo, s40
	s_cbranch_vccz .LBB2_5298
; %bb.5297:                             ;   in Loop: Header=BB2_5290 Depth=2
	s_cmp_gt_i32 s29, -1
	s_cselect_b32 s10, s22, 0xff800000
	s_cmp_eq_u32 s7, 0
	s_cselect_b32 s28, s10, 0x7f800001
.LBB2_5298:                             ;   in Loop: Header=BB2_5290 Depth=2
	flat_load_i8 v32, v[10:11] th:TH_LOAD_NT
	v_mov_b32_e32 v67, 0
	s_mov_b32 s7, exec_lo
	s_wait_loadcnt_dscnt 0x0
	v_cmpx_ne_u16_e32 0, v32
	s_cbranch_execz .LBB2_5308
; %bb.5299:                             ;   in Loop: Header=BB2_5290 Depth=2
	v_bfrev_b32_e32 v67, 1
	s_mov_b32 s10, exec_lo
	v_cmpx_ne_u16_e32 0xff80, v32
	s_cbranch_execz .LBB2_5307
; %bb.5300:                             ;   in Loop: Header=BB2_5290 Depth=2
	v_and_b32_e32 v67, 0x7c, v32
	v_and_b32_e32 v66, 3, v32
	s_delay_alu instid0(VALU_DEP_2) | instskip(SKIP_1) | instid1(SALU_CYCLE_1)
	v_cmp_ne_u32_e32 vcc_lo, 0x7c, v67
                                        ; implicit-def: $vgpr67
	s_and_saveexec_b32 s11, vcc_lo
	s_xor_b32 s11, exec_lo, s11
	s_cbranch_execz .LBB2_5304
; %bb.5301:                             ;   in Loop: Header=BB2_5290 Depth=2
	v_and_b32_e32 v67, 0xff, v32
	s_mov_b32 s29, exec_lo
	s_delay_alu instid0(VALU_DEP_1) | instskip(NEXT) | instid1(VALU_DEP_1)
	v_bfe_u32 v67, v67, 2, 5
	v_cmpx_eq_u32_e32 0, v67
; %bb.5302:                             ;   in Loop: Header=BB2_5290 Depth=2
	v_clz_i32_u32_e32 v66, v66
	s_delay_alu instid0(VALU_DEP_1) | instskip(NEXT) | instid1(VALU_DEP_1)
	v_min_u32_e32 v68, 32, v66
	v_subrev_nc_u32_e32 v66, 29, v68
	s_delay_alu instid0(VALU_DEP_1) | instskip(NEXT) | instid1(VALU_DEP_1)
	v_lshlrev_b64_e32 v[66:67], v66, v[32:33]
	v_dual_sub_nc_u32 v67, 30, v68 :: v_dual_bitop2_b32 v66, 3, v66 bitop3:0x40
; %bb.5303:                             ;   in Loop: Header=BB2_5290 Depth=2
	s_or_b32 exec_lo, exec_lo, s29
	v_bfe_i32 v32, v32, 0, 16
	s_delay_alu instid0(VALU_DEP_1) | instskip(NEXT) | instid1(VALU_DEP_1)
	v_and_b32_e32 v32, 0x80000000, v32
	v_lshl_add_u32 v32, v67, 23, v32
	s_delay_alu instid0(VALU_DEP_1) | instskip(NEXT) | instid1(VALU_DEP_1)
	v_lshl_or_b32 v32, v66, 21, v32
                                        ; implicit-def: $vgpr66
	v_add_nc_u32_e32 v67, 0x38000000, v32
.LBB2_5304:                             ;   in Loop: Header=BB2_5290 Depth=2
	s_and_not1_saveexec_b32 s11, s11
; %bb.5305:                             ;   in Loop: Header=BB2_5290 Depth=2
	v_cmp_lt_i16_e32 vcc_lo, -1, v32
	v_cndmask_b32_e32 v32, 0xff800000, v45, vcc_lo
	v_cmp_eq_u32_e32 vcc_lo, 0, v66
	s_delay_alu instid0(VALU_DEP_2)
	v_cndmask_b32_e32 v67, 0x7f800001, v32, vcc_lo
; %bb.5306:                             ;   in Loop: Header=BB2_5290 Depth=2
	s_or_b32 exec_lo, exec_lo, s11
.LBB2_5307:                             ;   in Loop: Header=BB2_5290 Depth=2
	s_delay_alu instid0(SALU_CYCLE_1)
	s_or_b32 exec_lo, exec_lo, s10
.LBB2_5308:                             ;   in Loop: Header=BB2_5290 Depth=2
	s_delay_alu instid0(SALU_CYCLE_1) | instskip(NEXT) | instid1(VALU_DEP_1)
	s_or_b32 exec_lo, exec_lo, s7
	v_dual_mul_f32 v66, s28, v67 :: v_dual_mov_b32 v69, v33
                                        ; implicit-def: $vgpr100
	s_mov_b32 s7, exec_lo
	s_delay_alu instid0(VALU_DEP_1) | instskip(SKIP_1) | instid1(VALU_DEP_2)
	v_and_b32_e32 v68, 0x7f800000, v66
	v_and_b32_e32 v32, 0x7fffff, v66
	v_cmpx_ne_u64_e32 0x7f800000, v[68:69]
	s_xor_b32 s10, exec_lo, s7
	s_cbranch_execz .LBB2_5326
; %bb.5309:                             ;   in Loop: Header=BB2_5290 Depth=2
	v_dual_mov_b32 v69, v33 :: v_dual_lshrrev_b32 v67, 24, v66
	v_and_b32_e32 v68, 0x7fffffff, v66
                                        ; implicit-def: $vgpr100
	s_mov_b32 s7, exec_lo
	s_delay_alu instid0(VALU_DEP_2) | instskip(NEXT) | instid1(VALU_DEP_2)
	v_and_b32_e32 v70, 0x80, v67
	v_cmpx_gt_u64_e32 0x47600001, v[68:69]
	s_xor_b32 s11, exec_lo, s7
	s_cbranch_execz .LBB2_5323
; %bb.5310:                             ;   in Loop: Header=BB2_5290 Depth=2
	v_mov_b32_e32 v100, 0
	s_mov_b32 s29, exec_lo
	v_cmpx_ne_u32_e32 0, v66
	s_cbranch_execz .LBB2_5322
; %bb.5311:                             ;   in Loop: Header=BB2_5290 Depth=2
	v_bfe_u32 v71, v66, 23, 8
	v_or_b32_e32 v68, 0x800000, v32
	s_delay_alu instid0(VALU_DEP_2) | instskip(SKIP_1) | instid1(VALU_DEP_2)
	v_sub_nc_u32_e32 v66, 0x71, v71
	v_cmp_gt_u32_e32 vcc_lo, 0x72, v71
	v_cndmask_b32_e32 v66, 0, v66, vcc_lo
	v_cmp_eq_u32_e32 vcc_lo, 0, v71
	s_delay_alu instid0(VALU_DEP_2) | instskip(SKIP_1) | instid1(VALU_DEP_2)
	v_cndmask_b32_e64 v80, v66, 0x70, vcc_lo
	v_cndmask_b32_e32 v32, v68, v32, vcc_lo
	v_dual_add_nc_u32 v66, 21, v80 :: v_dual_add_nc_u32 v69, 20, v80
	s_delay_alu instid0(VALU_DEP_1) | instskip(NEXT) | instid1(VALU_DEP_2)
	v_lshlrev_b64_e64 v[66:67], v66, -1
	v_lshlrev_b64_e64 v[68:69], v69, 1
	s_delay_alu instid0(VALU_DEP_2) | instskip(NEXT) | instid1(VALU_DEP_3)
	v_bfi_b32 v83, v67, 0, 0
	v_bfi_b32 v82, v66, 0, v32
	v_lshrrev_b64 v[66:67], v80, v[32:33]
	s_delay_alu instid0(VALU_DEP_2) | instskip(NEXT) | instid1(VALU_DEP_2)
	v_cmp_eq_u64_e64 s7, v[82:83], v[68:69]
	v_mov_b64_e32 v[68:69], v[66:67]
	s_and_saveexec_b32 s40, s7
; %bb.5312:                             ;   in Loop: Header=BB2_5290 Depth=2
	v_bfe_u32 v32, v66, 21, 1
	s_delay_alu instid0(VALU_DEP_1) | instskip(NEXT) | instid1(VALU_DEP_1)
	v_add_nc_u64_e32 v[68:69], v[66:67], v[32:33]
	v_add_nc_u64_e32 v[68:69], -1, v[68:69]
; %bb.5313:                             ;   in Loop: Header=BB2_5290 Depth=2
	s_or_b32 exec_lo, exec_lo, s40
	v_add_nc_u32_e32 v32, 0xffffff81, v71
	v_lshrrev_b32_e32 v67, 23, v66
	s_mov_b32 s7, exec_lo
	s_delay_alu instid0(VALU_DEP_2) | instskip(NEXT) | instid1(VALU_DEP_1)
	v_cndmask_b32_e64 v32, v32, 0xffffff82, vcc_lo
	v_add3_u32 v69, v80, v32, v67
	v_and_b32_e32 v32, 0x1fffff, v68
                                        ; implicit-def: $vgpr68
	s_delay_alu instid0(VALU_DEP_1) | instskip(NEXT) | instid1(VALU_DEP_1)
	v_dual_add_nc_u32 v71, 14, v69 :: v_dual_add_nc_u32 v32, v32, v66
                                        ; implicit-def: $vgpr66_vgpr67
	v_cmpx_ne_u32_e32 0, v71
	s_xor_b32 s7, exec_lo, s7
; %bb.5314:                             ;   in Loop: Header=BB2_5290 Depth=2
	s_delay_alu instid0(VALU_DEP_2) | instskip(SKIP_1) | instid1(VALU_DEP_1)
	v_cmp_lt_u64_e32 vcc_lo, 0xffffff, v[32:33]
	v_add_nc_u32_e32 v66, 15, v69
	v_cndmask_b32_e32 v68, v71, v66, vcc_lo
	v_cndmask_b32_e64 v66, 0, 1, vcc_lo
	s_delay_alu instid0(VALU_DEP_1)
	v_lshrrev_b64 v[66:67], v66, v[32:33]
; %bb.5315:                             ;   in Loop: Header=BB2_5290 Depth=2
	s_and_not1_saveexec_b32 s7, s7
; %bb.5316:                             ;   in Loop: Header=BB2_5290 Depth=2
	v_mov_b64_e32 v[66:67], v[32:33]
	v_bfe_u32 v68, v32, 23, 1
; %bb.5317:                             ;   in Loop: Header=BB2_5290 Depth=2
	s_or_b32 exec_lo, exec_lo, s7
	s_delay_alu instid0(VALU_DEP_2) | instskip(NEXT) | instid1(VALU_DEP_2)
	v_lshrrev_b64 v[66:67], 21, v[66:67]
	v_cmp_gt_i32_e32 vcc_lo, 32, v68
	v_cmp_ne_u32_e64 s7, 0, v68
                                        ; implicit-def: $vgpr100
	s_delay_alu instid0(VALU_DEP_3) | instskip(NEXT) | instid1(VALU_DEP_1)
	v_dual_cndmask_b32 v67, 0, v67 :: v_dual_cndmask_b32 v66, 3, v66
	v_cmp_ne_u64_e32 vcc_lo, 0, v[66:67]
	s_or_b32 s7, s7, vcc_lo
	s_delay_alu instid0(SALU_CYCLE_1) | instskip(NEXT) | instid1(SALU_CYCLE_1)
	s_and_saveexec_b32 s40, s7
	s_xor_b32 s7, exec_lo, s40
; %bb.5318:                             ;   in Loop: Header=BB2_5290 Depth=2
	v_min_i32_e32 v32, 31, v68
	s_delay_alu instid0(VALU_DEP_1) | instskip(NEXT) | instid1(VALU_DEP_1)
	v_lshl_or_b32 v32, v32, 2, v70
                                        ; implicit-def: $vgpr70
	v_and_or_b32 v100, v66, 3, v32
; %bb.5319:                             ;   in Loop: Header=BB2_5290 Depth=2
	s_and_not1_saveexec_b32 s7, s7
; %bb.5320:                             ;   in Loop: Header=BB2_5290 Depth=2
	v_mov_b32_e32 v100, v70
; %bb.5321:                             ;   in Loop: Header=BB2_5290 Depth=2
	s_or_b32 exec_lo, exec_lo, s7
.LBB2_5322:                             ;   in Loop: Header=BB2_5290 Depth=2
	s_delay_alu instid0(SALU_CYCLE_1)
	s_or_b32 exec_lo, exec_lo, s29
                                        ; implicit-def: $vgpr70
.LBB2_5323:                             ;   in Loop: Header=BB2_5290 Depth=2
	s_and_not1_saveexec_b32 s7, s11
; %bb.5324:                             ;   in Loop: Header=BB2_5290 Depth=2
	v_or_b32_e32 v100, 0x7b, v70
; %bb.5325:                             ;   in Loop: Header=BB2_5290 Depth=2
	s_or_b32 exec_lo, exec_lo, s7
                                        ; implicit-def: $vgpr66
.LBB2_5326:                             ;   in Loop: Header=BB2_5290 Depth=2
	s_and_not1_saveexec_b32 s7, s10
	s_cbranch_execz .LBB2_5332
; %bb.5327:                             ;   in Loop: Header=BB2_5290 Depth=2
	s_mov_b32 s10, exec_lo
                                        ; implicit-def: $vgpr100
	v_cmpx_ne_u64_e32 0, v[32:33]
	s_xor_b32 s10, exec_lo, s10
; %bb.5328:                             ;   in Loop: Header=BB2_5290 Depth=2
	v_lshrrev_b32_e32 v32, 24, v66
                                        ; implicit-def: $vgpr66
	s_delay_alu instid0(VALU_DEP_1)
	v_or_b32_e32 v100, 0x7f, v32
; %bb.5329:                             ;   in Loop: Header=BB2_5290 Depth=2
	s_and_not1_saveexec_b32 s10, s10
; %bb.5330:                             ;   in Loop: Header=BB2_5290 Depth=2
	v_cmp_lt_i32_e32 vcc_lo, -1, v66
	v_cndmask_b32_e64 v100, -4, 0x7c, vcc_lo
; %bb.5331:                             ;   in Loop: Header=BB2_5290 Depth=2
	s_or_b32 exec_lo, exec_lo, s10
.LBB2_5332:                             ;   in Loop: Header=BB2_5290 Depth=2
	s_delay_alu instid0(SALU_CYCLE_1)
	s_or_b32 exec_lo, exec_lo, s7
	flat_load_i8 v32, v[10:11] offset:32 th:TH_LOAD_NT
	v_mov_b32_e32 v67, 0
	s_mov_b32 s7, exec_lo
	s_wait_loadcnt_dscnt 0x0
	v_cmpx_ne_u16_e32 0, v32
	s_cbranch_execz .LBB2_5342
; %bb.5333:                             ;   in Loop: Header=BB2_5290 Depth=2
	v_bfrev_b32_e32 v67, 1
	s_mov_b32 s10, exec_lo
	v_cmpx_ne_u16_e32 0xff80, v32
	s_cbranch_execz .LBB2_5341
; %bb.5334:                             ;   in Loop: Header=BB2_5290 Depth=2
	v_and_b32_e32 v67, 0x7c, v32
	v_and_b32_e32 v66, 3, v32
	s_delay_alu instid0(VALU_DEP_2) | instskip(SKIP_1) | instid1(SALU_CYCLE_1)
	v_cmp_ne_u32_e32 vcc_lo, 0x7c, v67
                                        ; implicit-def: $vgpr67
	s_and_saveexec_b32 s11, vcc_lo
	s_xor_b32 s11, exec_lo, s11
	s_cbranch_execz .LBB2_5338
; %bb.5335:                             ;   in Loop: Header=BB2_5290 Depth=2
	v_and_b32_e32 v67, 0xff, v32
	s_mov_b32 s29, exec_lo
	s_delay_alu instid0(VALU_DEP_1) | instskip(NEXT) | instid1(VALU_DEP_1)
	v_bfe_u32 v67, v67, 2, 5
	v_cmpx_eq_u32_e32 0, v67
; %bb.5336:                             ;   in Loop: Header=BB2_5290 Depth=2
	v_clz_i32_u32_e32 v66, v66
	s_delay_alu instid0(VALU_DEP_1) | instskip(NEXT) | instid1(VALU_DEP_1)
	v_min_u32_e32 v68, 32, v66
	v_subrev_nc_u32_e32 v66, 29, v68
	s_delay_alu instid0(VALU_DEP_1) | instskip(NEXT) | instid1(VALU_DEP_1)
	v_lshlrev_b64_e32 v[66:67], v66, v[32:33]
	v_dual_sub_nc_u32 v67, 30, v68 :: v_dual_bitop2_b32 v66, 3, v66 bitop3:0x40
; %bb.5337:                             ;   in Loop: Header=BB2_5290 Depth=2
	s_or_b32 exec_lo, exec_lo, s29
	v_bfe_i32 v32, v32, 0, 16
	s_delay_alu instid0(VALU_DEP_1) | instskip(NEXT) | instid1(VALU_DEP_1)
	v_and_b32_e32 v32, 0x80000000, v32
	v_lshl_add_u32 v32, v67, 23, v32
	s_delay_alu instid0(VALU_DEP_1) | instskip(NEXT) | instid1(VALU_DEP_1)
	v_lshl_or_b32 v32, v66, 21, v32
                                        ; implicit-def: $vgpr66
	v_add_nc_u32_e32 v67, 0x38000000, v32
.LBB2_5338:                             ;   in Loop: Header=BB2_5290 Depth=2
	s_and_not1_saveexec_b32 s11, s11
; %bb.5339:                             ;   in Loop: Header=BB2_5290 Depth=2
	v_cmp_lt_i16_e32 vcc_lo, -1, v32
	v_cndmask_b32_e32 v32, 0xff800000, v45, vcc_lo
	v_cmp_eq_u32_e32 vcc_lo, 0, v66
	s_delay_alu instid0(VALU_DEP_2)
	v_cndmask_b32_e32 v67, 0x7f800001, v32, vcc_lo
; %bb.5340:                             ;   in Loop: Header=BB2_5290 Depth=2
	s_or_b32 exec_lo, exec_lo, s11
.LBB2_5341:                             ;   in Loop: Header=BB2_5290 Depth=2
	s_delay_alu instid0(SALU_CYCLE_1)
	s_or_b32 exec_lo, exec_lo, s10
.LBB2_5342:                             ;   in Loop: Header=BB2_5290 Depth=2
	s_delay_alu instid0(SALU_CYCLE_1) | instskip(NEXT) | instid1(VALU_DEP_1)
	s_or_b32 exec_lo, exec_lo, s7
	v_dual_mul_f32 v66, s28, v67 :: v_dual_mov_b32 v69, v33
                                        ; implicit-def: $vgpr98
	s_mov_b32 s7, exec_lo
	s_delay_alu instid0(VALU_DEP_1) | instskip(SKIP_1) | instid1(VALU_DEP_2)
	v_and_b32_e32 v68, 0x7f800000, v66
	v_and_b32_e32 v32, 0x7fffff, v66
	v_cmpx_ne_u64_e32 0x7f800000, v[68:69]
	s_xor_b32 s10, exec_lo, s7
	s_cbranch_execz .LBB2_5360
; %bb.5343:                             ;   in Loop: Header=BB2_5290 Depth=2
	v_dual_mov_b32 v69, v33 :: v_dual_lshrrev_b32 v67, 24, v66
	v_and_b32_e32 v68, 0x7fffffff, v66
                                        ; implicit-def: $vgpr98
	s_mov_b32 s7, exec_lo
	s_delay_alu instid0(VALU_DEP_2) | instskip(NEXT) | instid1(VALU_DEP_2)
	v_and_b32_e32 v70, 0x80, v67
	v_cmpx_gt_u64_e32 0x47600001, v[68:69]
	s_xor_b32 s11, exec_lo, s7
	s_cbranch_execz .LBB2_5357
; %bb.5344:                             ;   in Loop: Header=BB2_5290 Depth=2
	v_mov_b32_e32 v98, 0
	s_mov_b32 s29, exec_lo
	v_cmpx_ne_u32_e32 0, v66
	s_cbranch_execz .LBB2_5356
; %bb.5345:                             ;   in Loop: Header=BB2_5290 Depth=2
	v_bfe_u32 v71, v66, 23, 8
	v_or_b32_e32 v68, 0x800000, v32
	s_delay_alu instid0(VALU_DEP_2) | instskip(SKIP_1) | instid1(VALU_DEP_2)
	v_sub_nc_u32_e32 v66, 0x71, v71
	v_cmp_gt_u32_e32 vcc_lo, 0x72, v71
	v_cndmask_b32_e32 v66, 0, v66, vcc_lo
	v_cmp_eq_u32_e32 vcc_lo, 0, v71
	s_delay_alu instid0(VALU_DEP_2) | instskip(SKIP_1) | instid1(VALU_DEP_2)
	v_cndmask_b32_e64 v80, v66, 0x70, vcc_lo
	v_cndmask_b32_e32 v32, v68, v32, vcc_lo
	v_dual_add_nc_u32 v66, 21, v80 :: v_dual_add_nc_u32 v69, 20, v80
	s_delay_alu instid0(VALU_DEP_1) | instskip(NEXT) | instid1(VALU_DEP_2)
	v_lshlrev_b64_e64 v[66:67], v66, -1
	v_lshlrev_b64_e64 v[68:69], v69, 1
	s_delay_alu instid0(VALU_DEP_2) | instskip(NEXT) | instid1(VALU_DEP_3)
	v_bfi_b32 v83, v67, 0, 0
	v_bfi_b32 v82, v66, 0, v32
	v_lshrrev_b64 v[66:67], v80, v[32:33]
	s_delay_alu instid0(VALU_DEP_2) | instskip(NEXT) | instid1(VALU_DEP_2)
	v_cmp_eq_u64_e64 s7, v[82:83], v[68:69]
	v_mov_b64_e32 v[68:69], v[66:67]
	s_and_saveexec_b32 s40, s7
; %bb.5346:                             ;   in Loop: Header=BB2_5290 Depth=2
	v_bfe_u32 v32, v66, 21, 1
	s_delay_alu instid0(VALU_DEP_1) | instskip(NEXT) | instid1(VALU_DEP_1)
	v_add_nc_u64_e32 v[68:69], v[66:67], v[32:33]
	v_add_nc_u64_e32 v[68:69], -1, v[68:69]
; %bb.5347:                             ;   in Loop: Header=BB2_5290 Depth=2
	s_or_b32 exec_lo, exec_lo, s40
	v_add_nc_u32_e32 v32, 0xffffff81, v71
	v_lshrrev_b32_e32 v67, 23, v66
	s_mov_b32 s7, exec_lo
	s_delay_alu instid0(VALU_DEP_2) | instskip(NEXT) | instid1(VALU_DEP_1)
	v_cndmask_b32_e64 v32, v32, 0xffffff82, vcc_lo
	v_add3_u32 v69, v80, v32, v67
	v_and_b32_e32 v32, 0x1fffff, v68
                                        ; implicit-def: $vgpr68
	s_delay_alu instid0(VALU_DEP_1) | instskip(NEXT) | instid1(VALU_DEP_1)
	v_dual_add_nc_u32 v71, 14, v69 :: v_dual_add_nc_u32 v32, v32, v66
                                        ; implicit-def: $vgpr66_vgpr67
	v_cmpx_ne_u32_e32 0, v71
	s_xor_b32 s7, exec_lo, s7
; %bb.5348:                             ;   in Loop: Header=BB2_5290 Depth=2
	s_delay_alu instid0(VALU_DEP_2) | instskip(SKIP_1) | instid1(VALU_DEP_1)
	v_cmp_lt_u64_e32 vcc_lo, 0xffffff, v[32:33]
	v_add_nc_u32_e32 v66, 15, v69
	v_cndmask_b32_e32 v68, v71, v66, vcc_lo
	v_cndmask_b32_e64 v66, 0, 1, vcc_lo
	s_delay_alu instid0(VALU_DEP_1)
	v_lshrrev_b64 v[66:67], v66, v[32:33]
; %bb.5349:                             ;   in Loop: Header=BB2_5290 Depth=2
	s_and_not1_saveexec_b32 s7, s7
; %bb.5350:                             ;   in Loop: Header=BB2_5290 Depth=2
	v_mov_b64_e32 v[66:67], v[32:33]
	v_bfe_u32 v68, v32, 23, 1
; %bb.5351:                             ;   in Loop: Header=BB2_5290 Depth=2
	s_or_b32 exec_lo, exec_lo, s7
	s_delay_alu instid0(VALU_DEP_2) | instskip(NEXT) | instid1(VALU_DEP_2)
	v_lshrrev_b64 v[66:67], 21, v[66:67]
	v_cmp_gt_i32_e32 vcc_lo, 32, v68
	v_cmp_ne_u32_e64 s7, 0, v68
                                        ; implicit-def: $vgpr98
	s_delay_alu instid0(VALU_DEP_3) | instskip(NEXT) | instid1(VALU_DEP_1)
	v_dual_cndmask_b32 v67, 0, v67 :: v_dual_cndmask_b32 v66, 3, v66
	v_cmp_ne_u64_e32 vcc_lo, 0, v[66:67]
	s_or_b32 s7, s7, vcc_lo
	s_delay_alu instid0(SALU_CYCLE_1) | instskip(NEXT) | instid1(SALU_CYCLE_1)
	s_and_saveexec_b32 s40, s7
	s_xor_b32 s7, exec_lo, s40
; %bb.5352:                             ;   in Loop: Header=BB2_5290 Depth=2
	v_min_i32_e32 v32, 31, v68
	s_delay_alu instid0(VALU_DEP_1) | instskip(NEXT) | instid1(VALU_DEP_1)
	v_lshl_or_b32 v32, v32, 2, v70
                                        ; implicit-def: $vgpr70
	v_and_or_b32 v98, v66, 3, v32
; %bb.5353:                             ;   in Loop: Header=BB2_5290 Depth=2
	s_and_not1_saveexec_b32 s7, s7
; %bb.5354:                             ;   in Loop: Header=BB2_5290 Depth=2
	v_mov_b32_e32 v98, v70
; %bb.5355:                             ;   in Loop: Header=BB2_5290 Depth=2
	s_or_b32 exec_lo, exec_lo, s7
.LBB2_5356:                             ;   in Loop: Header=BB2_5290 Depth=2
	s_delay_alu instid0(SALU_CYCLE_1)
	s_or_b32 exec_lo, exec_lo, s29
                                        ; implicit-def: $vgpr70
.LBB2_5357:                             ;   in Loop: Header=BB2_5290 Depth=2
	s_and_not1_saveexec_b32 s7, s11
; %bb.5358:                             ;   in Loop: Header=BB2_5290 Depth=2
	v_or_b32_e32 v98, 0x7b, v70
; %bb.5359:                             ;   in Loop: Header=BB2_5290 Depth=2
	s_or_b32 exec_lo, exec_lo, s7
                                        ; implicit-def: $vgpr66
.LBB2_5360:                             ;   in Loop: Header=BB2_5290 Depth=2
	s_and_not1_saveexec_b32 s7, s10
	s_cbranch_execz .LBB2_5366
; %bb.5361:                             ;   in Loop: Header=BB2_5290 Depth=2
	s_mov_b32 s10, exec_lo
                                        ; implicit-def: $vgpr98
	v_cmpx_ne_u64_e32 0, v[32:33]
	s_xor_b32 s10, exec_lo, s10
; %bb.5362:                             ;   in Loop: Header=BB2_5290 Depth=2
	v_lshrrev_b32_e32 v32, 24, v66
                                        ; implicit-def: $vgpr66
	s_delay_alu instid0(VALU_DEP_1)
	v_or_b32_e32 v98, 0x7f, v32
; %bb.5363:                             ;   in Loop: Header=BB2_5290 Depth=2
	s_and_not1_saveexec_b32 s10, s10
; %bb.5364:                             ;   in Loop: Header=BB2_5290 Depth=2
	v_cmp_lt_i32_e32 vcc_lo, -1, v66
	v_cndmask_b32_e64 v98, -4, 0x7c, vcc_lo
; %bb.5365:                             ;   in Loop: Header=BB2_5290 Depth=2
	s_or_b32 exec_lo, exec_lo, s10
.LBB2_5366:                             ;   in Loop: Header=BB2_5290 Depth=2
	s_delay_alu instid0(SALU_CYCLE_1)
	s_or_b32 exec_lo, exec_lo, s7
	flat_load_i8 v32, v[10:11] offset:64 th:TH_LOAD_NT
	v_mov_b32_e32 v67, 0
	s_mov_b32 s7, exec_lo
	s_wait_loadcnt_dscnt 0x0
	v_cmpx_ne_u16_e32 0, v32
	s_cbranch_execz .LBB2_5376
; %bb.5367:                             ;   in Loop: Header=BB2_5290 Depth=2
	v_bfrev_b32_e32 v67, 1
	s_mov_b32 s10, exec_lo
	v_cmpx_ne_u16_e32 0xff80, v32
	s_cbranch_execz .LBB2_5375
; %bb.5368:                             ;   in Loop: Header=BB2_5290 Depth=2
	v_and_b32_e32 v67, 0x7c, v32
	v_and_b32_e32 v66, 3, v32
	s_delay_alu instid0(VALU_DEP_2) | instskip(SKIP_1) | instid1(SALU_CYCLE_1)
	v_cmp_ne_u32_e32 vcc_lo, 0x7c, v67
                                        ; implicit-def: $vgpr67
	s_and_saveexec_b32 s11, vcc_lo
	s_xor_b32 s11, exec_lo, s11
	s_cbranch_execz .LBB2_5372
; %bb.5369:                             ;   in Loop: Header=BB2_5290 Depth=2
	v_and_b32_e32 v67, 0xff, v32
	s_mov_b32 s29, exec_lo
	s_delay_alu instid0(VALU_DEP_1) | instskip(NEXT) | instid1(VALU_DEP_1)
	v_bfe_u32 v67, v67, 2, 5
	v_cmpx_eq_u32_e32 0, v67
; %bb.5370:                             ;   in Loop: Header=BB2_5290 Depth=2
	v_clz_i32_u32_e32 v66, v66
	s_delay_alu instid0(VALU_DEP_1) | instskip(NEXT) | instid1(VALU_DEP_1)
	v_min_u32_e32 v68, 32, v66
	v_subrev_nc_u32_e32 v66, 29, v68
	s_delay_alu instid0(VALU_DEP_1) | instskip(NEXT) | instid1(VALU_DEP_1)
	v_lshlrev_b64_e32 v[66:67], v66, v[32:33]
	v_dual_sub_nc_u32 v67, 30, v68 :: v_dual_bitop2_b32 v66, 3, v66 bitop3:0x40
; %bb.5371:                             ;   in Loop: Header=BB2_5290 Depth=2
	s_or_b32 exec_lo, exec_lo, s29
	v_bfe_i32 v32, v32, 0, 16
	s_delay_alu instid0(VALU_DEP_1) | instskip(NEXT) | instid1(VALU_DEP_1)
	v_and_b32_e32 v32, 0x80000000, v32
	v_lshl_add_u32 v32, v67, 23, v32
	s_delay_alu instid0(VALU_DEP_1) | instskip(NEXT) | instid1(VALU_DEP_1)
	v_lshl_or_b32 v32, v66, 21, v32
                                        ; implicit-def: $vgpr66
	v_add_nc_u32_e32 v67, 0x38000000, v32
.LBB2_5372:                             ;   in Loop: Header=BB2_5290 Depth=2
	s_and_not1_saveexec_b32 s11, s11
; %bb.5373:                             ;   in Loop: Header=BB2_5290 Depth=2
	v_cmp_lt_i16_e32 vcc_lo, -1, v32
	v_cndmask_b32_e32 v32, 0xff800000, v45, vcc_lo
	v_cmp_eq_u32_e32 vcc_lo, 0, v66
	s_delay_alu instid0(VALU_DEP_2)
	v_cndmask_b32_e32 v67, 0x7f800001, v32, vcc_lo
; %bb.5374:                             ;   in Loop: Header=BB2_5290 Depth=2
	s_or_b32 exec_lo, exec_lo, s11
.LBB2_5375:                             ;   in Loop: Header=BB2_5290 Depth=2
	s_delay_alu instid0(SALU_CYCLE_1)
	s_or_b32 exec_lo, exec_lo, s10
.LBB2_5376:                             ;   in Loop: Header=BB2_5290 Depth=2
	s_delay_alu instid0(SALU_CYCLE_1) | instskip(NEXT) | instid1(VALU_DEP_1)
	s_or_b32 exec_lo, exec_lo, s7
	v_dual_mul_f32 v66, s28, v67 :: v_dual_mov_b32 v69, v33
                                        ; implicit-def: $vgpr96
	s_mov_b32 s7, exec_lo
	s_delay_alu instid0(VALU_DEP_1) | instskip(SKIP_1) | instid1(VALU_DEP_2)
	v_and_b32_e32 v68, 0x7f800000, v66
	v_and_b32_e32 v32, 0x7fffff, v66
	v_cmpx_ne_u64_e32 0x7f800000, v[68:69]
	s_xor_b32 s10, exec_lo, s7
	s_cbranch_execz .LBB2_5394
; %bb.5377:                             ;   in Loop: Header=BB2_5290 Depth=2
	v_dual_mov_b32 v69, v33 :: v_dual_lshrrev_b32 v67, 24, v66
	v_and_b32_e32 v68, 0x7fffffff, v66
                                        ; implicit-def: $vgpr96
	s_mov_b32 s7, exec_lo
	s_delay_alu instid0(VALU_DEP_2) | instskip(NEXT) | instid1(VALU_DEP_2)
	v_and_b32_e32 v70, 0x80, v67
	v_cmpx_gt_u64_e32 0x47600001, v[68:69]
	s_xor_b32 s11, exec_lo, s7
	s_cbranch_execz .LBB2_5391
; %bb.5378:                             ;   in Loop: Header=BB2_5290 Depth=2
	v_mov_b32_e32 v96, 0
	s_mov_b32 s29, exec_lo
	v_cmpx_ne_u32_e32 0, v66
	s_cbranch_execz .LBB2_5390
; %bb.5379:                             ;   in Loop: Header=BB2_5290 Depth=2
	v_bfe_u32 v71, v66, 23, 8
	v_or_b32_e32 v68, 0x800000, v32
	s_delay_alu instid0(VALU_DEP_2) | instskip(SKIP_1) | instid1(VALU_DEP_2)
	v_sub_nc_u32_e32 v66, 0x71, v71
	v_cmp_gt_u32_e32 vcc_lo, 0x72, v71
	v_cndmask_b32_e32 v66, 0, v66, vcc_lo
	v_cmp_eq_u32_e32 vcc_lo, 0, v71
	s_delay_alu instid0(VALU_DEP_2) | instskip(SKIP_1) | instid1(VALU_DEP_2)
	v_cndmask_b32_e64 v80, v66, 0x70, vcc_lo
	v_cndmask_b32_e32 v32, v68, v32, vcc_lo
	v_dual_add_nc_u32 v66, 21, v80 :: v_dual_add_nc_u32 v69, 20, v80
	s_delay_alu instid0(VALU_DEP_1) | instskip(NEXT) | instid1(VALU_DEP_2)
	v_lshlrev_b64_e64 v[66:67], v66, -1
	v_lshlrev_b64_e64 v[68:69], v69, 1
	s_delay_alu instid0(VALU_DEP_2) | instskip(NEXT) | instid1(VALU_DEP_3)
	v_bfi_b32 v83, v67, 0, 0
	v_bfi_b32 v82, v66, 0, v32
	v_lshrrev_b64 v[66:67], v80, v[32:33]
	s_delay_alu instid0(VALU_DEP_2) | instskip(NEXT) | instid1(VALU_DEP_2)
	v_cmp_eq_u64_e64 s7, v[82:83], v[68:69]
	v_mov_b64_e32 v[68:69], v[66:67]
	s_and_saveexec_b32 s40, s7
; %bb.5380:                             ;   in Loop: Header=BB2_5290 Depth=2
	v_bfe_u32 v32, v66, 21, 1
	s_delay_alu instid0(VALU_DEP_1) | instskip(NEXT) | instid1(VALU_DEP_1)
	v_add_nc_u64_e32 v[68:69], v[66:67], v[32:33]
	v_add_nc_u64_e32 v[68:69], -1, v[68:69]
; %bb.5381:                             ;   in Loop: Header=BB2_5290 Depth=2
	s_or_b32 exec_lo, exec_lo, s40
	v_add_nc_u32_e32 v32, 0xffffff81, v71
	v_lshrrev_b32_e32 v67, 23, v66
	s_mov_b32 s7, exec_lo
	s_delay_alu instid0(VALU_DEP_2) | instskip(NEXT) | instid1(VALU_DEP_1)
	v_cndmask_b32_e64 v32, v32, 0xffffff82, vcc_lo
	v_add3_u32 v69, v80, v32, v67
	v_and_b32_e32 v32, 0x1fffff, v68
                                        ; implicit-def: $vgpr68
	s_delay_alu instid0(VALU_DEP_1) | instskip(NEXT) | instid1(VALU_DEP_1)
	v_dual_add_nc_u32 v71, 14, v69 :: v_dual_add_nc_u32 v32, v32, v66
                                        ; implicit-def: $vgpr66_vgpr67
	v_cmpx_ne_u32_e32 0, v71
	s_xor_b32 s7, exec_lo, s7
; %bb.5382:                             ;   in Loop: Header=BB2_5290 Depth=2
	s_delay_alu instid0(VALU_DEP_2) | instskip(SKIP_1) | instid1(VALU_DEP_1)
	v_cmp_lt_u64_e32 vcc_lo, 0xffffff, v[32:33]
	v_add_nc_u32_e32 v66, 15, v69
	v_cndmask_b32_e32 v68, v71, v66, vcc_lo
	v_cndmask_b32_e64 v66, 0, 1, vcc_lo
	s_delay_alu instid0(VALU_DEP_1)
	v_lshrrev_b64 v[66:67], v66, v[32:33]
; %bb.5383:                             ;   in Loop: Header=BB2_5290 Depth=2
	s_and_not1_saveexec_b32 s7, s7
; %bb.5384:                             ;   in Loop: Header=BB2_5290 Depth=2
	v_mov_b64_e32 v[66:67], v[32:33]
	v_bfe_u32 v68, v32, 23, 1
; %bb.5385:                             ;   in Loop: Header=BB2_5290 Depth=2
	s_or_b32 exec_lo, exec_lo, s7
	s_delay_alu instid0(VALU_DEP_2) | instskip(NEXT) | instid1(VALU_DEP_2)
	v_lshrrev_b64 v[66:67], 21, v[66:67]
	v_cmp_gt_i32_e32 vcc_lo, 32, v68
	v_cmp_ne_u32_e64 s7, 0, v68
                                        ; implicit-def: $vgpr96
	s_delay_alu instid0(VALU_DEP_3) | instskip(NEXT) | instid1(VALU_DEP_1)
	v_dual_cndmask_b32 v67, 0, v67 :: v_dual_cndmask_b32 v66, 3, v66
	v_cmp_ne_u64_e32 vcc_lo, 0, v[66:67]
	s_or_b32 s7, s7, vcc_lo
	s_delay_alu instid0(SALU_CYCLE_1) | instskip(NEXT) | instid1(SALU_CYCLE_1)
	s_and_saveexec_b32 s40, s7
	s_xor_b32 s7, exec_lo, s40
; %bb.5386:                             ;   in Loop: Header=BB2_5290 Depth=2
	v_min_i32_e32 v32, 31, v68
	s_delay_alu instid0(VALU_DEP_1) | instskip(NEXT) | instid1(VALU_DEP_1)
	v_lshl_or_b32 v32, v32, 2, v70
                                        ; implicit-def: $vgpr70
	v_and_or_b32 v96, v66, 3, v32
; %bb.5387:                             ;   in Loop: Header=BB2_5290 Depth=2
	s_and_not1_saveexec_b32 s7, s7
; %bb.5388:                             ;   in Loop: Header=BB2_5290 Depth=2
	v_mov_b32_e32 v96, v70
; %bb.5389:                             ;   in Loop: Header=BB2_5290 Depth=2
	s_or_b32 exec_lo, exec_lo, s7
.LBB2_5390:                             ;   in Loop: Header=BB2_5290 Depth=2
	s_delay_alu instid0(SALU_CYCLE_1)
	s_or_b32 exec_lo, exec_lo, s29
                                        ; implicit-def: $vgpr70
.LBB2_5391:                             ;   in Loop: Header=BB2_5290 Depth=2
	s_and_not1_saveexec_b32 s7, s11
; %bb.5392:                             ;   in Loop: Header=BB2_5290 Depth=2
	v_or_b32_e32 v96, 0x7b, v70
; %bb.5393:                             ;   in Loop: Header=BB2_5290 Depth=2
	s_or_b32 exec_lo, exec_lo, s7
                                        ; implicit-def: $vgpr66
.LBB2_5394:                             ;   in Loop: Header=BB2_5290 Depth=2
	s_and_not1_saveexec_b32 s7, s10
	s_cbranch_execz .LBB2_5400
; %bb.5395:                             ;   in Loop: Header=BB2_5290 Depth=2
	s_mov_b32 s10, exec_lo
                                        ; implicit-def: $vgpr96
	v_cmpx_ne_u64_e32 0, v[32:33]
	s_xor_b32 s10, exec_lo, s10
; %bb.5396:                             ;   in Loop: Header=BB2_5290 Depth=2
	v_lshrrev_b32_e32 v32, 24, v66
                                        ; implicit-def: $vgpr66
	s_delay_alu instid0(VALU_DEP_1)
	v_or_b32_e32 v96, 0x7f, v32
; %bb.5397:                             ;   in Loop: Header=BB2_5290 Depth=2
	s_and_not1_saveexec_b32 s10, s10
; %bb.5398:                             ;   in Loop: Header=BB2_5290 Depth=2
	v_cmp_lt_i32_e32 vcc_lo, -1, v66
	v_cndmask_b32_e64 v96, -4, 0x7c, vcc_lo
; %bb.5399:                             ;   in Loop: Header=BB2_5290 Depth=2
	s_or_b32 exec_lo, exec_lo, s10
.LBB2_5400:                             ;   in Loop: Header=BB2_5290 Depth=2
	s_delay_alu instid0(SALU_CYCLE_1)
	s_or_b32 exec_lo, exec_lo, s7
	flat_load_i8 v32, v[10:11] offset:96 th:TH_LOAD_NT
	v_mov_b32_e32 v67, 0
	s_mov_b32 s7, exec_lo
	s_wait_loadcnt_dscnt 0x0
	v_cmpx_ne_u16_e32 0, v32
	s_cbranch_execz .LBB2_5410
; %bb.5401:                             ;   in Loop: Header=BB2_5290 Depth=2
	v_bfrev_b32_e32 v67, 1
	s_mov_b32 s10, exec_lo
	v_cmpx_ne_u16_e32 0xff80, v32
	s_cbranch_execz .LBB2_5409
; %bb.5402:                             ;   in Loop: Header=BB2_5290 Depth=2
	v_and_b32_e32 v67, 0x7c, v32
	v_and_b32_e32 v66, 3, v32
	s_delay_alu instid0(VALU_DEP_2) | instskip(SKIP_1) | instid1(SALU_CYCLE_1)
	v_cmp_ne_u32_e32 vcc_lo, 0x7c, v67
                                        ; implicit-def: $vgpr67
	s_and_saveexec_b32 s11, vcc_lo
	s_xor_b32 s11, exec_lo, s11
	s_cbranch_execz .LBB2_5406
; %bb.5403:                             ;   in Loop: Header=BB2_5290 Depth=2
	v_and_b32_e32 v67, 0xff, v32
	s_mov_b32 s29, exec_lo
	s_delay_alu instid0(VALU_DEP_1) | instskip(NEXT) | instid1(VALU_DEP_1)
	v_bfe_u32 v67, v67, 2, 5
	v_cmpx_eq_u32_e32 0, v67
; %bb.5404:                             ;   in Loop: Header=BB2_5290 Depth=2
	v_clz_i32_u32_e32 v66, v66
	s_delay_alu instid0(VALU_DEP_1) | instskip(NEXT) | instid1(VALU_DEP_1)
	v_min_u32_e32 v68, 32, v66
	v_subrev_nc_u32_e32 v66, 29, v68
	s_delay_alu instid0(VALU_DEP_1) | instskip(NEXT) | instid1(VALU_DEP_1)
	v_lshlrev_b64_e32 v[66:67], v66, v[32:33]
	v_dual_sub_nc_u32 v67, 30, v68 :: v_dual_bitop2_b32 v66, 3, v66 bitop3:0x40
; %bb.5405:                             ;   in Loop: Header=BB2_5290 Depth=2
	s_or_b32 exec_lo, exec_lo, s29
	v_bfe_i32 v32, v32, 0, 16
	s_delay_alu instid0(VALU_DEP_1) | instskip(NEXT) | instid1(VALU_DEP_1)
	v_and_b32_e32 v32, 0x80000000, v32
	v_lshl_add_u32 v32, v67, 23, v32
	s_delay_alu instid0(VALU_DEP_1) | instskip(NEXT) | instid1(VALU_DEP_1)
	v_lshl_or_b32 v32, v66, 21, v32
                                        ; implicit-def: $vgpr66
	v_add_nc_u32_e32 v67, 0x38000000, v32
.LBB2_5406:                             ;   in Loop: Header=BB2_5290 Depth=2
	s_and_not1_saveexec_b32 s11, s11
; %bb.5407:                             ;   in Loop: Header=BB2_5290 Depth=2
	v_cmp_lt_i16_e32 vcc_lo, -1, v32
	v_cndmask_b32_e32 v32, 0xff800000, v45, vcc_lo
	v_cmp_eq_u32_e32 vcc_lo, 0, v66
	s_delay_alu instid0(VALU_DEP_2)
	v_cndmask_b32_e32 v67, 0x7f800001, v32, vcc_lo
; %bb.5408:                             ;   in Loop: Header=BB2_5290 Depth=2
	s_or_b32 exec_lo, exec_lo, s11
.LBB2_5409:                             ;   in Loop: Header=BB2_5290 Depth=2
	s_delay_alu instid0(SALU_CYCLE_1)
	s_or_b32 exec_lo, exec_lo, s10
.LBB2_5410:                             ;   in Loop: Header=BB2_5290 Depth=2
	s_delay_alu instid0(SALU_CYCLE_1) | instskip(NEXT) | instid1(VALU_DEP_1)
	s_or_b32 exec_lo, exec_lo, s7
	v_dual_mul_f32 v66, s28, v67 :: v_dual_mov_b32 v69, v33
                                        ; implicit-def: $vgpr84
	s_mov_b32 s7, exec_lo
	s_delay_alu instid0(VALU_DEP_1) | instskip(SKIP_1) | instid1(VALU_DEP_2)
	v_and_b32_e32 v68, 0x7f800000, v66
	v_and_b32_e32 v32, 0x7fffff, v66
	v_cmpx_ne_u64_e32 0x7f800000, v[68:69]
	s_xor_b32 s10, exec_lo, s7
	s_cbranch_execz .LBB2_5428
; %bb.5411:                             ;   in Loop: Header=BB2_5290 Depth=2
	v_dual_mov_b32 v69, v33 :: v_dual_lshrrev_b32 v67, 24, v66
	v_and_b32_e32 v68, 0x7fffffff, v66
                                        ; implicit-def: $vgpr84
	s_mov_b32 s7, exec_lo
	s_delay_alu instid0(VALU_DEP_2) | instskip(NEXT) | instid1(VALU_DEP_2)
	v_and_b32_e32 v70, 0x80, v67
	v_cmpx_gt_u64_e32 0x47600001, v[68:69]
	s_xor_b32 s11, exec_lo, s7
	s_cbranch_execz .LBB2_5425
; %bb.5412:                             ;   in Loop: Header=BB2_5290 Depth=2
	v_mov_b32_e32 v84, 0
	s_mov_b32 s29, exec_lo
	v_cmpx_ne_u32_e32 0, v66
	s_cbranch_execz .LBB2_5424
; %bb.5413:                             ;   in Loop: Header=BB2_5290 Depth=2
	v_bfe_u32 v71, v66, 23, 8
	v_or_b32_e32 v68, 0x800000, v32
	s_delay_alu instid0(VALU_DEP_2) | instskip(SKIP_1) | instid1(VALU_DEP_2)
	v_sub_nc_u32_e32 v66, 0x71, v71
	v_cmp_gt_u32_e32 vcc_lo, 0x72, v71
	v_cndmask_b32_e32 v66, 0, v66, vcc_lo
	v_cmp_eq_u32_e32 vcc_lo, 0, v71
	s_delay_alu instid0(VALU_DEP_2) | instskip(SKIP_1) | instid1(VALU_DEP_2)
	v_cndmask_b32_e64 v80, v66, 0x70, vcc_lo
	v_cndmask_b32_e32 v32, v68, v32, vcc_lo
	v_dual_add_nc_u32 v66, 21, v80 :: v_dual_add_nc_u32 v69, 20, v80
	s_delay_alu instid0(VALU_DEP_1) | instskip(NEXT) | instid1(VALU_DEP_2)
	v_lshlrev_b64_e64 v[66:67], v66, -1
	v_lshlrev_b64_e64 v[68:69], v69, 1
	s_delay_alu instid0(VALU_DEP_2) | instskip(NEXT) | instid1(VALU_DEP_3)
	v_bfi_b32 v83, v67, 0, 0
	v_bfi_b32 v82, v66, 0, v32
	v_lshrrev_b64 v[66:67], v80, v[32:33]
	s_delay_alu instid0(VALU_DEP_2) | instskip(NEXT) | instid1(VALU_DEP_2)
	v_cmp_eq_u64_e64 s7, v[82:83], v[68:69]
	v_mov_b64_e32 v[68:69], v[66:67]
	s_and_saveexec_b32 s40, s7
; %bb.5414:                             ;   in Loop: Header=BB2_5290 Depth=2
	v_bfe_u32 v32, v66, 21, 1
	s_delay_alu instid0(VALU_DEP_1) | instskip(NEXT) | instid1(VALU_DEP_1)
	v_add_nc_u64_e32 v[68:69], v[66:67], v[32:33]
	v_add_nc_u64_e32 v[68:69], -1, v[68:69]
; %bb.5415:                             ;   in Loop: Header=BB2_5290 Depth=2
	s_or_b32 exec_lo, exec_lo, s40
	v_add_nc_u32_e32 v32, 0xffffff81, v71
	v_lshrrev_b32_e32 v67, 23, v66
	s_mov_b32 s7, exec_lo
	s_delay_alu instid0(VALU_DEP_2) | instskip(NEXT) | instid1(VALU_DEP_1)
	v_cndmask_b32_e64 v32, v32, 0xffffff82, vcc_lo
	v_add3_u32 v69, v80, v32, v67
	v_and_b32_e32 v32, 0x1fffff, v68
                                        ; implicit-def: $vgpr68
	s_delay_alu instid0(VALU_DEP_1) | instskip(NEXT) | instid1(VALU_DEP_1)
	v_dual_add_nc_u32 v71, 14, v69 :: v_dual_add_nc_u32 v32, v32, v66
                                        ; implicit-def: $vgpr66_vgpr67
	v_cmpx_ne_u32_e32 0, v71
	s_xor_b32 s7, exec_lo, s7
; %bb.5416:                             ;   in Loop: Header=BB2_5290 Depth=2
	s_delay_alu instid0(VALU_DEP_2) | instskip(SKIP_1) | instid1(VALU_DEP_1)
	v_cmp_lt_u64_e32 vcc_lo, 0xffffff, v[32:33]
	v_add_nc_u32_e32 v66, 15, v69
	v_cndmask_b32_e32 v68, v71, v66, vcc_lo
	v_cndmask_b32_e64 v66, 0, 1, vcc_lo
	s_delay_alu instid0(VALU_DEP_1)
	v_lshrrev_b64 v[66:67], v66, v[32:33]
; %bb.5417:                             ;   in Loop: Header=BB2_5290 Depth=2
	s_and_not1_saveexec_b32 s7, s7
; %bb.5418:                             ;   in Loop: Header=BB2_5290 Depth=2
	v_mov_b64_e32 v[66:67], v[32:33]
	v_bfe_u32 v68, v32, 23, 1
; %bb.5419:                             ;   in Loop: Header=BB2_5290 Depth=2
	s_or_b32 exec_lo, exec_lo, s7
	s_delay_alu instid0(VALU_DEP_2) | instskip(NEXT) | instid1(VALU_DEP_2)
	v_lshrrev_b64 v[66:67], 21, v[66:67]
	v_cmp_gt_i32_e32 vcc_lo, 32, v68
	v_cmp_ne_u32_e64 s7, 0, v68
                                        ; implicit-def: $vgpr84
	s_delay_alu instid0(VALU_DEP_3) | instskip(NEXT) | instid1(VALU_DEP_1)
	v_dual_cndmask_b32 v67, 0, v67 :: v_dual_cndmask_b32 v66, 3, v66
	v_cmp_ne_u64_e32 vcc_lo, 0, v[66:67]
	s_or_b32 s7, s7, vcc_lo
	s_delay_alu instid0(SALU_CYCLE_1) | instskip(NEXT) | instid1(SALU_CYCLE_1)
	s_and_saveexec_b32 s40, s7
	s_xor_b32 s7, exec_lo, s40
; %bb.5420:                             ;   in Loop: Header=BB2_5290 Depth=2
	v_min_i32_e32 v32, 31, v68
	s_delay_alu instid0(VALU_DEP_1) | instskip(NEXT) | instid1(VALU_DEP_1)
	v_lshl_or_b32 v32, v32, 2, v70
                                        ; implicit-def: $vgpr70
	v_and_or_b32 v84, v66, 3, v32
; %bb.5421:                             ;   in Loop: Header=BB2_5290 Depth=2
	s_and_not1_saveexec_b32 s7, s7
; %bb.5422:                             ;   in Loop: Header=BB2_5290 Depth=2
	v_mov_b32_e32 v84, v70
; %bb.5423:                             ;   in Loop: Header=BB2_5290 Depth=2
	s_or_b32 exec_lo, exec_lo, s7
.LBB2_5424:                             ;   in Loop: Header=BB2_5290 Depth=2
	s_delay_alu instid0(SALU_CYCLE_1)
	s_or_b32 exec_lo, exec_lo, s29
                                        ; implicit-def: $vgpr70
.LBB2_5425:                             ;   in Loop: Header=BB2_5290 Depth=2
	s_and_not1_saveexec_b32 s7, s11
; %bb.5426:                             ;   in Loop: Header=BB2_5290 Depth=2
	v_or_b32_e32 v84, 0x7b, v70
; %bb.5427:                             ;   in Loop: Header=BB2_5290 Depth=2
	s_or_b32 exec_lo, exec_lo, s7
                                        ; implicit-def: $vgpr66
.LBB2_5428:                             ;   in Loop: Header=BB2_5290 Depth=2
	s_and_not1_saveexec_b32 s7, s10
	s_cbranch_execz .LBB2_5434
; %bb.5429:                             ;   in Loop: Header=BB2_5290 Depth=2
	s_mov_b32 s10, exec_lo
                                        ; implicit-def: $vgpr84
	v_cmpx_ne_u64_e32 0, v[32:33]
	s_xor_b32 s10, exec_lo, s10
; %bb.5430:                             ;   in Loop: Header=BB2_5290 Depth=2
	v_lshrrev_b32_e32 v32, 24, v66
                                        ; implicit-def: $vgpr66
	s_delay_alu instid0(VALU_DEP_1)
	v_or_b32_e32 v84, 0x7f, v32
; %bb.5431:                             ;   in Loop: Header=BB2_5290 Depth=2
	s_and_not1_saveexec_b32 s10, s10
; %bb.5432:                             ;   in Loop: Header=BB2_5290 Depth=2
	v_cmp_lt_i32_e32 vcc_lo, -1, v66
	v_cndmask_b32_e64 v84, -4, 0x7c, vcc_lo
; %bb.5433:                             ;   in Loop: Header=BB2_5290 Depth=2
	s_or_b32 exec_lo, exec_lo, s10
.LBB2_5434:                             ;   in Loop: Header=BB2_5290 Depth=2
	s_delay_alu instid0(SALU_CYCLE_1)
	s_or_b32 exec_lo, exec_lo, s7
	flat_load_i8 v32, v[10:11] offset:128 th:TH_LOAD_NT
	v_mov_b32_e32 v67, 0
	s_mov_b32 s7, exec_lo
	s_wait_loadcnt_dscnt 0x0
	v_cmpx_ne_u16_e32 0, v32
	s_cbranch_execz .LBB2_5444
; %bb.5435:                             ;   in Loop: Header=BB2_5290 Depth=2
	v_bfrev_b32_e32 v67, 1
	s_mov_b32 s10, exec_lo
	v_cmpx_ne_u16_e32 0xff80, v32
	s_cbranch_execz .LBB2_5443
; %bb.5436:                             ;   in Loop: Header=BB2_5290 Depth=2
	v_and_b32_e32 v67, 0x7c, v32
	v_and_b32_e32 v66, 3, v32
	s_delay_alu instid0(VALU_DEP_2) | instskip(SKIP_1) | instid1(SALU_CYCLE_1)
	v_cmp_ne_u32_e32 vcc_lo, 0x7c, v67
                                        ; implicit-def: $vgpr67
	s_and_saveexec_b32 s11, vcc_lo
	s_xor_b32 s11, exec_lo, s11
	s_cbranch_execz .LBB2_5440
; %bb.5437:                             ;   in Loop: Header=BB2_5290 Depth=2
	v_and_b32_e32 v67, 0xff, v32
	s_mov_b32 s29, exec_lo
	s_delay_alu instid0(VALU_DEP_1) | instskip(NEXT) | instid1(VALU_DEP_1)
	v_bfe_u32 v67, v67, 2, 5
	v_cmpx_eq_u32_e32 0, v67
; %bb.5438:                             ;   in Loop: Header=BB2_5290 Depth=2
	v_clz_i32_u32_e32 v66, v66
	s_delay_alu instid0(VALU_DEP_1) | instskip(NEXT) | instid1(VALU_DEP_1)
	v_min_u32_e32 v68, 32, v66
	v_subrev_nc_u32_e32 v66, 29, v68
	s_delay_alu instid0(VALU_DEP_1) | instskip(NEXT) | instid1(VALU_DEP_1)
	v_lshlrev_b64_e32 v[66:67], v66, v[32:33]
	v_dual_sub_nc_u32 v67, 30, v68 :: v_dual_bitop2_b32 v66, 3, v66 bitop3:0x40
; %bb.5439:                             ;   in Loop: Header=BB2_5290 Depth=2
	s_or_b32 exec_lo, exec_lo, s29
	v_bfe_i32 v32, v32, 0, 16
	s_delay_alu instid0(VALU_DEP_1) | instskip(NEXT) | instid1(VALU_DEP_1)
	v_and_b32_e32 v32, 0x80000000, v32
	v_lshl_add_u32 v32, v67, 23, v32
	s_delay_alu instid0(VALU_DEP_1) | instskip(NEXT) | instid1(VALU_DEP_1)
	v_lshl_or_b32 v32, v66, 21, v32
                                        ; implicit-def: $vgpr66
	v_add_nc_u32_e32 v67, 0x38000000, v32
.LBB2_5440:                             ;   in Loop: Header=BB2_5290 Depth=2
	s_and_not1_saveexec_b32 s11, s11
; %bb.5441:                             ;   in Loop: Header=BB2_5290 Depth=2
	v_cmp_lt_i16_e32 vcc_lo, -1, v32
	v_cndmask_b32_e32 v32, 0xff800000, v45, vcc_lo
	v_cmp_eq_u32_e32 vcc_lo, 0, v66
	s_delay_alu instid0(VALU_DEP_2)
	v_cndmask_b32_e32 v67, 0x7f800001, v32, vcc_lo
; %bb.5442:                             ;   in Loop: Header=BB2_5290 Depth=2
	s_or_b32 exec_lo, exec_lo, s11
.LBB2_5443:                             ;   in Loop: Header=BB2_5290 Depth=2
	s_delay_alu instid0(SALU_CYCLE_1)
	s_or_b32 exec_lo, exec_lo, s10
.LBB2_5444:                             ;   in Loop: Header=BB2_5290 Depth=2
	s_delay_alu instid0(SALU_CYCLE_1) | instskip(NEXT) | instid1(VALU_DEP_1)
	s_or_b32 exec_lo, exec_lo, s7
	v_dual_mul_f32 v66, s28, v67 :: v_dual_mov_b32 v69, v33
                                        ; implicit-def: $vgpr82
	s_mov_b32 s7, exec_lo
	s_delay_alu instid0(VALU_DEP_1) | instskip(SKIP_1) | instid1(VALU_DEP_2)
	v_and_b32_e32 v68, 0x7f800000, v66
	v_and_b32_e32 v32, 0x7fffff, v66
	v_cmpx_ne_u64_e32 0x7f800000, v[68:69]
	s_xor_b32 s10, exec_lo, s7
	s_cbranch_execz .LBB2_5462
; %bb.5445:                             ;   in Loop: Header=BB2_5290 Depth=2
	v_dual_mov_b32 v69, v33 :: v_dual_lshrrev_b32 v67, 24, v66
	v_and_b32_e32 v68, 0x7fffffff, v66
                                        ; implicit-def: $vgpr82
	s_mov_b32 s7, exec_lo
	s_delay_alu instid0(VALU_DEP_2) | instskip(NEXT) | instid1(VALU_DEP_2)
	v_and_b32_e32 v70, 0x80, v67
	v_cmpx_gt_u64_e32 0x47600001, v[68:69]
	s_xor_b32 s11, exec_lo, s7
	s_cbranch_execz .LBB2_5459
; %bb.5446:                             ;   in Loop: Header=BB2_5290 Depth=2
	v_mov_b32_e32 v82, 0
	s_mov_b32 s29, exec_lo
	v_cmpx_ne_u32_e32 0, v66
	s_cbranch_execz .LBB2_5458
; %bb.5447:                             ;   in Loop: Header=BB2_5290 Depth=2
	v_bfe_u32 v71, v66, 23, 8
	v_or_b32_e32 v68, 0x800000, v32
	s_delay_alu instid0(VALU_DEP_2) | instskip(SKIP_1) | instid1(VALU_DEP_2)
	v_sub_nc_u32_e32 v66, 0x71, v71
	v_cmp_gt_u32_e32 vcc_lo, 0x72, v71
	v_cndmask_b32_e32 v66, 0, v66, vcc_lo
	v_cmp_eq_u32_e32 vcc_lo, 0, v71
	s_delay_alu instid0(VALU_DEP_2) | instskip(SKIP_1) | instid1(VALU_DEP_2)
	v_cndmask_b32_e64 v80, v66, 0x70, vcc_lo
	v_cndmask_b32_e32 v32, v68, v32, vcc_lo
	v_dual_add_nc_u32 v66, 21, v80 :: v_dual_add_nc_u32 v69, 20, v80
	s_delay_alu instid0(VALU_DEP_1) | instskip(NEXT) | instid1(VALU_DEP_2)
	v_lshlrev_b64_e64 v[66:67], v66, -1
	v_lshlrev_b64_e64 v[68:69], v69, 1
	s_delay_alu instid0(VALU_DEP_2) | instskip(NEXT) | instid1(VALU_DEP_3)
	v_bfi_b32 v83, v67, 0, 0
	v_bfi_b32 v82, v66, 0, v32
	v_lshrrev_b64 v[66:67], v80, v[32:33]
	s_delay_alu instid0(VALU_DEP_2) | instskip(NEXT) | instid1(VALU_DEP_2)
	v_cmp_eq_u64_e64 s7, v[82:83], v[68:69]
	v_mov_b64_e32 v[68:69], v[66:67]
	s_and_saveexec_b32 s40, s7
; %bb.5448:                             ;   in Loop: Header=BB2_5290 Depth=2
	v_bfe_u32 v32, v66, 21, 1
	s_delay_alu instid0(VALU_DEP_1) | instskip(NEXT) | instid1(VALU_DEP_1)
	v_add_nc_u64_e32 v[68:69], v[66:67], v[32:33]
	v_add_nc_u64_e32 v[68:69], -1, v[68:69]
; %bb.5449:                             ;   in Loop: Header=BB2_5290 Depth=2
	s_or_b32 exec_lo, exec_lo, s40
	v_add_nc_u32_e32 v32, 0xffffff81, v71
	v_lshrrev_b32_e32 v67, 23, v66
	s_mov_b32 s7, exec_lo
	s_delay_alu instid0(VALU_DEP_2) | instskip(NEXT) | instid1(VALU_DEP_1)
	v_cndmask_b32_e64 v32, v32, 0xffffff82, vcc_lo
	v_add3_u32 v69, v80, v32, v67
	v_and_b32_e32 v32, 0x1fffff, v68
                                        ; implicit-def: $vgpr68
	s_delay_alu instid0(VALU_DEP_1) | instskip(NEXT) | instid1(VALU_DEP_1)
	v_dual_add_nc_u32 v71, 14, v69 :: v_dual_add_nc_u32 v32, v32, v66
                                        ; implicit-def: $vgpr66_vgpr67
	v_cmpx_ne_u32_e32 0, v71
	s_xor_b32 s7, exec_lo, s7
; %bb.5450:                             ;   in Loop: Header=BB2_5290 Depth=2
	s_delay_alu instid0(VALU_DEP_2) | instskip(SKIP_1) | instid1(VALU_DEP_1)
	v_cmp_lt_u64_e32 vcc_lo, 0xffffff, v[32:33]
	v_add_nc_u32_e32 v66, 15, v69
	v_cndmask_b32_e32 v68, v71, v66, vcc_lo
	v_cndmask_b32_e64 v66, 0, 1, vcc_lo
	s_delay_alu instid0(VALU_DEP_1)
	v_lshrrev_b64 v[66:67], v66, v[32:33]
; %bb.5451:                             ;   in Loop: Header=BB2_5290 Depth=2
	s_and_not1_saveexec_b32 s7, s7
; %bb.5452:                             ;   in Loop: Header=BB2_5290 Depth=2
	v_mov_b64_e32 v[66:67], v[32:33]
	v_bfe_u32 v68, v32, 23, 1
; %bb.5453:                             ;   in Loop: Header=BB2_5290 Depth=2
	s_or_b32 exec_lo, exec_lo, s7
	s_delay_alu instid0(VALU_DEP_2) | instskip(NEXT) | instid1(VALU_DEP_2)
	v_lshrrev_b64 v[66:67], 21, v[66:67]
	v_cmp_gt_i32_e32 vcc_lo, 32, v68
	v_cmp_ne_u32_e64 s7, 0, v68
                                        ; implicit-def: $vgpr82
	s_delay_alu instid0(VALU_DEP_3) | instskip(NEXT) | instid1(VALU_DEP_1)
	v_dual_cndmask_b32 v67, 0, v67 :: v_dual_cndmask_b32 v66, 3, v66
	v_cmp_ne_u64_e32 vcc_lo, 0, v[66:67]
	s_or_b32 s7, s7, vcc_lo
	s_delay_alu instid0(SALU_CYCLE_1) | instskip(NEXT) | instid1(SALU_CYCLE_1)
	s_and_saveexec_b32 s40, s7
	s_xor_b32 s7, exec_lo, s40
; %bb.5454:                             ;   in Loop: Header=BB2_5290 Depth=2
	v_min_i32_e32 v32, 31, v68
	s_delay_alu instid0(VALU_DEP_1) | instskip(NEXT) | instid1(VALU_DEP_1)
	v_lshl_or_b32 v32, v32, 2, v70
                                        ; implicit-def: $vgpr70
	v_and_or_b32 v82, v66, 3, v32
; %bb.5455:                             ;   in Loop: Header=BB2_5290 Depth=2
	s_and_not1_saveexec_b32 s7, s7
; %bb.5456:                             ;   in Loop: Header=BB2_5290 Depth=2
	v_mov_b32_e32 v82, v70
; %bb.5457:                             ;   in Loop: Header=BB2_5290 Depth=2
	s_or_b32 exec_lo, exec_lo, s7
.LBB2_5458:                             ;   in Loop: Header=BB2_5290 Depth=2
	s_delay_alu instid0(SALU_CYCLE_1)
	s_or_b32 exec_lo, exec_lo, s29
                                        ; implicit-def: $vgpr70
.LBB2_5459:                             ;   in Loop: Header=BB2_5290 Depth=2
	s_and_not1_saveexec_b32 s7, s11
; %bb.5460:                             ;   in Loop: Header=BB2_5290 Depth=2
	v_or_b32_e32 v82, 0x7b, v70
; %bb.5461:                             ;   in Loop: Header=BB2_5290 Depth=2
	s_or_b32 exec_lo, exec_lo, s7
                                        ; implicit-def: $vgpr66
.LBB2_5462:                             ;   in Loop: Header=BB2_5290 Depth=2
	s_and_not1_saveexec_b32 s7, s10
	s_cbranch_execz .LBB2_5468
; %bb.5463:                             ;   in Loop: Header=BB2_5290 Depth=2
	s_mov_b32 s10, exec_lo
                                        ; implicit-def: $vgpr82
	v_cmpx_ne_u64_e32 0, v[32:33]
	s_xor_b32 s10, exec_lo, s10
; %bb.5464:                             ;   in Loop: Header=BB2_5290 Depth=2
	v_lshrrev_b32_e32 v32, 24, v66
                                        ; implicit-def: $vgpr66
	s_delay_alu instid0(VALU_DEP_1)
	v_or_b32_e32 v82, 0x7f, v32
; %bb.5465:                             ;   in Loop: Header=BB2_5290 Depth=2
	s_and_not1_saveexec_b32 s10, s10
; %bb.5466:                             ;   in Loop: Header=BB2_5290 Depth=2
	v_cmp_lt_i32_e32 vcc_lo, -1, v66
	v_cndmask_b32_e64 v82, -4, 0x7c, vcc_lo
; %bb.5467:                             ;   in Loop: Header=BB2_5290 Depth=2
	s_or_b32 exec_lo, exec_lo, s10
.LBB2_5468:                             ;   in Loop: Header=BB2_5290 Depth=2
	s_delay_alu instid0(SALU_CYCLE_1)
	s_or_b32 exec_lo, exec_lo, s7
	flat_load_i8 v32, v[10:11] offset:160 th:TH_LOAD_NT
	v_mov_b32_e32 v67, 0
	s_mov_b32 s7, exec_lo
	s_wait_loadcnt_dscnt 0x0
	v_cmpx_ne_u16_e32 0, v32
	s_cbranch_execz .LBB2_5478
; %bb.5469:                             ;   in Loop: Header=BB2_5290 Depth=2
	v_bfrev_b32_e32 v67, 1
	s_mov_b32 s10, exec_lo
	v_cmpx_ne_u16_e32 0xff80, v32
	s_cbranch_execz .LBB2_5477
; %bb.5470:                             ;   in Loop: Header=BB2_5290 Depth=2
	v_and_b32_e32 v67, 0x7c, v32
	v_and_b32_e32 v66, 3, v32
	s_delay_alu instid0(VALU_DEP_2) | instskip(SKIP_1) | instid1(SALU_CYCLE_1)
	v_cmp_ne_u32_e32 vcc_lo, 0x7c, v67
                                        ; implicit-def: $vgpr67
	s_and_saveexec_b32 s11, vcc_lo
	s_xor_b32 s11, exec_lo, s11
	s_cbranch_execz .LBB2_5474
; %bb.5471:                             ;   in Loop: Header=BB2_5290 Depth=2
	v_and_b32_e32 v67, 0xff, v32
	s_mov_b32 s29, exec_lo
	s_delay_alu instid0(VALU_DEP_1) | instskip(NEXT) | instid1(VALU_DEP_1)
	v_bfe_u32 v67, v67, 2, 5
	v_cmpx_eq_u32_e32 0, v67
; %bb.5472:                             ;   in Loop: Header=BB2_5290 Depth=2
	v_clz_i32_u32_e32 v66, v66
	s_delay_alu instid0(VALU_DEP_1) | instskip(NEXT) | instid1(VALU_DEP_1)
	v_min_u32_e32 v68, 32, v66
	v_subrev_nc_u32_e32 v66, 29, v68
	s_delay_alu instid0(VALU_DEP_1) | instskip(NEXT) | instid1(VALU_DEP_1)
	v_lshlrev_b64_e32 v[66:67], v66, v[32:33]
	v_dual_sub_nc_u32 v67, 30, v68 :: v_dual_bitop2_b32 v66, 3, v66 bitop3:0x40
; %bb.5473:                             ;   in Loop: Header=BB2_5290 Depth=2
	s_or_b32 exec_lo, exec_lo, s29
	v_bfe_i32 v32, v32, 0, 16
	s_delay_alu instid0(VALU_DEP_1) | instskip(NEXT) | instid1(VALU_DEP_1)
	v_and_b32_e32 v32, 0x80000000, v32
	v_lshl_add_u32 v32, v67, 23, v32
	s_delay_alu instid0(VALU_DEP_1) | instskip(NEXT) | instid1(VALU_DEP_1)
	v_lshl_or_b32 v32, v66, 21, v32
                                        ; implicit-def: $vgpr66
	v_add_nc_u32_e32 v67, 0x38000000, v32
.LBB2_5474:                             ;   in Loop: Header=BB2_5290 Depth=2
	s_and_not1_saveexec_b32 s11, s11
; %bb.5475:                             ;   in Loop: Header=BB2_5290 Depth=2
	v_cmp_lt_i16_e32 vcc_lo, -1, v32
	v_cndmask_b32_e32 v32, 0xff800000, v45, vcc_lo
	v_cmp_eq_u32_e32 vcc_lo, 0, v66
	s_delay_alu instid0(VALU_DEP_2)
	v_cndmask_b32_e32 v67, 0x7f800001, v32, vcc_lo
; %bb.5476:                             ;   in Loop: Header=BB2_5290 Depth=2
	s_or_b32 exec_lo, exec_lo, s11
.LBB2_5477:                             ;   in Loop: Header=BB2_5290 Depth=2
	s_delay_alu instid0(SALU_CYCLE_1)
	s_or_b32 exec_lo, exec_lo, s10
.LBB2_5478:                             ;   in Loop: Header=BB2_5290 Depth=2
	s_delay_alu instid0(SALU_CYCLE_1) | instskip(NEXT) | instid1(VALU_DEP_1)
	s_or_b32 exec_lo, exec_lo, s7
	v_dual_mul_f32 v66, s28, v67 :: v_dual_mov_b32 v69, v33
                                        ; implicit-def: $vgpr80
	s_mov_b32 s7, exec_lo
	s_delay_alu instid0(VALU_DEP_1) | instskip(SKIP_1) | instid1(VALU_DEP_2)
	v_and_b32_e32 v68, 0x7f800000, v66
	v_and_b32_e32 v32, 0x7fffff, v66
	v_cmpx_ne_u64_e32 0x7f800000, v[68:69]
	s_xor_b32 s10, exec_lo, s7
	s_cbranch_execz .LBB2_5496
; %bb.5479:                             ;   in Loop: Header=BB2_5290 Depth=2
	v_dual_mov_b32 v69, v33 :: v_dual_lshrrev_b32 v67, 24, v66
	v_and_b32_e32 v68, 0x7fffffff, v66
                                        ; implicit-def: $vgpr80
	s_mov_b32 s7, exec_lo
	s_delay_alu instid0(VALU_DEP_2) | instskip(NEXT) | instid1(VALU_DEP_2)
	v_and_b32_e32 v70, 0x80, v67
	v_cmpx_gt_u64_e32 0x47600001, v[68:69]
	s_xor_b32 s11, exec_lo, s7
	s_cbranch_execz .LBB2_5493
; %bb.5480:                             ;   in Loop: Header=BB2_5290 Depth=2
	v_mov_b32_e32 v80, 0
	s_mov_b32 s29, exec_lo
	v_cmpx_ne_u32_e32 0, v66
	s_cbranch_execz .LBB2_5492
; %bb.5481:                             ;   in Loop: Header=BB2_5290 Depth=2
	v_bfe_u32 v71, v66, 23, 8
	v_or_b32_e32 v68, 0x800000, v32
	s_delay_alu instid0(VALU_DEP_2) | instskip(SKIP_1) | instid1(VALU_DEP_2)
	v_sub_nc_u32_e32 v66, 0x71, v71
	v_cmp_gt_u32_e32 vcc_lo, 0x72, v71
	v_cndmask_b32_e32 v66, 0, v66, vcc_lo
	v_cmp_eq_u32_e32 vcc_lo, 0, v71
	s_delay_alu instid0(VALU_DEP_2) | instskip(SKIP_1) | instid1(VALU_DEP_2)
	v_cndmask_b32_e64 v80, v66, 0x70, vcc_lo
	v_cndmask_b32_e32 v32, v68, v32, vcc_lo
	v_dual_add_nc_u32 v66, 21, v80 :: v_dual_add_nc_u32 v69, 20, v80
	s_delay_alu instid0(VALU_DEP_1) | instskip(NEXT) | instid1(VALU_DEP_2)
	v_lshlrev_b64_e64 v[66:67], v66, -1
	v_lshlrev_b64_e64 v[68:69], v69, 1
	s_delay_alu instid0(VALU_DEP_2) | instskip(NEXT) | instid1(VALU_DEP_3)
	v_bfi_b32 v87, v67, 0, 0
	v_bfi_b32 v86, v66, 0, v32
	v_lshrrev_b64 v[66:67], v80, v[32:33]
	s_delay_alu instid0(VALU_DEP_2) | instskip(NEXT) | instid1(VALU_DEP_2)
	v_cmp_eq_u64_e64 s7, v[86:87], v[68:69]
	v_mov_b64_e32 v[68:69], v[66:67]
	s_and_saveexec_b32 s40, s7
; %bb.5482:                             ;   in Loop: Header=BB2_5290 Depth=2
	v_bfe_u32 v32, v66, 21, 1
	s_delay_alu instid0(VALU_DEP_1) | instskip(NEXT) | instid1(VALU_DEP_1)
	v_add_nc_u64_e32 v[68:69], v[66:67], v[32:33]
	v_add_nc_u64_e32 v[68:69], -1, v[68:69]
; %bb.5483:                             ;   in Loop: Header=BB2_5290 Depth=2
	s_or_b32 exec_lo, exec_lo, s40
	v_add_nc_u32_e32 v32, 0xffffff81, v71
	v_lshrrev_b32_e32 v67, 23, v66
	s_mov_b32 s7, exec_lo
	s_delay_alu instid0(VALU_DEP_2) | instskip(NEXT) | instid1(VALU_DEP_1)
	v_cndmask_b32_e64 v32, v32, 0xffffff82, vcc_lo
	v_add3_u32 v69, v80, v32, v67
	v_and_b32_e32 v32, 0x1fffff, v68
                                        ; implicit-def: $vgpr68
	s_delay_alu instid0(VALU_DEP_1) | instskip(NEXT) | instid1(VALU_DEP_1)
	v_dual_add_nc_u32 v71, 14, v69 :: v_dual_add_nc_u32 v32, v32, v66
                                        ; implicit-def: $vgpr66_vgpr67
	v_cmpx_ne_u32_e32 0, v71
	s_xor_b32 s7, exec_lo, s7
; %bb.5484:                             ;   in Loop: Header=BB2_5290 Depth=2
	s_delay_alu instid0(VALU_DEP_2) | instskip(SKIP_1) | instid1(VALU_DEP_1)
	v_cmp_lt_u64_e32 vcc_lo, 0xffffff, v[32:33]
	v_add_nc_u32_e32 v66, 15, v69
	v_cndmask_b32_e32 v68, v71, v66, vcc_lo
	v_cndmask_b32_e64 v66, 0, 1, vcc_lo
	s_delay_alu instid0(VALU_DEP_1)
	v_lshrrev_b64 v[66:67], v66, v[32:33]
; %bb.5485:                             ;   in Loop: Header=BB2_5290 Depth=2
	s_and_not1_saveexec_b32 s7, s7
; %bb.5486:                             ;   in Loop: Header=BB2_5290 Depth=2
	v_mov_b64_e32 v[66:67], v[32:33]
	v_bfe_u32 v68, v32, 23, 1
; %bb.5487:                             ;   in Loop: Header=BB2_5290 Depth=2
	s_or_b32 exec_lo, exec_lo, s7
	s_delay_alu instid0(VALU_DEP_2) | instskip(NEXT) | instid1(VALU_DEP_2)
	v_lshrrev_b64 v[66:67], 21, v[66:67]
	v_cmp_gt_i32_e32 vcc_lo, 32, v68
	v_cmp_ne_u32_e64 s7, 0, v68
                                        ; implicit-def: $vgpr80
	s_delay_alu instid0(VALU_DEP_3) | instskip(NEXT) | instid1(VALU_DEP_1)
	v_dual_cndmask_b32 v67, 0, v67 :: v_dual_cndmask_b32 v66, 3, v66
	v_cmp_ne_u64_e32 vcc_lo, 0, v[66:67]
	s_or_b32 s7, s7, vcc_lo
	s_delay_alu instid0(SALU_CYCLE_1) | instskip(NEXT) | instid1(SALU_CYCLE_1)
	s_and_saveexec_b32 s40, s7
	s_xor_b32 s7, exec_lo, s40
; %bb.5488:                             ;   in Loop: Header=BB2_5290 Depth=2
	v_min_i32_e32 v32, 31, v68
	s_delay_alu instid0(VALU_DEP_1) | instskip(NEXT) | instid1(VALU_DEP_1)
	v_lshl_or_b32 v32, v32, 2, v70
                                        ; implicit-def: $vgpr70
	v_and_or_b32 v80, v66, 3, v32
; %bb.5489:                             ;   in Loop: Header=BB2_5290 Depth=2
	s_and_not1_saveexec_b32 s7, s7
; %bb.5490:                             ;   in Loop: Header=BB2_5290 Depth=2
	v_mov_b32_e32 v80, v70
; %bb.5491:                             ;   in Loop: Header=BB2_5290 Depth=2
	s_or_b32 exec_lo, exec_lo, s7
.LBB2_5492:                             ;   in Loop: Header=BB2_5290 Depth=2
	s_delay_alu instid0(SALU_CYCLE_1)
	s_or_b32 exec_lo, exec_lo, s29
                                        ; implicit-def: $vgpr70
.LBB2_5493:                             ;   in Loop: Header=BB2_5290 Depth=2
	s_and_not1_saveexec_b32 s7, s11
; %bb.5494:                             ;   in Loop: Header=BB2_5290 Depth=2
	v_or_b32_e32 v80, 0x7b, v70
; %bb.5495:                             ;   in Loop: Header=BB2_5290 Depth=2
	s_or_b32 exec_lo, exec_lo, s7
                                        ; implicit-def: $vgpr66
.LBB2_5496:                             ;   in Loop: Header=BB2_5290 Depth=2
	s_and_not1_saveexec_b32 s7, s10
	s_cbranch_execz .LBB2_5502
; %bb.5497:                             ;   in Loop: Header=BB2_5290 Depth=2
	s_mov_b32 s10, exec_lo
                                        ; implicit-def: $vgpr80
	v_cmpx_ne_u64_e32 0, v[32:33]
	s_xor_b32 s10, exec_lo, s10
; %bb.5498:                             ;   in Loop: Header=BB2_5290 Depth=2
	v_lshrrev_b32_e32 v32, 24, v66
                                        ; implicit-def: $vgpr66
	s_delay_alu instid0(VALU_DEP_1)
	v_or_b32_e32 v80, 0x7f, v32
; %bb.5499:                             ;   in Loop: Header=BB2_5290 Depth=2
	s_and_not1_saveexec_b32 s10, s10
; %bb.5500:                             ;   in Loop: Header=BB2_5290 Depth=2
	v_cmp_lt_i32_e32 vcc_lo, -1, v66
	v_cndmask_b32_e64 v80, -4, 0x7c, vcc_lo
; %bb.5501:                             ;   in Loop: Header=BB2_5290 Depth=2
	s_or_b32 exec_lo, exec_lo, s10
.LBB2_5502:                             ;   in Loop: Header=BB2_5290 Depth=2
	s_delay_alu instid0(SALU_CYCLE_1)
	s_or_b32 exec_lo, exec_lo, s7
	flat_load_i8 v32, v[10:11] offset:192 th:TH_LOAD_NT
	v_mov_b32_e32 v67, 0
	s_mov_b32 s7, exec_lo
	s_wait_loadcnt_dscnt 0x0
	v_cmpx_ne_u16_e32 0, v32
	s_cbranch_execz .LBB2_5512
; %bb.5503:                             ;   in Loop: Header=BB2_5290 Depth=2
	v_bfrev_b32_e32 v67, 1
	s_mov_b32 s10, exec_lo
	v_cmpx_ne_u16_e32 0xff80, v32
	s_cbranch_execz .LBB2_5511
; %bb.5504:                             ;   in Loop: Header=BB2_5290 Depth=2
	v_and_b32_e32 v67, 0x7c, v32
	v_and_b32_e32 v66, 3, v32
	s_delay_alu instid0(VALU_DEP_2) | instskip(SKIP_1) | instid1(SALU_CYCLE_1)
	v_cmp_ne_u32_e32 vcc_lo, 0x7c, v67
                                        ; implicit-def: $vgpr67
	s_and_saveexec_b32 s11, vcc_lo
	s_xor_b32 s11, exec_lo, s11
	s_cbranch_execz .LBB2_5508
; %bb.5505:                             ;   in Loop: Header=BB2_5290 Depth=2
	v_and_b32_e32 v67, 0xff, v32
	s_mov_b32 s29, exec_lo
	s_delay_alu instid0(VALU_DEP_1) | instskip(NEXT) | instid1(VALU_DEP_1)
	v_bfe_u32 v67, v67, 2, 5
	v_cmpx_eq_u32_e32 0, v67
; %bb.5506:                             ;   in Loop: Header=BB2_5290 Depth=2
	v_clz_i32_u32_e32 v66, v66
	s_delay_alu instid0(VALU_DEP_1) | instskip(NEXT) | instid1(VALU_DEP_1)
	v_min_u32_e32 v68, 32, v66
	v_subrev_nc_u32_e32 v66, 29, v68
	s_delay_alu instid0(VALU_DEP_1) | instskip(NEXT) | instid1(VALU_DEP_1)
	v_lshlrev_b64_e32 v[66:67], v66, v[32:33]
	v_dual_sub_nc_u32 v67, 30, v68 :: v_dual_bitop2_b32 v66, 3, v66 bitop3:0x40
; %bb.5507:                             ;   in Loop: Header=BB2_5290 Depth=2
	s_or_b32 exec_lo, exec_lo, s29
	v_bfe_i32 v32, v32, 0, 16
	s_delay_alu instid0(VALU_DEP_1) | instskip(NEXT) | instid1(VALU_DEP_1)
	v_and_b32_e32 v32, 0x80000000, v32
	v_lshl_add_u32 v32, v67, 23, v32
	s_delay_alu instid0(VALU_DEP_1) | instskip(NEXT) | instid1(VALU_DEP_1)
	v_lshl_or_b32 v32, v66, 21, v32
                                        ; implicit-def: $vgpr66
	v_add_nc_u32_e32 v67, 0x38000000, v32
.LBB2_5508:                             ;   in Loop: Header=BB2_5290 Depth=2
	s_and_not1_saveexec_b32 s11, s11
; %bb.5509:                             ;   in Loop: Header=BB2_5290 Depth=2
	v_cmp_lt_i16_e32 vcc_lo, -1, v32
	v_cndmask_b32_e32 v32, 0xff800000, v45, vcc_lo
	v_cmp_eq_u32_e32 vcc_lo, 0, v66
	s_delay_alu instid0(VALU_DEP_2)
	v_cndmask_b32_e32 v67, 0x7f800001, v32, vcc_lo
; %bb.5510:                             ;   in Loop: Header=BB2_5290 Depth=2
	s_or_b32 exec_lo, exec_lo, s11
.LBB2_5511:                             ;   in Loop: Header=BB2_5290 Depth=2
	s_delay_alu instid0(SALU_CYCLE_1)
	s_or_b32 exec_lo, exec_lo, s10
.LBB2_5512:                             ;   in Loop: Header=BB2_5290 Depth=2
	s_delay_alu instid0(SALU_CYCLE_1) | instskip(NEXT) | instid1(VALU_DEP_1)
	s_or_b32 exec_lo, exec_lo, s7
	v_dual_mul_f32 v66, s28, v67 :: v_dual_mov_b32 v69, v33
                                        ; implicit-def: $vgpr70
	s_mov_b32 s7, exec_lo
	s_delay_alu instid0(VALU_DEP_1) | instskip(SKIP_1) | instid1(VALU_DEP_2)
	v_and_b32_e32 v68, 0x7f800000, v66
	v_and_b32_e32 v32, 0x7fffff, v66
	v_cmpx_ne_u64_e32 0x7f800000, v[68:69]
	s_xor_b32 s10, exec_lo, s7
	s_cbranch_execz .LBB2_5530
; %bb.5513:                             ;   in Loop: Header=BB2_5290 Depth=2
	v_dual_mov_b32 v69, v33 :: v_dual_lshrrev_b32 v67, 24, v66
	v_and_b32_e32 v68, 0x7fffffff, v66
                                        ; implicit-def: $vgpr70
	s_mov_b32 s7, exec_lo
	s_delay_alu instid0(VALU_DEP_2) | instskip(NEXT) | instid1(VALU_DEP_2)
	v_and_b32_e32 v71, 0x80, v67
	v_cmpx_gt_u64_e32 0x47600001, v[68:69]
	s_xor_b32 s11, exec_lo, s7
	s_cbranch_execz .LBB2_5527
; %bb.5514:                             ;   in Loop: Header=BB2_5290 Depth=2
	v_mov_b32_e32 v70, 0
	s_mov_b32 s29, exec_lo
	v_cmpx_ne_u32_e32 0, v66
	s_cbranch_execz .LBB2_5526
; %bb.5515:                             ;   in Loop: Header=BB2_5290 Depth=2
	v_bfe_u32 v70, v66, 23, 8
	v_or_b32_e32 v68, 0x800000, v32
	s_delay_alu instid0(VALU_DEP_2) | instskip(SKIP_1) | instid1(VALU_DEP_2)
	v_sub_nc_u32_e32 v66, 0x71, v70
	v_cmp_gt_u32_e32 vcc_lo, 0x72, v70
	v_cndmask_b32_e32 v66, 0, v66, vcc_lo
	v_cmp_eq_u32_e32 vcc_lo, 0, v70
	s_delay_alu instid0(VALU_DEP_2) | instskip(NEXT) | instid1(VALU_DEP_1)
	v_cndmask_b32_e64 v81, v66, 0x70, vcc_lo
	v_dual_cndmask_b32 v32, v68, v32, vcc_lo :: v_dual_add_nc_u32 v66, 21, v81
	v_add_nc_u32_e32 v69, 20, v81
	s_delay_alu instid0(VALU_DEP_2) | instskip(NEXT) | instid1(VALU_DEP_2)
	v_lshlrev_b64_e64 v[66:67], v66, -1
	v_lshlrev_b64_e64 v[68:69], v69, 1
	s_delay_alu instid0(VALU_DEP_2) | instskip(NEXT) | instid1(VALU_DEP_3)
	v_bfi_b32 v87, v67, 0, 0
	v_bfi_b32 v86, v66, 0, v32
	v_lshrrev_b64 v[66:67], v81, v[32:33]
	s_delay_alu instid0(VALU_DEP_2) | instskip(NEXT) | instid1(VALU_DEP_2)
	v_cmp_eq_u64_e64 s7, v[86:87], v[68:69]
	v_mov_b64_e32 v[68:69], v[66:67]
	s_and_saveexec_b32 s40, s7
; %bb.5516:                             ;   in Loop: Header=BB2_5290 Depth=2
	v_bfe_u32 v32, v66, 21, 1
	s_delay_alu instid0(VALU_DEP_1) | instskip(NEXT) | instid1(VALU_DEP_1)
	v_add_nc_u64_e32 v[68:69], v[66:67], v[32:33]
	v_add_nc_u64_e32 v[68:69], -1, v[68:69]
; %bb.5517:                             ;   in Loop: Header=BB2_5290 Depth=2
	s_or_b32 exec_lo, exec_lo, s40
	v_add_nc_u32_e32 v32, 0xffffff81, v70
	v_lshrrev_b32_e32 v67, 23, v66
	s_mov_b32 s7, exec_lo
	s_delay_alu instid0(VALU_DEP_2) | instskip(NEXT) | instid1(VALU_DEP_1)
	v_cndmask_b32_e64 v32, v32, 0xffffff82, vcc_lo
	v_add3_u32 v69, v81, v32, v67
	v_and_b32_e32 v32, 0x1fffff, v68
                                        ; implicit-def: $vgpr68
	s_delay_alu instid0(VALU_DEP_1) | instskip(NEXT) | instid1(VALU_DEP_1)
	v_dual_add_nc_u32 v70, 14, v69 :: v_dual_add_nc_u32 v32, v32, v66
                                        ; implicit-def: $vgpr66_vgpr67
	v_cmpx_ne_u32_e32 0, v70
	s_xor_b32 s7, exec_lo, s7
; %bb.5518:                             ;   in Loop: Header=BB2_5290 Depth=2
	s_delay_alu instid0(VALU_DEP_2) | instskip(SKIP_1) | instid1(VALU_DEP_1)
	v_cmp_lt_u64_e32 vcc_lo, 0xffffff, v[32:33]
	v_add_nc_u32_e32 v66, 15, v69
	v_cndmask_b32_e32 v68, v70, v66, vcc_lo
	v_cndmask_b32_e64 v66, 0, 1, vcc_lo
	s_delay_alu instid0(VALU_DEP_1)
	v_lshrrev_b64 v[66:67], v66, v[32:33]
; %bb.5519:                             ;   in Loop: Header=BB2_5290 Depth=2
	s_and_not1_saveexec_b32 s7, s7
; %bb.5520:                             ;   in Loop: Header=BB2_5290 Depth=2
	v_mov_b64_e32 v[66:67], v[32:33]
	v_bfe_u32 v68, v32, 23, 1
; %bb.5521:                             ;   in Loop: Header=BB2_5290 Depth=2
	s_or_b32 exec_lo, exec_lo, s7
	s_delay_alu instid0(VALU_DEP_2) | instskip(NEXT) | instid1(VALU_DEP_2)
	v_lshrrev_b64 v[66:67], 21, v[66:67]
	v_cmp_gt_i32_e32 vcc_lo, 32, v68
	v_cmp_ne_u32_e64 s7, 0, v68
                                        ; implicit-def: $vgpr70
	s_delay_alu instid0(VALU_DEP_3) | instskip(NEXT) | instid1(VALU_DEP_1)
	v_dual_cndmask_b32 v67, 0, v67 :: v_dual_cndmask_b32 v66, 3, v66
	v_cmp_ne_u64_e32 vcc_lo, 0, v[66:67]
	s_or_b32 s7, s7, vcc_lo
	s_delay_alu instid0(SALU_CYCLE_1) | instskip(NEXT) | instid1(SALU_CYCLE_1)
	s_and_saveexec_b32 s40, s7
	s_xor_b32 s7, exec_lo, s40
; %bb.5522:                             ;   in Loop: Header=BB2_5290 Depth=2
	v_min_i32_e32 v32, 31, v68
	s_delay_alu instid0(VALU_DEP_1) | instskip(NEXT) | instid1(VALU_DEP_1)
	v_lshl_or_b32 v32, v32, 2, v71
                                        ; implicit-def: $vgpr71
	v_and_or_b32 v70, v66, 3, v32
; %bb.5523:                             ;   in Loop: Header=BB2_5290 Depth=2
	s_and_not1_saveexec_b32 s7, s7
; %bb.5524:                             ;   in Loop: Header=BB2_5290 Depth=2
	v_mov_b32_e32 v70, v71
; %bb.5525:                             ;   in Loop: Header=BB2_5290 Depth=2
	s_or_b32 exec_lo, exec_lo, s7
.LBB2_5526:                             ;   in Loop: Header=BB2_5290 Depth=2
	s_delay_alu instid0(SALU_CYCLE_1)
	s_or_b32 exec_lo, exec_lo, s29
                                        ; implicit-def: $vgpr71
.LBB2_5527:                             ;   in Loop: Header=BB2_5290 Depth=2
	s_and_not1_saveexec_b32 s7, s11
; %bb.5528:                             ;   in Loop: Header=BB2_5290 Depth=2
	v_or_b32_e32 v70, 0x7b, v71
; %bb.5529:                             ;   in Loop: Header=BB2_5290 Depth=2
	s_or_b32 exec_lo, exec_lo, s7
                                        ; implicit-def: $vgpr66
.LBB2_5530:                             ;   in Loop: Header=BB2_5290 Depth=2
	s_and_not1_saveexec_b32 s7, s10
	s_cbranch_execz .LBB2_5536
; %bb.5531:                             ;   in Loop: Header=BB2_5290 Depth=2
	s_mov_b32 s10, exec_lo
                                        ; implicit-def: $vgpr70
	v_cmpx_ne_u64_e32 0, v[32:33]
	s_xor_b32 s10, exec_lo, s10
; %bb.5532:                             ;   in Loop: Header=BB2_5290 Depth=2
	v_lshrrev_b32_e32 v32, 24, v66
                                        ; implicit-def: $vgpr66
	s_delay_alu instid0(VALU_DEP_1)
	v_or_b32_e32 v70, 0x7f, v32
; %bb.5533:                             ;   in Loop: Header=BB2_5290 Depth=2
	s_and_not1_saveexec_b32 s10, s10
; %bb.5534:                             ;   in Loop: Header=BB2_5290 Depth=2
	v_cmp_lt_i32_e32 vcc_lo, -1, v66
	v_cndmask_b32_e64 v70, -4, 0x7c, vcc_lo
; %bb.5535:                             ;   in Loop: Header=BB2_5290 Depth=2
	s_or_b32 exec_lo, exec_lo, s10
.LBB2_5536:                             ;   in Loop: Header=BB2_5290 Depth=2
	s_delay_alu instid0(SALU_CYCLE_1)
	s_or_b32 exec_lo, exec_lo, s7
	flat_load_i8 v32, v[10:11] offset:224 th:TH_LOAD_NT
	v_mov_b32_e32 v67, 0
	s_mov_b32 s7, exec_lo
	s_wait_loadcnt_dscnt 0x0
	v_cmpx_ne_u16_e32 0, v32
	s_cbranch_execz .LBB2_5546
; %bb.5537:                             ;   in Loop: Header=BB2_5290 Depth=2
	v_bfrev_b32_e32 v67, 1
	s_mov_b32 s10, exec_lo
	v_cmpx_ne_u16_e32 0xff80, v32
	s_cbranch_execz .LBB2_5545
; %bb.5538:                             ;   in Loop: Header=BB2_5290 Depth=2
	v_and_b32_e32 v67, 0x7c, v32
	v_and_b32_e32 v66, 3, v32
	s_delay_alu instid0(VALU_DEP_2) | instskip(SKIP_1) | instid1(SALU_CYCLE_1)
	v_cmp_ne_u32_e32 vcc_lo, 0x7c, v67
                                        ; implicit-def: $vgpr67
	s_and_saveexec_b32 s11, vcc_lo
	s_xor_b32 s11, exec_lo, s11
	s_cbranch_execz .LBB2_5542
; %bb.5539:                             ;   in Loop: Header=BB2_5290 Depth=2
	v_and_b32_e32 v67, 0xff, v32
	s_mov_b32 s29, exec_lo
	s_delay_alu instid0(VALU_DEP_1) | instskip(NEXT) | instid1(VALU_DEP_1)
	v_bfe_u32 v67, v67, 2, 5
	v_cmpx_eq_u32_e32 0, v67
; %bb.5540:                             ;   in Loop: Header=BB2_5290 Depth=2
	v_clz_i32_u32_e32 v66, v66
	s_delay_alu instid0(VALU_DEP_1) | instskip(NEXT) | instid1(VALU_DEP_1)
	v_min_u32_e32 v68, 32, v66
	v_subrev_nc_u32_e32 v66, 29, v68
	s_delay_alu instid0(VALU_DEP_1) | instskip(NEXT) | instid1(VALU_DEP_1)
	v_lshlrev_b64_e32 v[66:67], v66, v[32:33]
	v_dual_sub_nc_u32 v67, 30, v68 :: v_dual_bitop2_b32 v66, 3, v66 bitop3:0x40
; %bb.5541:                             ;   in Loop: Header=BB2_5290 Depth=2
	s_or_b32 exec_lo, exec_lo, s29
	v_bfe_i32 v32, v32, 0, 16
	s_delay_alu instid0(VALU_DEP_1) | instskip(NEXT) | instid1(VALU_DEP_1)
	v_and_b32_e32 v32, 0x80000000, v32
	v_lshl_add_u32 v32, v67, 23, v32
	s_delay_alu instid0(VALU_DEP_1) | instskip(NEXT) | instid1(VALU_DEP_1)
	v_lshl_or_b32 v32, v66, 21, v32
                                        ; implicit-def: $vgpr66
	v_add_nc_u32_e32 v67, 0x38000000, v32
.LBB2_5542:                             ;   in Loop: Header=BB2_5290 Depth=2
	s_and_not1_saveexec_b32 s11, s11
; %bb.5543:                             ;   in Loop: Header=BB2_5290 Depth=2
	v_cmp_lt_i16_e32 vcc_lo, -1, v32
	v_cndmask_b32_e32 v32, 0xff800000, v45, vcc_lo
	v_cmp_eq_u32_e32 vcc_lo, 0, v66
	s_delay_alu instid0(VALU_DEP_2)
	v_cndmask_b32_e32 v67, 0x7f800001, v32, vcc_lo
; %bb.5544:                             ;   in Loop: Header=BB2_5290 Depth=2
	s_or_b32 exec_lo, exec_lo, s11
.LBB2_5545:                             ;   in Loop: Header=BB2_5290 Depth=2
	s_delay_alu instid0(SALU_CYCLE_1)
	s_or_b32 exec_lo, exec_lo, s10
.LBB2_5546:                             ;   in Loop: Header=BB2_5290 Depth=2
	s_delay_alu instid0(SALU_CYCLE_1) | instskip(NEXT) | instid1(VALU_DEP_1)
	s_or_b32 exec_lo, exec_lo, s7
	v_dual_mul_f32 v67, s28, v67 :: v_dual_mov_b32 v69, v33
                                        ; implicit-def: $vgpr66
	s_mov_b32 s7, exec_lo
	s_delay_alu instid0(VALU_DEP_1) | instskip(SKIP_1) | instid1(VALU_DEP_2)
	v_and_b32_e32 v68, 0x7f800000, v67
	v_and_b32_e32 v32, 0x7fffff, v67
	v_cmpx_ne_u64_e32 0x7f800000, v[68:69]
	s_xor_b32 s10, exec_lo, s7
	s_cbranch_execz .LBB2_5564
; %bb.5547:                             ;   in Loop: Header=BB2_5290 Depth=2
	v_dual_mov_b32 v69, v33 :: v_dual_lshrrev_b32 v66, 24, v67
	v_and_b32_e32 v68, 0x7fffffff, v67
	s_mov_b32 s7, exec_lo
	s_delay_alu instid0(VALU_DEP_2) | instskip(NEXT) | instid1(VALU_DEP_2)
	v_and_b32_e32 v71, 0x80, v66
                                        ; implicit-def: $vgpr66
	v_cmpx_gt_u64_e32 0x47600001, v[68:69]
	s_xor_b32 s11, exec_lo, s7
	s_cbranch_execz .LBB2_5561
; %bb.5548:                             ;   in Loop: Header=BB2_5290 Depth=2
	v_mov_b32_e32 v66, 0
	s_mov_b32 s28, exec_lo
	v_cmpx_ne_u32_e32 0, v67
	s_cbranch_execz .LBB2_5560
; %bb.5549:                             ;   in Loop: Header=BB2_5290 Depth=2
	v_bfe_u32 v81, v67, 23, 8
	v_or_b32_e32 v68, 0x800000, v32
	s_delay_alu instid0(VALU_DEP_2) | instskip(SKIP_1) | instid1(VALU_DEP_2)
	v_sub_nc_u32_e32 v66, 0x71, v81
	v_cmp_gt_u32_e32 vcc_lo, 0x72, v81
	v_cndmask_b32_e32 v66, 0, v66, vcc_lo
	v_cmp_eq_u32_e32 vcc_lo, 0, v81
	s_delay_alu instid0(VALU_DEP_2) | instskip(NEXT) | instid1(VALU_DEP_1)
	v_cndmask_b32_e64 v83, v66, 0x70, vcc_lo
	v_dual_cndmask_b32 v32, v68, v32, vcc_lo :: v_dual_add_nc_u32 v66, 21, v83
	v_add_nc_u32_e32 v69, 20, v83
	s_delay_alu instid0(VALU_DEP_2) | instskip(NEXT) | instid1(VALU_DEP_2)
	v_lshlrev_b64_e64 v[66:67], v66, -1
	v_lshlrev_b64_e64 v[68:69], v69, 1
	s_delay_alu instid0(VALU_DEP_2) | instskip(NEXT) | instid1(VALU_DEP_3)
	v_bfi_b32 v87, v67, 0, 0
	v_bfi_b32 v86, v66, 0, v32
	v_lshrrev_b64 v[66:67], v83, v[32:33]
	s_delay_alu instid0(VALU_DEP_2) | instskip(NEXT) | instid1(VALU_DEP_2)
	v_cmp_eq_u64_e64 s7, v[86:87], v[68:69]
	v_mov_b64_e32 v[68:69], v[66:67]
	s_and_saveexec_b32 s29, s7
; %bb.5550:                             ;   in Loop: Header=BB2_5290 Depth=2
	v_bfe_u32 v32, v66, 21, 1
	s_delay_alu instid0(VALU_DEP_1) | instskip(NEXT) | instid1(VALU_DEP_1)
	v_add_nc_u64_e32 v[68:69], v[66:67], v[32:33]
	v_add_nc_u64_e32 v[68:69], -1, v[68:69]
; %bb.5551:                             ;   in Loop: Header=BB2_5290 Depth=2
	s_or_b32 exec_lo, exec_lo, s29
	v_add_nc_u32_e32 v32, 0xffffff81, v81
	v_lshrrev_b32_e32 v67, 23, v66
	s_mov_b32 s7, exec_lo
                                        ; implicit-def: $vgpr81
	s_delay_alu instid0(VALU_DEP_2) | instskip(NEXT) | instid1(VALU_DEP_1)
	v_cndmask_b32_e64 v32, v32, 0xffffff82, vcc_lo
	v_add3_u32 v69, v83, v32, v67
	v_and_b32_e32 v32, 0x1fffff, v68
	s_delay_alu instid0(VALU_DEP_1) | instskip(NEXT) | instid1(VALU_DEP_1)
	v_dual_add_nc_u32 v68, 14, v69 :: v_dual_add_nc_u32 v32, v32, v66
                                        ; implicit-def: $vgpr66_vgpr67
	v_cmpx_ne_u32_e32 0, v68
	s_xor_b32 s7, exec_lo, s7
; %bb.5552:                             ;   in Loop: Header=BB2_5290 Depth=2
	s_delay_alu instid0(VALU_DEP_2) | instskip(SKIP_1) | instid1(VALU_DEP_1)
	v_cmp_lt_u64_e32 vcc_lo, 0xffffff, v[32:33]
	v_add_nc_u32_e32 v66, 15, v69
	v_cndmask_b32_e32 v81, v68, v66, vcc_lo
	v_cndmask_b32_e64 v66, 0, 1, vcc_lo
	s_delay_alu instid0(VALU_DEP_1)
	v_lshrrev_b64 v[66:67], v66, v[32:33]
; %bb.5553:                             ;   in Loop: Header=BB2_5290 Depth=2
	s_and_not1_saveexec_b32 s7, s7
; %bb.5554:                             ;   in Loop: Header=BB2_5290 Depth=2
	v_mov_b64_e32 v[66:67], v[32:33]
	v_bfe_u32 v81, v32, 23, 1
; %bb.5555:                             ;   in Loop: Header=BB2_5290 Depth=2
	s_or_b32 exec_lo, exec_lo, s7
	s_delay_alu instid0(VALU_DEP_2) | instskip(NEXT) | instid1(VALU_DEP_2)
	v_lshrrev_b64 v[66:67], 21, v[66:67]
	v_cmp_gt_i32_e32 vcc_lo, 32, v81
	v_cmp_ne_u32_e64 s7, 0, v81
	s_delay_alu instid0(VALU_DEP_3) | instskip(NEXT) | instid1(VALU_DEP_1)
	v_dual_cndmask_b32 v69, 0, v67 :: v_dual_cndmask_b32 v68, 3, v66
                                        ; implicit-def: $vgpr66
	v_cmp_ne_u64_e32 vcc_lo, 0, v[68:69]
	s_or_b32 s7, s7, vcc_lo
	s_delay_alu instid0(SALU_CYCLE_1) | instskip(NEXT) | instid1(SALU_CYCLE_1)
	s_and_saveexec_b32 s29, s7
	s_xor_b32 s7, exec_lo, s29
; %bb.5556:                             ;   in Loop: Header=BB2_5290 Depth=2
	v_min_i32_e32 v32, 31, v81
	s_delay_alu instid0(VALU_DEP_1) | instskip(NEXT) | instid1(VALU_DEP_1)
	v_lshl_or_b32 v32, v32, 2, v71
                                        ; implicit-def: $vgpr71
	v_and_or_b32 v66, v68, 3, v32
; %bb.5557:                             ;   in Loop: Header=BB2_5290 Depth=2
	s_and_not1_saveexec_b32 s7, s7
; %bb.5558:                             ;   in Loop: Header=BB2_5290 Depth=2
	v_mov_b32_e32 v66, v71
; %bb.5559:                             ;   in Loop: Header=BB2_5290 Depth=2
	s_or_b32 exec_lo, exec_lo, s7
.LBB2_5560:                             ;   in Loop: Header=BB2_5290 Depth=2
	s_delay_alu instid0(SALU_CYCLE_1)
	s_or_b32 exec_lo, exec_lo, s28
                                        ; implicit-def: $vgpr71
.LBB2_5561:                             ;   in Loop: Header=BB2_5290 Depth=2
	s_and_not1_saveexec_b32 s7, s11
; %bb.5562:                             ;   in Loop: Header=BB2_5290 Depth=2
	v_or_b32_e32 v66, 0x7b, v71
; %bb.5563:                             ;   in Loop: Header=BB2_5290 Depth=2
	s_or_b32 exec_lo, exec_lo, s7
                                        ; implicit-def: $vgpr67
.LBB2_5564:                             ;   in Loop: Header=BB2_5290 Depth=2
	s_and_not1_saveexec_b32 s7, s10
	s_cbranch_execz .LBB2_5570
; %bb.5565:                             ;   in Loop: Header=BB2_5290 Depth=2
	s_mov_b32 s10, exec_lo
                                        ; implicit-def: $vgpr66
	v_cmpx_ne_u64_e32 0, v[32:33]
	s_xor_b32 s10, exec_lo, s10
; %bb.5566:                             ;   in Loop: Header=BB2_5290 Depth=2
	v_lshrrev_b32_e32 v32, 24, v67
                                        ; implicit-def: $vgpr67
	s_delay_alu instid0(VALU_DEP_1)
	v_or_b32_e32 v66, 0x7f, v32
; %bb.5567:                             ;   in Loop: Header=BB2_5290 Depth=2
	s_and_not1_saveexec_b32 s10, s10
; %bb.5568:                             ;   in Loop: Header=BB2_5290 Depth=2
	v_cmp_lt_i32_e32 vcc_lo, -1, v67
	v_cndmask_b32_e64 v66, -4, 0x7c, vcc_lo
; %bb.5569:                             ;   in Loop: Header=BB2_5290 Depth=2
	s_or_b32 exec_lo, exec_lo, s10
.LBB2_5570:                             ;   in Loop: Header=BB2_5290 Depth=2
	s_delay_alu instid0(SALU_CYCLE_1)
	s_or_b32 exec_lo, exec_lo, s7
	s_clause 0x7
	flat_load_i8 v32, v[12:13] th:TH_LOAD_NT
	flat_load_i8 v118, v[12:13] offset:32 th:TH_LOAD_NT
	flat_load_i8 v116, v[12:13] offset:64 th:TH_LOAD_NT
	;; [unrolled: 1-line block ×7, first 2 shown]
	v_and_b32_e32 v81, 0xff, v100
	v_dual_mov_b32 v67, 0 :: v_dual_mov_b32 v69, 0
	s_mov_b32 s7, exec_lo
	s_wait_xcnt 0x0
	s_delay_alu instid0(VALU_DEP_2)
	v_cmpx_ne_u16_e32 0, v81
	s_cbranch_execz .LBB2_5580
; %bb.5571:                             ;   in Loop: Header=BB2_5290 Depth=2
	v_bfrev_b32_e32 v69, 1
	s_mov_b32 s10, exec_lo
	v_cmpx_ne_u16_e32 0x80, v81
	s_cbranch_execz .LBB2_5579
; %bb.5572:                             ;   in Loop: Header=BB2_5290 Depth=2
	v_and_b32_e32 v69, 0x7c, v100
	v_and_b32_e32 v71, 3, v100
	s_delay_alu instid0(VALU_DEP_2) | instskip(SKIP_1) | instid1(SALU_CYCLE_1)
	v_cmp_ne_u32_e32 vcc_lo, 0x7c, v69
                                        ; implicit-def: $vgpr69
	s_and_saveexec_b32 s11, vcc_lo
	s_xor_b32 s11, exec_lo, s11
	s_cbranch_execz .LBB2_5576
; %bb.5573:                             ;   in Loop: Header=BB2_5290 Depth=2
	v_bfe_u32 v69, v81, 2, 5
	s_mov_b32 s28, exec_lo
	s_delay_alu instid0(VALU_DEP_1)
	v_cmpx_eq_u32_e32 0, v69
	s_cbranch_execz .LBB2_5575
; %bb.5574:                             ;   in Loop: Header=BB2_5290 Depth=2
	v_clz_i32_u32_e32 v69, v71
	s_delay_alu instid0(VALU_DEP_1) | instskip(SKIP_1) | instid1(VALU_DEP_2)
	v_min_u32_e32 v69, 32, v69
	v_mov_b32_e32 v101, v33
	v_subrev_nc_u32_e32 v71, 29, v69
	v_sub_nc_u32_e32 v69, 30, v69
	s_delay_alu instid0(VALU_DEP_2) | instskip(NEXT) | instid1(VALU_DEP_1)
	v_lshlrev_b64_e32 v[40:41], v71, v[100:101]
	v_and_b32_e32 v71, 3, v40
.LBB2_5575:                             ;   in Loop: Header=BB2_5290 Depth=2
	s_or_b32 exec_lo, exec_lo, s28
	v_lshlrev_b32_e32 v81, 24, v100
                                        ; implicit-def: $vgpr100
	s_delay_alu instid0(VALU_DEP_1) | instskip(NEXT) | instid1(VALU_DEP_1)
	v_and_b32_e32 v81, 0x80000000, v81
	v_lshl_add_u32 v69, v69, 23, v81
	s_delay_alu instid0(VALU_DEP_1) | instskip(NEXT) | instid1(VALU_DEP_1)
	v_lshl_or_b32 v69, v71, 21, v69
                                        ; implicit-def: $vgpr71
	v_add_nc_u32_e32 v69, 0x38000000, v69
.LBB2_5576:                             ;   in Loop: Header=BB2_5290 Depth=2
	s_and_not1_saveexec_b32 s11, s11
; %bb.5577:                             ;   in Loop: Header=BB2_5290 Depth=2
	v_bfe_i32 v69, v100, 0, 8
	s_delay_alu instid0(VALU_DEP_1) | instskip(SKIP_2) | instid1(VALU_DEP_2)
	v_cmp_lt_i16_e32 vcc_lo, -1, v69
	v_cndmask_b32_e32 v69, 0xff800000, v45, vcc_lo
	v_cmp_eq_u32_e32 vcc_lo, 0, v71
	v_cndmask_b32_e32 v69, 0x7f800001, v69, vcc_lo
; %bb.5578:                             ;   in Loop: Header=BB2_5290 Depth=2
	s_or_b32 exec_lo, exec_lo, s11
.LBB2_5579:                             ;   in Loop: Header=BB2_5290 Depth=2
	s_delay_alu instid0(SALU_CYCLE_1)
	s_or_b32 exec_lo, exec_lo, s10
.LBB2_5580:                             ;   in Loop: Header=BB2_5290 Depth=2
	s_delay_alu instid0(SALU_CYCLE_1) | instskip(NEXT) | instid1(SALU_CYCLE_1)
	s_or_b32 exec_lo, exec_lo, s7
	s_mov_b32 s7, exec_lo
	s_wait_loadcnt_dscnt 0x707
	v_cmpx_ne_u16_e32 0, v32
	s_cbranch_execz .LBB2_5590
; %bb.5581:                             ;   in Loop: Header=BB2_5290 Depth=2
	v_bfrev_b32_e32 v67, 1
	s_mov_b32 s10, exec_lo
	v_cmpx_ne_u16_e32 0xff80, v32
	s_cbranch_execz .LBB2_5589
; %bb.5582:                             ;   in Loop: Header=BB2_5290 Depth=2
	v_and_b32_e32 v67, 0x7c, v32
	v_and_b32_e32 v71, 3, v32
	s_delay_alu instid0(VALU_DEP_2) | instskip(SKIP_1) | instid1(SALU_CYCLE_1)
	v_cmp_ne_u32_e32 vcc_lo, 0x7c, v67
                                        ; implicit-def: $vgpr67
	s_and_saveexec_b32 s11, vcc_lo
	s_xor_b32 s11, exec_lo, s11
	s_cbranch_execz .LBB2_5586
; %bb.5583:                             ;   in Loop: Header=BB2_5290 Depth=2
	v_and_b32_e32 v67, 0xff, v32
	s_mov_b32 s28, exec_lo
	s_delay_alu instid0(VALU_DEP_1) | instskip(NEXT) | instid1(VALU_DEP_1)
	v_bfe_u32 v67, v67, 2, 5
	v_cmpx_eq_u32_e32 0, v67
; %bb.5584:                             ;   in Loop: Header=BB2_5290 Depth=2
	v_clz_i32_u32_e32 v67, v71
	s_delay_alu instid0(VALU_DEP_1) | instskip(NEXT) | instid1(VALU_DEP_1)
	v_min_u32_e32 v67, 32, v67
	v_subrev_nc_u32_e32 v71, 29, v67
	s_delay_alu instid0(VALU_DEP_1) | instskip(NEXT) | instid1(VALU_DEP_1)
	v_lshlrev_b64_e32 v[100:101], v71, v[32:33]
	v_dual_sub_nc_u32 v67, 30, v67 :: v_dual_bitop2_b32 v71, 3, v100 bitop3:0x40
; %bb.5585:                             ;   in Loop: Header=BB2_5290 Depth=2
	s_or_b32 exec_lo, exec_lo, s28
	v_bfe_i32 v32, v32, 0, 16
	s_delay_alu instid0(VALU_DEP_1) | instskip(NEXT) | instid1(VALU_DEP_1)
	v_and_b32_e32 v32, 0x80000000, v32
	v_lshl_add_u32 v32, v67, 23, v32
	s_delay_alu instid0(VALU_DEP_1) | instskip(NEXT) | instid1(VALU_DEP_1)
	v_lshl_or_b32 v32, v71, 21, v32
                                        ; implicit-def: $vgpr71
	v_add_nc_u32_e32 v67, 0x38000000, v32
.LBB2_5586:                             ;   in Loop: Header=BB2_5290 Depth=2
	s_and_not1_saveexec_b32 s11, s11
; %bb.5587:                             ;   in Loop: Header=BB2_5290 Depth=2
	v_cmp_lt_i16_e32 vcc_lo, -1, v32
	v_cndmask_b32_e32 v32, 0xff800000, v45, vcc_lo
	v_cmp_eq_u32_e32 vcc_lo, 0, v71
	s_delay_alu instid0(VALU_DEP_2)
	v_cndmask_b32_e32 v67, 0x7f800001, v32, vcc_lo
; %bb.5588:                             ;   in Loop: Header=BB2_5290 Depth=2
	s_or_b32 exec_lo, exec_lo, s11
.LBB2_5589:                             ;   in Loop: Header=BB2_5290 Depth=2
	s_delay_alu instid0(SALU_CYCLE_1)
	s_or_b32 exec_lo, exec_lo, s10
.LBB2_5590:                             ;   in Loop: Header=BB2_5290 Depth=2
	s_delay_alu instid0(SALU_CYCLE_1) | instskip(NEXT) | instid1(VALU_DEP_1)
	s_or_b32 exec_lo, exec_lo, s7
	v_add_f32_e32 v69, v69, v67
	v_mov_b32_e32 v101, v33
                                        ; implicit-def: $vgpr40
	s_mov_b32 s7, exec_lo
	s_delay_alu instid0(VALU_DEP_2) | instskip(SKIP_1) | instid1(VALU_DEP_2)
	v_and_b32_e32 v100, 0x7f800000, v69
	v_and_b32_e32 v32, 0x7fffff, v69
	v_cmpx_ne_u64_e32 0x7f800000, v[100:101]
	s_xor_b32 s10, exec_lo, s7
	s_cbranch_execz .LBB2_5608
; %bb.5591:                             ;   in Loop: Header=BB2_5290 Depth=2
	v_dual_mov_b32 v101, v33 :: v_dual_lshrrev_b32 v67, 24, v69
	v_and_b32_e32 v100, 0x7fffffff, v69
                                        ; implicit-def: $vgpr40
	s_mov_b32 s7, exec_lo
	s_delay_alu instid0(VALU_DEP_2) | instskip(NEXT) | instid1(VALU_DEP_2)
	v_and_b32_e32 v67, 0x80, v67
	v_cmpx_gt_u64_e32 0x47600001, v[100:101]
	s_xor_b32 s11, exec_lo, s7
	s_cbranch_execz .LBB2_5605
; %bb.5592:                             ;   in Loop: Header=BB2_5290 Depth=2
	v_mov_b32_e32 v40, 0
	s_mov_b32 s28, exec_lo
	v_cmpx_ne_u32_e32 0, v69
	s_cbranch_execz .LBB2_5604
; %bb.5593:                             ;   in Loop: Header=BB2_5290 Depth=2
	v_bfe_u32 v69, v69, 23, 8
	v_or_b32_e32 v83, 0x800000, v32
	s_delay_alu instid0(VALU_DEP_2) | instskip(SKIP_1) | instid1(VALU_DEP_2)
	v_sub_nc_u32_e32 v71, 0x71, v69
	v_cmp_gt_u32_e32 vcc_lo, 0x72, v69
	v_cndmask_b32_e32 v71, 0, v71, vcc_lo
	v_cmp_eq_u32_e32 vcc_lo, 0, v69
	s_delay_alu instid0(VALU_DEP_2) | instskip(NEXT) | instid1(VALU_DEP_1)
	v_cndmask_b32_e64 v71, v71, 0x70, vcc_lo
	v_dual_cndmask_b32 v32, v83, v32 :: v_dual_add_nc_u32 v81, 21, v71
	s_delay_alu instid0(VALU_DEP_1) | instskip(SKIP_1) | instid1(VALU_DEP_1)
	v_lshlrev_b64_e64 v[100:101], v81, -1
	v_add_nc_u32_e32 v81, 20, v71
	v_lshlrev_b64_e64 v[40:41], v81, 1
	s_delay_alu instid0(VALU_DEP_3) | instskip(NEXT) | instid1(VALU_DEP_4)
	v_bfi_b32 v63, v101, 0, 0
	v_bfi_b32 v62, v100, 0, v32
	v_lshrrev_b64 v[100:101], v71, v[32:33]
	s_delay_alu instid0(VALU_DEP_2) | instskip(NEXT) | instid1(VALU_DEP_2)
	v_cmp_eq_u64_e64 s7, v[62:63], v[40:41]
	v_mov_b64_e32 v[40:41], v[100:101]
	s_and_saveexec_b32 s29, s7
; %bb.5594:                             ;   in Loop: Header=BB2_5290 Depth=2
	v_bfe_u32 v32, v100, 21, 1
	s_delay_alu instid0(VALU_DEP_1) | instskip(NEXT) | instid1(VALU_DEP_1)
	v_add_nc_u64_e32 v[40:41], v[100:101], v[32:33]
	v_add_nc_u64_e32 v[40:41], -1, v[40:41]
; %bb.5595:                             ;   in Loop: Header=BB2_5290 Depth=2
	s_or_b32 exec_lo, exec_lo, s29
	v_add_nc_u32_e32 v32, 0xffffff81, v69
	v_lshrrev_b32_e32 v69, 23, v100
	s_mov_b32 s7, exec_lo
	s_delay_alu instid0(VALU_DEP_2) | instskip(NEXT) | instid1(VALU_DEP_1)
	v_cndmask_b32_e64 v32, v32, 0xffffff82, vcc_lo
	v_add3_u32 v71, v71, v32, v69
	v_and_b32_e32 v32, 0x1fffff, v40
                                        ; implicit-def: $vgpr69
	s_delay_alu instid0(VALU_DEP_1) | instskip(NEXT) | instid1(VALU_DEP_1)
	v_dual_add_nc_u32 v81, 14, v71 :: v_dual_add_nc_u32 v32, v32, v100
                                        ; implicit-def: $vgpr100_vgpr101
	v_cmpx_ne_u32_e32 0, v81
	s_xor_b32 s7, exec_lo, s7
; %bb.5596:                             ;   in Loop: Header=BB2_5290 Depth=2
	s_delay_alu instid0(VALU_DEP_2) | instskip(SKIP_2) | instid1(VALU_DEP_2)
	v_cmp_lt_u64_e32 vcc_lo, 0xffffff, v[32:33]
	v_add_nc_u32_e32 v69, 15, v71
	v_cndmask_b32_e64 v71, 0, 1, vcc_lo
	v_cndmask_b32_e32 v69, v81, v69, vcc_lo
	s_delay_alu instid0(VALU_DEP_2)
	v_lshrrev_b64 v[100:101], v71, v[32:33]
; %bb.5597:                             ;   in Loop: Header=BB2_5290 Depth=2
	s_and_not1_saveexec_b32 s7, s7
; %bb.5598:                             ;   in Loop: Header=BB2_5290 Depth=2
	v_mov_b64_e32 v[100:101], v[32:33]
	v_bfe_u32 v69, v32, 23, 1
; %bb.5599:                             ;   in Loop: Header=BB2_5290 Depth=2
	s_or_b32 exec_lo, exec_lo, s7
	s_delay_alu instid0(VALU_DEP_2) | instskip(NEXT) | instid1(VALU_DEP_2)
	v_lshrrev_b64 v[100:101], 21, v[100:101]
	v_cmp_gt_i32_e32 vcc_lo, 32, v69
	v_cmp_ne_u32_e64 s7, 0, v69
                                        ; implicit-def: $vgpr40
	s_delay_alu instid0(VALU_DEP_3) | instskip(NEXT) | instid1(VALU_DEP_1)
	v_dual_cndmask_b32 v101, 0, v101 :: v_dual_cndmask_b32 v100, 3, v100
	v_cmp_ne_u64_e32 vcc_lo, 0, v[100:101]
	s_or_b32 s7, s7, vcc_lo
	s_delay_alu instid0(SALU_CYCLE_1) | instskip(NEXT) | instid1(SALU_CYCLE_1)
	s_and_saveexec_b32 s29, s7
	s_xor_b32 s7, exec_lo, s29
; %bb.5600:                             ;   in Loop: Header=BB2_5290 Depth=2
	v_min_i32_e32 v32, 31, v69
	s_delay_alu instid0(VALU_DEP_1) | instskip(NEXT) | instid1(VALU_DEP_1)
	v_lshl_or_b32 v32, v32, 2, v67
                                        ; implicit-def: $vgpr67
	v_and_or_b32 v40, v100, 3, v32
; %bb.5601:                             ;   in Loop: Header=BB2_5290 Depth=2
	s_and_not1_saveexec_b32 s7, s7
; %bb.5602:                             ;   in Loop: Header=BB2_5290 Depth=2
	v_mov_b32_e32 v40, v67
; %bb.5603:                             ;   in Loop: Header=BB2_5290 Depth=2
	s_or_b32 exec_lo, exec_lo, s7
.LBB2_5604:                             ;   in Loop: Header=BB2_5290 Depth=2
	s_delay_alu instid0(SALU_CYCLE_1)
	s_or_b32 exec_lo, exec_lo, s28
                                        ; implicit-def: $vgpr67
.LBB2_5605:                             ;   in Loop: Header=BB2_5290 Depth=2
	s_and_not1_saveexec_b32 s7, s11
; %bb.5606:                             ;   in Loop: Header=BB2_5290 Depth=2
	v_or_b32_e32 v40, 0x7b, v67
; %bb.5607:                             ;   in Loop: Header=BB2_5290 Depth=2
	s_or_b32 exec_lo, exec_lo, s7
                                        ; implicit-def: $vgpr69
.LBB2_5608:                             ;   in Loop: Header=BB2_5290 Depth=2
	s_and_not1_saveexec_b32 s7, s10
	s_cbranch_execz .LBB2_5614
; %bb.5609:                             ;   in Loop: Header=BB2_5290 Depth=2
	s_mov_b32 s10, exec_lo
                                        ; implicit-def: $vgpr40
	v_cmpx_ne_u64_e32 0, v[32:33]
	s_xor_b32 s10, exec_lo, s10
; %bb.5610:                             ;   in Loop: Header=BB2_5290 Depth=2
	v_lshrrev_b32_e32 v32, 24, v69
                                        ; implicit-def: $vgpr69
	s_delay_alu instid0(VALU_DEP_1)
	v_or_b32_e32 v40, 0x7f, v32
; %bb.5611:                             ;   in Loop: Header=BB2_5290 Depth=2
	s_and_not1_saveexec_b32 s10, s10
; %bb.5612:                             ;   in Loop: Header=BB2_5290 Depth=2
	v_cmp_lt_i32_e32 vcc_lo, -1, v69
	v_cndmask_b32_e64 v40, -4, 0x7c, vcc_lo
; %bb.5613:                             ;   in Loop: Header=BB2_5290 Depth=2
	s_or_b32 exec_lo, exec_lo, s10
.LBB2_5614:                             ;   in Loop: Header=BB2_5290 Depth=2
	s_delay_alu instid0(SALU_CYCLE_1) | instskip(SKIP_3) | instid1(VALU_DEP_2)
	s_or_b32 exec_lo, exec_lo, s7
	v_and_b32_e32 v71, 0xff, v98
	v_dual_mov_b32 v32, 0 :: v_dual_mov_b32 v67, 0
	s_mov_b32 s7, exec_lo
	v_cmpx_ne_u16_e32 0, v71
	s_cbranch_execz .LBB2_5624
; %bb.5615:                             ;   in Loop: Header=BB2_5290 Depth=2
	v_bfrev_b32_e32 v67, 1
	s_mov_b32 s10, exec_lo
	v_cmpx_ne_u16_e32 0x80, v71
	s_cbranch_execz .LBB2_5623
; %bb.5616:                             ;   in Loop: Header=BB2_5290 Depth=2
	v_and_b32_e32 v67, 0x7c, v98
	v_and_b32_e32 v69, 3, v98
	s_delay_alu instid0(VALU_DEP_2) | instskip(SKIP_1) | instid1(SALU_CYCLE_1)
	v_cmp_ne_u32_e32 vcc_lo, 0x7c, v67
                                        ; implicit-def: $vgpr67
	s_and_saveexec_b32 s11, vcc_lo
	s_xor_b32 s11, exec_lo, s11
	s_cbranch_execz .LBB2_5620
; %bb.5617:                             ;   in Loop: Header=BB2_5290 Depth=2
	v_bfe_u32 v67, v71, 2, 5
	s_mov_b32 s28, exec_lo
	s_delay_alu instid0(VALU_DEP_1)
	v_cmpx_eq_u32_e32 0, v67
	s_cbranch_execz .LBB2_5619
; %bb.5618:                             ;   in Loop: Header=BB2_5290 Depth=2
	v_clz_i32_u32_e32 v67, v69
	s_delay_alu instid0(VALU_DEP_1) | instskip(SKIP_1) | instid1(VALU_DEP_2)
	v_min_u32_e32 v67, 32, v67
	v_mov_b32_e32 v99, v33
	v_subrev_nc_u32_e32 v69, 29, v67
	v_sub_nc_u32_e32 v67, 30, v67
	s_delay_alu instid0(VALU_DEP_2) | instskip(NEXT) | instid1(VALU_DEP_1)
	v_lshlrev_b64_e32 v[100:101], v69, v[98:99]
	v_and_b32_e32 v69, 3, v100
.LBB2_5619:                             ;   in Loop: Header=BB2_5290 Depth=2
	s_or_b32 exec_lo, exec_lo, s28
	v_lshlrev_b32_e32 v71, 24, v98
                                        ; implicit-def: $vgpr98
	s_delay_alu instid0(VALU_DEP_1) | instskip(NEXT) | instid1(VALU_DEP_1)
	v_and_b32_e32 v71, 0x80000000, v71
	v_lshl_add_u32 v67, v67, 23, v71
	s_delay_alu instid0(VALU_DEP_1) | instskip(NEXT) | instid1(VALU_DEP_1)
	v_lshl_or_b32 v67, v69, 21, v67
                                        ; implicit-def: $vgpr69
	v_add_nc_u32_e32 v67, 0x38000000, v67
.LBB2_5620:                             ;   in Loop: Header=BB2_5290 Depth=2
	s_and_not1_saveexec_b32 s11, s11
; %bb.5621:                             ;   in Loop: Header=BB2_5290 Depth=2
	v_bfe_i32 v67, v98, 0, 8
	s_delay_alu instid0(VALU_DEP_1) | instskip(SKIP_2) | instid1(VALU_DEP_2)
	v_cmp_lt_i16_e32 vcc_lo, -1, v67
	v_cndmask_b32_e32 v67, 0xff800000, v45, vcc_lo
	v_cmp_eq_u32_e32 vcc_lo, 0, v69
	v_cndmask_b32_e32 v67, 0x7f800001, v67, vcc_lo
; %bb.5622:                             ;   in Loop: Header=BB2_5290 Depth=2
	s_or_b32 exec_lo, exec_lo, s11
.LBB2_5623:                             ;   in Loop: Header=BB2_5290 Depth=2
	s_delay_alu instid0(SALU_CYCLE_1)
	s_or_b32 exec_lo, exec_lo, s10
.LBB2_5624:                             ;   in Loop: Header=BB2_5290 Depth=2
	s_delay_alu instid0(SALU_CYCLE_1) | instskip(NEXT) | instid1(SALU_CYCLE_1)
	s_or_b32 exec_lo, exec_lo, s7
	s_mov_b32 s7, exec_lo
	s_wait_loadcnt_dscnt 0x606
	v_cmpx_ne_u16_e32 0, v118
	s_cbranch_execz .LBB2_5634
; %bb.5625:                             ;   in Loop: Header=BB2_5290 Depth=2
	v_bfrev_b32_e32 v32, 1
	s_mov_b32 s10, exec_lo
	v_cmpx_ne_u16_e32 0xff80, v118
	s_cbranch_execz .LBB2_5633
; %bb.5626:                             ;   in Loop: Header=BB2_5290 Depth=2
	v_and_b32_e32 v32, 0x7c, v118
	v_and_b32_e32 v69, 3, v118
	s_delay_alu instid0(VALU_DEP_2) | instskip(SKIP_1) | instid1(SALU_CYCLE_1)
	v_cmp_ne_u32_e32 vcc_lo, 0x7c, v32
                                        ; implicit-def: $vgpr32
	s_and_saveexec_b32 s11, vcc_lo
	s_xor_b32 s11, exec_lo, s11
	s_cbranch_execz .LBB2_5630
; %bb.5627:                             ;   in Loop: Header=BB2_5290 Depth=2
	v_and_b32_e32 v32, 0xff, v118
	s_mov_b32 s28, exec_lo
	s_delay_alu instid0(VALU_DEP_1) | instskip(NEXT) | instid1(VALU_DEP_1)
	v_bfe_u32 v32, v32, 2, 5
	v_cmpx_eq_u32_e32 0, v32
	s_cbranch_execz .LBB2_5629
; %bb.5628:                             ;   in Loop: Header=BB2_5290 Depth=2
	v_clz_i32_u32_e32 v32, v69
	s_delay_alu instid0(VALU_DEP_1) | instskip(SKIP_1) | instid1(VALU_DEP_2)
	v_min_u32_e32 v32, 32, v32
	v_mov_b32_e32 v119, v33
	v_subrev_nc_u32_e32 v69, 29, v32
	v_sub_nc_u32_e32 v32, 30, v32
	s_delay_alu instid0(VALU_DEP_2) | instskip(NEXT) | instid1(VALU_DEP_1)
	v_lshlrev_b64_e32 v[98:99], v69, v[118:119]
	v_and_b32_e32 v69, 3, v98
.LBB2_5629:                             ;   in Loop: Header=BB2_5290 Depth=2
	s_or_b32 exec_lo, exec_lo, s28
	v_bfe_i32 v71, v118, 0, 16
                                        ; implicit-def: $vgpr118
	s_delay_alu instid0(VALU_DEP_1) | instskip(NEXT) | instid1(VALU_DEP_1)
	v_and_b32_e32 v71, 0x80000000, v71
	v_lshl_add_u32 v32, v32, 23, v71
	s_delay_alu instid0(VALU_DEP_1) | instskip(NEXT) | instid1(VALU_DEP_1)
	v_lshl_or_b32 v32, v69, 21, v32
                                        ; implicit-def: $vgpr69
	v_add_nc_u32_e32 v32, 0x38000000, v32
.LBB2_5630:                             ;   in Loop: Header=BB2_5290 Depth=2
	s_and_not1_saveexec_b32 s11, s11
; %bb.5631:                             ;   in Loop: Header=BB2_5290 Depth=2
	v_cmp_lt_i16_e32 vcc_lo, -1, v118
	v_cndmask_b32_e32 v32, 0xff800000, v45, vcc_lo
	v_cmp_eq_u32_e32 vcc_lo, 0, v69
	s_delay_alu instid0(VALU_DEP_2)
	v_cndmask_b32_e32 v32, 0x7f800001, v32, vcc_lo
; %bb.5632:                             ;   in Loop: Header=BB2_5290 Depth=2
	s_or_b32 exec_lo, exec_lo, s11
.LBB2_5633:                             ;   in Loop: Header=BB2_5290 Depth=2
	s_delay_alu instid0(SALU_CYCLE_1)
	s_or_b32 exec_lo, exec_lo, s10
.LBB2_5634:                             ;   in Loop: Header=BB2_5290 Depth=2
	s_delay_alu instid0(SALU_CYCLE_1) | instskip(NEXT) | instid1(VALU_DEP_1)
	s_or_b32 exec_lo, exec_lo, s7
	v_dual_add_f32 v69, v67, v32 :: v_dual_mov_b32 v99, v33
                                        ; implicit-def: $vgpr100
	s_mov_b32 s7, exec_lo
	s_delay_alu instid0(VALU_DEP_1) | instskip(SKIP_1) | instid1(VALU_DEP_2)
	v_and_b32_e32 v98, 0x7f800000, v69
	v_and_b32_e32 v32, 0x7fffff, v69
	v_cmpx_ne_u64_e32 0x7f800000, v[98:99]
	s_xor_b32 s10, exec_lo, s7
	s_cbranch_execz .LBB2_5652
; %bb.5635:                             ;   in Loop: Header=BB2_5290 Depth=2
	v_dual_mov_b32 v99, v33 :: v_dual_lshrrev_b32 v67, 24, v69
	v_and_b32_e32 v98, 0x7fffffff, v69
                                        ; implicit-def: $vgpr100
	s_mov_b32 s7, exec_lo
	s_delay_alu instid0(VALU_DEP_2) | instskip(NEXT) | instid1(VALU_DEP_2)
	v_and_b32_e32 v67, 0x80, v67
	v_cmpx_gt_u64_e32 0x47600001, v[98:99]
	s_xor_b32 s11, exec_lo, s7
	s_cbranch_execz .LBB2_5649
; %bb.5636:                             ;   in Loop: Header=BB2_5290 Depth=2
	v_mov_b32_e32 v100, 0
	s_mov_b32 s28, exec_lo
	v_cmpx_ne_u32_e32 0, v69
	s_cbranch_execz .LBB2_5648
; %bb.5637:                             ;   in Loop: Header=BB2_5290 Depth=2
	v_bfe_u32 v69, v69, 23, 8
	v_or_b32_e32 v83, 0x800000, v32
	s_delay_alu instid0(VALU_DEP_2) | instskip(SKIP_1) | instid1(VALU_DEP_2)
	v_sub_nc_u32_e32 v71, 0x71, v69
	v_cmp_gt_u32_e32 vcc_lo, 0x72, v69
	v_cndmask_b32_e32 v71, 0, v71, vcc_lo
	v_cmp_eq_u32_e32 vcc_lo, 0, v69
	s_delay_alu instid0(VALU_DEP_2) | instskip(NEXT) | instid1(VALU_DEP_1)
	v_cndmask_b32_e64 v71, v71, 0x70, vcc_lo
	v_dual_cndmask_b32 v32, v83, v32 :: v_dual_add_nc_u32 v81, 21, v71
	s_delay_alu instid0(VALU_DEP_1) | instskip(SKIP_1) | instid1(VALU_DEP_1)
	v_lshlrev_b64_e64 v[98:99], v81, -1
	v_add_nc_u32_e32 v81, 20, v71
	v_lshlrev_b64_e64 v[100:101], v81, 1
	s_delay_alu instid0(VALU_DEP_3) | instskip(NEXT) | instid1(VALU_DEP_4)
	v_bfi_b32 v119, v99, 0, 0
	v_bfi_b32 v118, v98, 0, v32
	v_lshrrev_b64 v[98:99], v71, v[32:33]
	s_delay_alu instid0(VALU_DEP_2) | instskip(NEXT) | instid1(VALU_DEP_2)
	v_cmp_eq_u64_e64 s7, v[118:119], v[100:101]
	v_mov_b64_e32 v[100:101], v[98:99]
	s_and_saveexec_b32 s29, s7
; %bb.5638:                             ;   in Loop: Header=BB2_5290 Depth=2
	v_bfe_u32 v32, v98, 21, 1
	s_delay_alu instid0(VALU_DEP_1) | instskip(NEXT) | instid1(VALU_DEP_1)
	v_add_nc_u64_e32 v[100:101], v[98:99], v[32:33]
	v_add_nc_u64_e32 v[100:101], -1, v[100:101]
; %bb.5639:                             ;   in Loop: Header=BB2_5290 Depth=2
	s_or_b32 exec_lo, exec_lo, s29
	v_add_nc_u32_e32 v32, 0xffffff81, v69
	v_lshrrev_b32_e32 v69, 23, v98
	s_mov_b32 s7, exec_lo
	s_delay_alu instid0(VALU_DEP_2) | instskip(NEXT) | instid1(VALU_DEP_1)
	v_cndmask_b32_e64 v32, v32, 0xffffff82, vcc_lo
	v_add3_u32 v71, v71, v32, v69
	v_and_b32_e32 v32, 0x1fffff, v100
                                        ; implicit-def: $vgpr69
	s_delay_alu instid0(VALU_DEP_1) | instskip(NEXT) | instid1(VALU_DEP_1)
	v_dual_add_nc_u32 v81, 14, v71 :: v_dual_add_nc_u32 v32, v32, v98
                                        ; implicit-def: $vgpr98_vgpr99
	v_cmpx_ne_u32_e32 0, v81
	s_xor_b32 s7, exec_lo, s7
; %bb.5640:                             ;   in Loop: Header=BB2_5290 Depth=2
	s_delay_alu instid0(VALU_DEP_2) | instskip(SKIP_2) | instid1(VALU_DEP_2)
	v_cmp_lt_u64_e32 vcc_lo, 0xffffff, v[32:33]
	v_add_nc_u32_e32 v69, 15, v71
	v_cndmask_b32_e64 v71, 0, 1, vcc_lo
	v_cndmask_b32_e32 v69, v81, v69, vcc_lo
	s_delay_alu instid0(VALU_DEP_2)
	v_lshrrev_b64 v[98:99], v71, v[32:33]
; %bb.5641:                             ;   in Loop: Header=BB2_5290 Depth=2
	s_and_not1_saveexec_b32 s7, s7
; %bb.5642:                             ;   in Loop: Header=BB2_5290 Depth=2
	v_mov_b64_e32 v[98:99], v[32:33]
	v_bfe_u32 v69, v32, 23, 1
; %bb.5643:                             ;   in Loop: Header=BB2_5290 Depth=2
	s_or_b32 exec_lo, exec_lo, s7
	s_delay_alu instid0(VALU_DEP_2) | instskip(NEXT) | instid1(VALU_DEP_2)
	v_lshrrev_b64 v[98:99], 21, v[98:99]
	v_cmp_gt_i32_e32 vcc_lo, 32, v69
	v_cmp_ne_u32_e64 s7, 0, v69
                                        ; implicit-def: $vgpr100
	s_delay_alu instid0(VALU_DEP_3) | instskip(NEXT) | instid1(VALU_DEP_1)
	v_dual_cndmask_b32 v99, 0, v99 :: v_dual_cndmask_b32 v98, 3, v98
	v_cmp_ne_u64_e32 vcc_lo, 0, v[98:99]
	s_or_b32 s7, s7, vcc_lo
	s_delay_alu instid0(SALU_CYCLE_1) | instskip(NEXT) | instid1(SALU_CYCLE_1)
	s_and_saveexec_b32 s29, s7
	s_xor_b32 s7, exec_lo, s29
; %bb.5644:                             ;   in Loop: Header=BB2_5290 Depth=2
	v_min_i32_e32 v32, 31, v69
	s_delay_alu instid0(VALU_DEP_1) | instskip(NEXT) | instid1(VALU_DEP_1)
	v_lshl_or_b32 v32, v32, 2, v67
                                        ; implicit-def: $vgpr67
	v_and_or_b32 v100, v98, 3, v32
; %bb.5645:                             ;   in Loop: Header=BB2_5290 Depth=2
	s_and_not1_saveexec_b32 s7, s7
; %bb.5646:                             ;   in Loop: Header=BB2_5290 Depth=2
	v_mov_b32_e32 v100, v67
; %bb.5647:                             ;   in Loop: Header=BB2_5290 Depth=2
	s_or_b32 exec_lo, exec_lo, s7
.LBB2_5648:                             ;   in Loop: Header=BB2_5290 Depth=2
	s_delay_alu instid0(SALU_CYCLE_1)
	s_or_b32 exec_lo, exec_lo, s28
                                        ; implicit-def: $vgpr67
.LBB2_5649:                             ;   in Loop: Header=BB2_5290 Depth=2
	s_and_not1_saveexec_b32 s7, s11
; %bb.5650:                             ;   in Loop: Header=BB2_5290 Depth=2
	v_or_b32_e32 v100, 0x7b, v67
; %bb.5651:                             ;   in Loop: Header=BB2_5290 Depth=2
	s_or_b32 exec_lo, exec_lo, s7
                                        ; implicit-def: $vgpr69
.LBB2_5652:                             ;   in Loop: Header=BB2_5290 Depth=2
	s_and_not1_saveexec_b32 s7, s10
	s_cbranch_execz .LBB2_5658
; %bb.5653:                             ;   in Loop: Header=BB2_5290 Depth=2
	s_mov_b32 s10, exec_lo
                                        ; implicit-def: $vgpr100
	v_cmpx_ne_u64_e32 0, v[32:33]
	s_xor_b32 s10, exec_lo, s10
; %bb.5654:                             ;   in Loop: Header=BB2_5290 Depth=2
	v_lshrrev_b32_e32 v32, 24, v69
                                        ; implicit-def: $vgpr69
	s_delay_alu instid0(VALU_DEP_1)
	v_or_b32_e32 v100, 0x7f, v32
; %bb.5655:                             ;   in Loop: Header=BB2_5290 Depth=2
	s_and_not1_saveexec_b32 s10, s10
; %bb.5656:                             ;   in Loop: Header=BB2_5290 Depth=2
	v_cmp_lt_i32_e32 vcc_lo, -1, v69
	v_cndmask_b32_e64 v100, -4, 0x7c, vcc_lo
; %bb.5657:                             ;   in Loop: Header=BB2_5290 Depth=2
	s_or_b32 exec_lo, exec_lo, s10
.LBB2_5658:                             ;   in Loop: Header=BB2_5290 Depth=2
	s_delay_alu instid0(SALU_CYCLE_1) | instskip(SKIP_3) | instid1(VALU_DEP_2)
	s_or_b32 exec_lo, exec_lo, s7
	v_and_b32_e32 v71, 0xff, v96
	v_dual_mov_b32 v32, 0 :: v_dual_mov_b32 v67, 0
	s_mov_b32 s7, exec_lo
	v_cmpx_ne_u16_e32 0, v71
	s_cbranch_execz .LBB2_5668
; %bb.5659:                             ;   in Loop: Header=BB2_5290 Depth=2
	v_bfrev_b32_e32 v67, 1
	s_mov_b32 s10, exec_lo
	v_cmpx_ne_u16_e32 0x80, v71
	s_cbranch_execz .LBB2_5667
; %bb.5660:                             ;   in Loop: Header=BB2_5290 Depth=2
	v_and_b32_e32 v67, 0x7c, v96
	v_and_b32_e32 v69, 3, v96
	s_delay_alu instid0(VALU_DEP_2) | instskip(SKIP_1) | instid1(SALU_CYCLE_1)
	v_cmp_ne_u32_e32 vcc_lo, 0x7c, v67
                                        ; implicit-def: $vgpr67
	s_and_saveexec_b32 s11, vcc_lo
	s_xor_b32 s11, exec_lo, s11
	s_cbranch_execz .LBB2_5664
; %bb.5661:                             ;   in Loop: Header=BB2_5290 Depth=2
	v_bfe_u32 v67, v71, 2, 5
	s_mov_b32 s28, exec_lo
	s_delay_alu instid0(VALU_DEP_1)
	v_cmpx_eq_u32_e32 0, v67
	s_cbranch_execz .LBB2_5663
; %bb.5662:                             ;   in Loop: Header=BB2_5290 Depth=2
	v_clz_i32_u32_e32 v67, v69
	s_delay_alu instid0(VALU_DEP_1) | instskip(SKIP_1) | instid1(VALU_DEP_2)
	v_min_u32_e32 v67, 32, v67
	v_mov_b32_e32 v97, v33
	v_subrev_nc_u32_e32 v69, 29, v67
	v_sub_nc_u32_e32 v67, 30, v67
	s_delay_alu instid0(VALU_DEP_2) | instskip(NEXT) | instid1(VALU_DEP_1)
	v_lshlrev_b64_e32 v[98:99], v69, v[96:97]
	v_and_b32_e32 v69, 3, v98
.LBB2_5663:                             ;   in Loop: Header=BB2_5290 Depth=2
	s_or_b32 exec_lo, exec_lo, s28
	v_lshlrev_b32_e32 v71, 24, v96
                                        ; implicit-def: $vgpr96
	s_delay_alu instid0(VALU_DEP_1) | instskip(NEXT) | instid1(VALU_DEP_1)
	v_and_b32_e32 v71, 0x80000000, v71
	v_lshl_add_u32 v67, v67, 23, v71
	s_delay_alu instid0(VALU_DEP_1) | instskip(NEXT) | instid1(VALU_DEP_1)
	v_lshl_or_b32 v67, v69, 21, v67
                                        ; implicit-def: $vgpr69
	v_add_nc_u32_e32 v67, 0x38000000, v67
.LBB2_5664:                             ;   in Loop: Header=BB2_5290 Depth=2
	s_and_not1_saveexec_b32 s11, s11
; %bb.5665:                             ;   in Loop: Header=BB2_5290 Depth=2
	v_bfe_i32 v67, v96, 0, 8
	s_delay_alu instid0(VALU_DEP_1) | instskip(SKIP_2) | instid1(VALU_DEP_2)
	v_cmp_lt_i16_e32 vcc_lo, -1, v67
	v_cndmask_b32_e32 v67, 0xff800000, v45, vcc_lo
	v_cmp_eq_u32_e32 vcc_lo, 0, v69
	v_cndmask_b32_e32 v67, 0x7f800001, v67, vcc_lo
; %bb.5666:                             ;   in Loop: Header=BB2_5290 Depth=2
	s_or_b32 exec_lo, exec_lo, s11
.LBB2_5667:                             ;   in Loop: Header=BB2_5290 Depth=2
	s_delay_alu instid0(SALU_CYCLE_1)
	s_or_b32 exec_lo, exec_lo, s10
.LBB2_5668:                             ;   in Loop: Header=BB2_5290 Depth=2
	s_delay_alu instid0(SALU_CYCLE_1) | instskip(NEXT) | instid1(SALU_CYCLE_1)
	s_or_b32 exec_lo, exec_lo, s7
	s_mov_b32 s7, exec_lo
	s_wait_loadcnt_dscnt 0x505
	v_cmpx_ne_u16_e32 0, v116
	s_cbranch_execz .LBB2_5678
; %bb.5669:                             ;   in Loop: Header=BB2_5290 Depth=2
	v_bfrev_b32_e32 v32, 1
	s_mov_b32 s10, exec_lo
	v_cmpx_ne_u16_e32 0xff80, v116
	s_cbranch_execz .LBB2_5677
; %bb.5670:                             ;   in Loop: Header=BB2_5290 Depth=2
	v_and_b32_e32 v32, 0x7c, v116
	v_and_b32_e32 v69, 3, v116
	s_delay_alu instid0(VALU_DEP_2) | instskip(SKIP_1) | instid1(SALU_CYCLE_1)
	v_cmp_ne_u32_e32 vcc_lo, 0x7c, v32
                                        ; implicit-def: $vgpr32
	s_and_saveexec_b32 s11, vcc_lo
	s_xor_b32 s11, exec_lo, s11
	s_cbranch_execz .LBB2_5674
; %bb.5671:                             ;   in Loop: Header=BB2_5290 Depth=2
	v_and_b32_e32 v32, 0xff, v116
	s_mov_b32 s28, exec_lo
	s_delay_alu instid0(VALU_DEP_1) | instskip(NEXT) | instid1(VALU_DEP_1)
	v_bfe_u32 v32, v32, 2, 5
	v_cmpx_eq_u32_e32 0, v32
	s_cbranch_execz .LBB2_5673
; %bb.5672:                             ;   in Loop: Header=BB2_5290 Depth=2
	v_clz_i32_u32_e32 v32, v69
	s_delay_alu instid0(VALU_DEP_1) | instskip(SKIP_1) | instid1(VALU_DEP_2)
	v_min_u32_e32 v32, 32, v32
	v_mov_b32_e32 v117, v33
	v_subrev_nc_u32_e32 v69, 29, v32
	v_sub_nc_u32_e32 v32, 30, v32
	s_delay_alu instid0(VALU_DEP_2) | instskip(NEXT) | instid1(VALU_DEP_1)
	v_lshlrev_b64_e32 v[96:97], v69, v[116:117]
	v_and_b32_e32 v69, 3, v96
.LBB2_5673:                             ;   in Loop: Header=BB2_5290 Depth=2
	s_or_b32 exec_lo, exec_lo, s28
	v_bfe_i32 v71, v116, 0, 16
                                        ; implicit-def: $vgpr116
	s_delay_alu instid0(VALU_DEP_1) | instskip(NEXT) | instid1(VALU_DEP_1)
	v_and_b32_e32 v71, 0x80000000, v71
	v_lshl_add_u32 v32, v32, 23, v71
	s_delay_alu instid0(VALU_DEP_1) | instskip(NEXT) | instid1(VALU_DEP_1)
	v_lshl_or_b32 v32, v69, 21, v32
                                        ; implicit-def: $vgpr69
	v_add_nc_u32_e32 v32, 0x38000000, v32
.LBB2_5674:                             ;   in Loop: Header=BB2_5290 Depth=2
	s_and_not1_saveexec_b32 s11, s11
; %bb.5675:                             ;   in Loop: Header=BB2_5290 Depth=2
	v_cmp_lt_i16_e32 vcc_lo, -1, v116
	v_cndmask_b32_e32 v32, 0xff800000, v45, vcc_lo
	v_cmp_eq_u32_e32 vcc_lo, 0, v69
	s_delay_alu instid0(VALU_DEP_2)
	v_cndmask_b32_e32 v32, 0x7f800001, v32, vcc_lo
; %bb.5676:                             ;   in Loop: Header=BB2_5290 Depth=2
	s_or_b32 exec_lo, exec_lo, s11
.LBB2_5677:                             ;   in Loop: Header=BB2_5290 Depth=2
	s_delay_alu instid0(SALU_CYCLE_1)
	s_or_b32 exec_lo, exec_lo, s10
.LBB2_5678:                             ;   in Loop: Header=BB2_5290 Depth=2
	s_delay_alu instid0(SALU_CYCLE_1) | instskip(NEXT) | instid1(VALU_DEP_1)
	s_or_b32 exec_lo, exec_lo, s7
	v_dual_add_f32 v69, v67, v32 :: v_dual_mov_b32 v97, v33
                                        ; implicit-def: $vgpr98
	s_mov_b32 s7, exec_lo
	s_delay_alu instid0(VALU_DEP_1) | instskip(SKIP_1) | instid1(VALU_DEP_2)
	v_and_b32_e32 v96, 0x7f800000, v69
	v_and_b32_e32 v32, 0x7fffff, v69
	v_cmpx_ne_u64_e32 0x7f800000, v[96:97]
	s_xor_b32 s10, exec_lo, s7
	s_cbranch_execz .LBB2_5696
; %bb.5679:                             ;   in Loop: Header=BB2_5290 Depth=2
	v_dual_mov_b32 v97, v33 :: v_dual_lshrrev_b32 v67, 24, v69
	v_and_b32_e32 v96, 0x7fffffff, v69
                                        ; implicit-def: $vgpr98
	s_mov_b32 s7, exec_lo
	s_delay_alu instid0(VALU_DEP_2) | instskip(NEXT) | instid1(VALU_DEP_2)
	v_and_b32_e32 v67, 0x80, v67
	v_cmpx_gt_u64_e32 0x47600001, v[96:97]
	s_xor_b32 s11, exec_lo, s7
	s_cbranch_execz .LBB2_5693
; %bb.5680:                             ;   in Loop: Header=BB2_5290 Depth=2
	v_mov_b32_e32 v98, 0
	s_mov_b32 s28, exec_lo
	v_cmpx_ne_u32_e32 0, v69
	s_cbranch_execz .LBB2_5692
; %bb.5681:                             ;   in Loop: Header=BB2_5290 Depth=2
	v_bfe_u32 v69, v69, 23, 8
	v_or_b32_e32 v83, 0x800000, v32
	s_delay_alu instid0(VALU_DEP_2) | instskip(SKIP_1) | instid1(VALU_DEP_2)
	v_sub_nc_u32_e32 v71, 0x71, v69
	v_cmp_gt_u32_e32 vcc_lo, 0x72, v69
	v_cndmask_b32_e32 v71, 0, v71, vcc_lo
	v_cmp_eq_u32_e32 vcc_lo, 0, v69
	s_delay_alu instid0(VALU_DEP_2) | instskip(NEXT) | instid1(VALU_DEP_1)
	v_cndmask_b32_e64 v71, v71, 0x70, vcc_lo
	v_dual_cndmask_b32 v32, v83, v32 :: v_dual_add_nc_u32 v81, 21, v71
	s_delay_alu instid0(VALU_DEP_1) | instskip(SKIP_1) | instid1(VALU_DEP_1)
	v_lshlrev_b64_e64 v[96:97], v81, -1
	v_add_nc_u32_e32 v81, 20, v71
	v_lshlrev_b64_e64 v[98:99], v81, 1
	s_delay_alu instid0(VALU_DEP_3) | instskip(NEXT) | instid1(VALU_DEP_4)
	v_bfi_b32 v117, v97, 0, 0
	v_bfi_b32 v116, v96, 0, v32
	v_lshrrev_b64 v[96:97], v71, v[32:33]
	s_delay_alu instid0(VALU_DEP_2) | instskip(NEXT) | instid1(VALU_DEP_2)
	v_cmp_eq_u64_e64 s7, v[116:117], v[98:99]
	v_mov_b64_e32 v[98:99], v[96:97]
	s_and_saveexec_b32 s29, s7
; %bb.5682:                             ;   in Loop: Header=BB2_5290 Depth=2
	v_bfe_u32 v32, v96, 21, 1
	s_delay_alu instid0(VALU_DEP_1) | instskip(NEXT) | instid1(VALU_DEP_1)
	v_add_nc_u64_e32 v[98:99], v[96:97], v[32:33]
	v_add_nc_u64_e32 v[98:99], -1, v[98:99]
; %bb.5683:                             ;   in Loop: Header=BB2_5290 Depth=2
	s_or_b32 exec_lo, exec_lo, s29
	v_add_nc_u32_e32 v32, 0xffffff81, v69
	v_lshrrev_b32_e32 v69, 23, v96
	s_mov_b32 s7, exec_lo
	s_delay_alu instid0(VALU_DEP_2) | instskip(NEXT) | instid1(VALU_DEP_1)
	v_cndmask_b32_e64 v32, v32, 0xffffff82, vcc_lo
	v_add3_u32 v71, v71, v32, v69
	v_and_b32_e32 v32, 0x1fffff, v98
                                        ; implicit-def: $vgpr69
	s_delay_alu instid0(VALU_DEP_1) | instskip(NEXT) | instid1(VALU_DEP_1)
	v_dual_add_nc_u32 v81, 14, v71 :: v_dual_add_nc_u32 v32, v32, v96
                                        ; implicit-def: $vgpr96_vgpr97
	v_cmpx_ne_u32_e32 0, v81
	s_xor_b32 s7, exec_lo, s7
; %bb.5684:                             ;   in Loop: Header=BB2_5290 Depth=2
	s_delay_alu instid0(VALU_DEP_2) | instskip(SKIP_2) | instid1(VALU_DEP_2)
	v_cmp_lt_u64_e32 vcc_lo, 0xffffff, v[32:33]
	v_add_nc_u32_e32 v69, 15, v71
	v_cndmask_b32_e64 v71, 0, 1, vcc_lo
	v_cndmask_b32_e32 v69, v81, v69, vcc_lo
	s_delay_alu instid0(VALU_DEP_2)
	v_lshrrev_b64 v[96:97], v71, v[32:33]
; %bb.5685:                             ;   in Loop: Header=BB2_5290 Depth=2
	s_and_not1_saveexec_b32 s7, s7
; %bb.5686:                             ;   in Loop: Header=BB2_5290 Depth=2
	v_mov_b64_e32 v[96:97], v[32:33]
	v_bfe_u32 v69, v32, 23, 1
; %bb.5687:                             ;   in Loop: Header=BB2_5290 Depth=2
	s_or_b32 exec_lo, exec_lo, s7
	s_delay_alu instid0(VALU_DEP_2) | instskip(NEXT) | instid1(VALU_DEP_2)
	v_lshrrev_b64 v[96:97], 21, v[96:97]
	v_cmp_gt_i32_e32 vcc_lo, 32, v69
	v_cmp_ne_u32_e64 s7, 0, v69
                                        ; implicit-def: $vgpr98
	s_delay_alu instid0(VALU_DEP_3) | instskip(NEXT) | instid1(VALU_DEP_1)
	v_dual_cndmask_b32 v97, 0, v97 :: v_dual_cndmask_b32 v96, 3, v96
	v_cmp_ne_u64_e32 vcc_lo, 0, v[96:97]
	s_or_b32 s7, s7, vcc_lo
	s_delay_alu instid0(SALU_CYCLE_1) | instskip(NEXT) | instid1(SALU_CYCLE_1)
	s_and_saveexec_b32 s29, s7
	s_xor_b32 s7, exec_lo, s29
; %bb.5688:                             ;   in Loop: Header=BB2_5290 Depth=2
	v_min_i32_e32 v32, 31, v69
	s_delay_alu instid0(VALU_DEP_1) | instskip(NEXT) | instid1(VALU_DEP_1)
	v_lshl_or_b32 v32, v32, 2, v67
                                        ; implicit-def: $vgpr67
	v_and_or_b32 v98, v96, 3, v32
; %bb.5689:                             ;   in Loop: Header=BB2_5290 Depth=2
	s_and_not1_saveexec_b32 s7, s7
; %bb.5690:                             ;   in Loop: Header=BB2_5290 Depth=2
	v_mov_b32_e32 v98, v67
; %bb.5691:                             ;   in Loop: Header=BB2_5290 Depth=2
	s_or_b32 exec_lo, exec_lo, s7
.LBB2_5692:                             ;   in Loop: Header=BB2_5290 Depth=2
	s_delay_alu instid0(SALU_CYCLE_1)
	s_or_b32 exec_lo, exec_lo, s28
                                        ; implicit-def: $vgpr67
.LBB2_5693:                             ;   in Loop: Header=BB2_5290 Depth=2
	s_and_not1_saveexec_b32 s7, s11
; %bb.5694:                             ;   in Loop: Header=BB2_5290 Depth=2
	v_or_b32_e32 v98, 0x7b, v67
; %bb.5695:                             ;   in Loop: Header=BB2_5290 Depth=2
	s_or_b32 exec_lo, exec_lo, s7
                                        ; implicit-def: $vgpr69
.LBB2_5696:                             ;   in Loop: Header=BB2_5290 Depth=2
	s_and_not1_saveexec_b32 s7, s10
	s_cbranch_execz .LBB2_5702
; %bb.5697:                             ;   in Loop: Header=BB2_5290 Depth=2
	s_mov_b32 s10, exec_lo
                                        ; implicit-def: $vgpr98
	v_cmpx_ne_u64_e32 0, v[32:33]
	s_xor_b32 s10, exec_lo, s10
; %bb.5698:                             ;   in Loop: Header=BB2_5290 Depth=2
	v_lshrrev_b32_e32 v32, 24, v69
                                        ; implicit-def: $vgpr69
	s_delay_alu instid0(VALU_DEP_1)
	v_or_b32_e32 v98, 0x7f, v32
; %bb.5699:                             ;   in Loop: Header=BB2_5290 Depth=2
	s_and_not1_saveexec_b32 s10, s10
; %bb.5700:                             ;   in Loop: Header=BB2_5290 Depth=2
	v_cmp_lt_i32_e32 vcc_lo, -1, v69
	v_cndmask_b32_e64 v98, -4, 0x7c, vcc_lo
; %bb.5701:                             ;   in Loop: Header=BB2_5290 Depth=2
	s_or_b32 exec_lo, exec_lo, s10
.LBB2_5702:                             ;   in Loop: Header=BB2_5290 Depth=2
	s_delay_alu instid0(SALU_CYCLE_1) | instskip(SKIP_3) | instid1(VALU_DEP_2)
	s_or_b32 exec_lo, exec_lo, s7
	v_and_b32_e32 v71, 0xff, v84
	v_dual_mov_b32 v32, 0 :: v_dual_mov_b32 v67, 0
	s_mov_b32 s7, exec_lo
	v_cmpx_ne_u16_e32 0, v71
	s_cbranch_execz .LBB2_5712
; %bb.5703:                             ;   in Loop: Header=BB2_5290 Depth=2
	v_bfrev_b32_e32 v67, 1
	s_mov_b32 s10, exec_lo
	v_cmpx_ne_u16_e32 0x80, v71
	s_cbranch_execz .LBB2_5711
; %bb.5704:                             ;   in Loop: Header=BB2_5290 Depth=2
	v_and_b32_e32 v67, 0x7c, v84
	v_and_b32_e32 v69, 3, v84
	s_delay_alu instid0(VALU_DEP_2) | instskip(SKIP_1) | instid1(SALU_CYCLE_1)
	v_cmp_ne_u32_e32 vcc_lo, 0x7c, v67
                                        ; implicit-def: $vgpr67
	s_and_saveexec_b32 s11, vcc_lo
	s_xor_b32 s11, exec_lo, s11
	s_cbranch_execz .LBB2_5708
; %bb.5705:                             ;   in Loop: Header=BB2_5290 Depth=2
	v_bfe_u32 v67, v71, 2, 5
	s_mov_b32 s28, exec_lo
	s_delay_alu instid0(VALU_DEP_1)
	v_cmpx_eq_u32_e32 0, v67
	s_cbranch_execz .LBB2_5707
; %bb.5706:                             ;   in Loop: Header=BB2_5290 Depth=2
	v_clz_i32_u32_e32 v67, v69
	s_delay_alu instid0(VALU_DEP_1) | instskip(SKIP_1) | instid1(VALU_DEP_2)
	v_min_u32_e32 v67, 32, v67
	v_mov_b32_e32 v85, v33
	v_subrev_nc_u32_e32 v69, 29, v67
	v_sub_nc_u32_e32 v67, 30, v67
	s_delay_alu instid0(VALU_DEP_2) | instskip(NEXT) | instid1(VALU_DEP_1)
	v_lshlrev_b64_e32 v[96:97], v69, v[84:85]
	v_and_b32_e32 v69, 3, v96
.LBB2_5707:                             ;   in Loop: Header=BB2_5290 Depth=2
	s_or_b32 exec_lo, exec_lo, s28
	v_lshlrev_b32_e32 v71, 24, v84
                                        ; implicit-def: $vgpr84
	s_delay_alu instid0(VALU_DEP_1) | instskip(NEXT) | instid1(VALU_DEP_1)
	v_and_b32_e32 v71, 0x80000000, v71
	v_lshl_add_u32 v67, v67, 23, v71
	s_delay_alu instid0(VALU_DEP_1) | instskip(NEXT) | instid1(VALU_DEP_1)
	v_lshl_or_b32 v67, v69, 21, v67
                                        ; implicit-def: $vgpr69
	v_add_nc_u32_e32 v67, 0x38000000, v67
.LBB2_5708:                             ;   in Loop: Header=BB2_5290 Depth=2
	s_and_not1_saveexec_b32 s11, s11
; %bb.5709:                             ;   in Loop: Header=BB2_5290 Depth=2
	v_bfe_i32 v67, v84, 0, 8
	s_delay_alu instid0(VALU_DEP_1) | instskip(SKIP_2) | instid1(VALU_DEP_2)
	v_cmp_lt_i16_e32 vcc_lo, -1, v67
	v_cndmask_b32_e32 v67, 0xff800000, v45, vcc_lo
	v_cmp_eq_u32_e32 vcc_lo, 0, v69
	v_cndmask_b32_e32 v67, 0x7f800001, v67, vcc_lo
; %bb.5710:                             ;   in Loop: Header=BB2_5290 Depth=2
	s_or_b32 exec_lo, exec_lo, s11
.LBB2_5711:                             ;   in Loop: Header=BB2_5290 Depth=2
	s_delay_alu instid0(SALU_CYCLE_1)
	s_or_b32 exec_lo, exec_lo, s10
.LBB2_5712:                             ;   in Loop: Header=BB2_5290 Depth=2
	s_delay_alu instid0(SALU_CYCLE_1) | instskip(NEXT) | instid1(SALU_CYCLE_1)
	s_or_b32 exec_lo, exec_lo, s7
	s_mov_b32 s7, exec_lo
	s_wait_loadcnt_dscnt 0x404
	v_cmpx_ne_u16_e32 0, v114
	s_cbranch_execz .LBB2_5722
; %bb.5713:                             ;   in Loop: Header=BB2_5290 Depth=2
	v_bfrev_b32_e32 v32, 1
	s_mov_b32 s10, exec_lo
	v_cmpx_ne_u16_e32 0xff80, v114
	s_cbranch_execz .LBB2_5721
; %bb.5714:                             ;   in Loop: Header=BB2_5290 Depth=2
	v_and_b32_e32 v32, 0x7c, v114
	v_and_b32_e32 v69, 3, v114
	s_delay_alu instid0(VALU_DEP_2) | instskip(SKIP_1) | instid1(SALU_CYCLE_1)
	v_cmp_ne_u32_e32 vcc_lo, 0x7c, v32
                                        ; implicit-def: $vgpr32
	s_and_saveexec_b32 s11, vcc_lo
	s_xor_b32 s11, exec_lo, s11
	s_cbranch_execz .LBB2_5718
; %bb.5715:                             ;   in Loop: Header=BB2_5290 Depth=2
	v_and_b32_e32 v32, 0xff, v114
	s_mov_b32 s28, exec_lo
	s_delay_alu instid0(VALU_DEP_1) | instskip(NEXT) | instid1(VALU_DEP_1)
	v_bfe_u32 v32, v32, 2, 5
	v_cmpx_eq_u32_e32 0, v32
	s_cbranch_execz .LBB2_5717
; %bb.5716:                             ;   in Loop: Header=BB2_5290 Depth=2
	v_clz_i32_u32_e32 v32, v69
	s_delay_alu instid0(VALU_DEP_1) | instskip(SKIP_1) | instid1(VALU_DEP_2)
	v_min_u32_e32 v32, 32, v32
	v_mov_b32_e32 v115, v33
	v_subrev_nc_u32_e32 v69, 29, v32
	v_sub_nc_u32_e32 v32, 30, v32
	s_delay_alu instid0(VALU_DEP_2) | instskip(NEXT) | instid1(VALU_DEP_1)
	v_lshlrev_b64_e32 v[84:85], v69, v[114:115]
	v_and_b32_e32 v69, 3, v84
.LBB2_5717:                             ;   in Loop: Header=BB2_5290 Depth=2
	s_or_b32 exec_lo, exec_lo, s28
	v_bfe_i32 v71, v114, 0, 16
                                        ; implicit-def: $vgpr114
	s_delay_alu instid0(VALU_DEP_1) | instskip(NEXT) | instid1(VALU_DEP_1)
	v_and_b32_e32 v71, 0x80000000, v71
	v_lshl_add_u32 v32, v32, 23, v71
	s_delay_alu instid0(VALU_DEP_1) | instskip(NEXT) | instid1(VALU_DEP_1)
	v_lshl_or_b32 v32, v69, 21, v32
                                        ; implicit-def: $vgpr69
	v_add_nc_u32_e32 v32, 0x38000000, v32
.LBB2_5718:                             ;   in Loop: Header=BB2_5290 Depth=2
	s_and_not1_saveexec_b32 s11, s11
; %bb.5719:                             ;   in Loop: Header=BB2_5290 Depth=2
	v_cmp_lt_i16_e32 vcc_lo, -1, v114
	v_cndmask_b32_e32 v32, 0xff800000, v45, vcc_lo
	v_cmp_eq_u32_e32 vcc_lo, 0, v69
	s_delay_alu instid0(VALU_DEP_2)
	v_cndmask_b32_e32 v32, 0x7f800001, v32, vcc_lo
; %bb.5720:                             ;   in Loop: Header=BB2_5290 Depth=2
	s_or_b32 exec_lo, exec_lo, s11
.LBB2_5721:                             ;   in Loop: Header=BB2_5290 Depth=2
	s_delay_alu instid0(SALU_CYCLE_1)
	s_or_b32 exec_lo, exec_lo, s10
.LBB2_5722:                             ;   in Loop: Header=BB2_5290 Depth=2
	s_delay_alu instid0(SALU_CYCLE_1) | instskip(NEXT) | instid1(VALU_DEP_1)
	s_or_b32 exec_lo, exec_lo, s7
	v_dual_add_f32 v69, v67, v32 :: v_dual_mov_b32 v85, v33
                                        ; implicit-def: $vgpr96
	s_mov_b32 s7, exec_lo
	s_delay_alu instid0(VALU_DEP_1) | instskip(SKIP_1) | instid1(VALU_DEP_2)
	v_and_b32_e32 v84, 0x7f800000, v69
	v_and_b32_e32 v32, 0x7fffff, v69
	v_cmpx_ne_u64_e32 0x7f800000, v[84:85]
	s_xor_b32 s10, exec_lo, s7
	s_cbranch_execz .LBB2_5740
; %bb.5723:                             ;   in Loop: Header=BB2_5290 Depth=2
	v_dual_mov_b32 v85, v33 :: v_dual_lshrrev_b32 v67, 24, v69
	v_and_b32_e32 v84, 0x7fffffff, v69
                                        ; implicit-def: $vgpr96
	s_mov_b32 s7, exec_lo
	s_delay_alu instid0(VALU_DEP_2) | instskip(NEXT) | instid1(VALU_DEP_2)
	v_and_b32_e32 v67, 0x80, v67
	v_cmpx_gt_u64_e32 0x47600001, v[84:85]
	s_xor_b32 s11, exec_lo, s7
	s_cbranch_execz .LBB2_5737
; %bb.5724:                             ;   in Loop: Header=BB2_5290 Depth=2
	v_mov_b32_e32 v96, 0
	s_mov_b32 s28, exec_lo
	v_cmpx_ne_u32_e32 0, v69
	s_cbranch_execz .LBB2_5736
; %bb.5725:                             ;   in Loop: Header=BB2_5290 Depth=2
	v_bfe_u32 v69, v69, 23, 8
	v_or_b32_e32 v83, 0x800000, v32
	s_delay_alu instid0(VALU_DEP_2) | instskip(SKIP_1) | instid1(VALU_DEP_2)
	v_sub_nc_u32_e32 v71, 0x71, v69
	v_cmp_gt_u32_e32 vcc_lo, 0x72, v69
	v_cndmask_b32_e32 v71, 0, v71, vcc_lo
	v_cmp_eq_u32_e32 vcc_lo, 0, v69
	s_delay_alu instid0(VALU_DEP_2) | instskip(NEXT) | instid1(VALU_DEP_1)
	v_cndmask_b32_e64 v71, v71, 0x70, vcc_lo
	v_dual_cndmask_b32 v32, v83, v32 :: v_dual_add_nc_u32 v81, 21, v71
	s_delay_alu instid0(VALU_DEP_1) | instskip(SKIP_1) | instid1(VALU_DEP_1)
	v_lshlrev_b64_e64 v[84:85], v81, -1
	v_add_nc_u32_e32 v81, 20, v71
	v_lshlrev_b64_e64 v[96:97], v81, 1
	s_delay_alu instid0(VALU_DEP_3) | instskip(NEXT) | instid1(VALU_DEP_4)
	v_bfi_b32 v115, v85, 0, 0
	v_bfi_b32 v114, v84, 0, v32
	v_lshrrev_b64 v[84:85], v71, v[32:33]
	s_delay_alu instid0(VALU_DEP_2) | instskip(NEXT) | instid1(VALU_DEP_2)
	v_cmp_eq_u64_e64 s7, v[114:115], v[96:97]
	v_mov_b64_e32 v[96:97], v[84:85]
	s_and_saveexec_b32 s29, s7
; %bb.5726:                             ;   in Loop: Header=BB2_5290 Depth=2
	v_bfe_u32 v32, v84, 21, 1
	s_delay_alu instid0(VALU_DEP_1) | instskip(NEXT) | instid1(VALU_DEP_1)
	v_add_nc_u64_e32 v[96:97], v[84:85], v[32:33]
	v_add_nc_u64_e32 v[96:97], -1, v[96:97]
; %bb.5727:                             ;   in Loop: Header=BB2_5290 Depth=2
	s_or_b32 exec_lo, exec_lo, s29
	v_add_nc_u32_e32 v32, 0xffffff81, v69
	v_lshrrev_b32_e32 v69, 23, v84
	s_mov_b32 s7, exec_lo
	s_delay_alu instid0(VALU_DEP_2) | instskip(NEXT) | instid1(VALU_DEP_1)
	v_cndmask_b32_e64 v32, v32, 0xffffff82, vcc_lo
	v_add3_u32 v71, v71, v32, v69
	v_and_b32_e32 v32, 0x1fffff, v96
                                        ; implicit-def: $vgpr69
	s_delay_alu instid0(VALU_DEP_1) | instskip(NEXT) | instid1(VALU_DEP_1)
	v_dual_add_nc_u32 v81, 14, v71 :: v_dual_add_nc_u32 v32, v32, v84
                                        ; implicit-def: $vgpr84_vgpr85
	v_cmpx_ne_u32_e32 0, v81
	s_xor_b32 s7, exec_lo, s7
; %bb.5728:                             ;   in Loop: Header=BB2_5290 Depth=2
	s_delay_alu instid0(VALU_DEP_2) | instskip(SKIP_2) | instid1(VALU_DEP_2)
	v_cmp_lt_u64_e32 vcc_lo, 0xffffff, v[32:33]
	v_add_nc_u32_e32 v69, 15, v71
	v_cndmask_b32_e64 v71, 0, 1, vcc_lo
	v_cndmask_b32_e32 v69, v81, v69, vcc_lo
	s_delay_alu instid0(VALU_DEP_2)
	v_lshrrev_b64 v[84:85], v71, v[32:33]
; %bb.5729:                             ;   in Loop: Header=BB2_5290 Depth=2
	s_and_not1_saveexec_b32 s7, s7
; %bb.5730:                             ;   in Loop: Header=BB2_5290 Depth=2
	v_mov_b64_e32 v[84:85], v[32:33]
	v_bfe_u32 v69, v32, 23, 1
; %bb.5731:                             ;   in Loop: Header=BB2_5290 Depth=2
	s_or_b32 exec_lo, exec_lo, s7
	s_delay_alu instid0(VALU_DEP_2) | instskip(NEXT) | instid1(VALU_DEP_2)
	v_lshrrev_b64 v[84:85], 21, v[84:85]
	v_cmp_gt_i32_e32 vcc_lo, 32, v69
	v_cmp_ne_u32_e64 s7, 0, v69
                                        ; implicit-def: $vgpr96
	s_delay_alu instid0(VALU_DEP_3) | instskip(NEXT) | instid1(VALU_DEP_1)
	v_dual_cndmask_b32 v85, 0, v85 :: v_dual_cndmask_b32 v84, 3, v84
	v_cmp_ne_u64_e32 vcc_lo, 0, v[84:85]
	s_or_b32 s7, s7, vcc_lo
	s_delay_alu instid0(SALU_CYCLE_1) | instskip(NEXT) | instid1(SALU_CYCLE_1)
	s_and_saveexec_b32 s29, s7
	s_xor_b32 s7, exec_lo, s29
; %bb.5732:                             ;   in Loop: Header=BB2_5290 Depth=2
	v_min_i32_e32 v32, 31, v69
	s_delay_alu instid0(VALU_DEP_1) | instskip(NEXT) | instid1(VALU_DEP_1)
	v_lshl_or_b32 v32, v32, 2, v67
                                        ; implicit-def: $vgpr67
	v_and_or_b32 v96, v84, 3, v32
; %bb.5733:                             ;   in Loop: Header=BB2_5290 Depth=2
	s_and_not1_saveexec_b32 s7, s7
; %bb.5734:                             ;   in Loop: Header=BB2_5290 Depth=2
	v_mov_b32_e32 v96, v67
; %bb.5735:                             ;   in Loop: Header=BB2_5290 Depth=2
	s_or_b32 exec_lo, exec_lo, s7
.LBB2_5736:                             ;   in Loop: Header=BB2_5290 Depth=2
	s_delay_alu instid0(SALU_CYCLE_1)
	s_or_b32 exec_lo, exec_lo, s28
                                        ; implicit-def: $vgpr67
.LBB2_5737:                             ;   in Loop: Header=BB2_5290 Depth=2
	s_and_not1_saveexec_b32 s7, s11
; %bb.5738:                             ;   in Loop: Header=BB2_5290 Depth=2
	v_or_b32_e32 v96, 0x7b, v67
; %bb.5739:                             ;   in Loop: Header=BB2_5290 Depth=2
	s_or_b32 exec_lo, exec_lo, s7
                                        ; implicit-def: $vgpr69
.LBB2_5740:                             ;   in Loop: Header=BB2_5290 Depth=2
	s_and_not1_saveexec_b32 s7, s10
	s_cbranch_execz .LBB2_5746
; %bb.5741:                             ;   in Loop: Header=BB2_5290 Depth=2
	s_mov_b32 s10, exec_lo
                                        ; implicit-def: $vgpr96
	v_cmpx_ne_u64_e32 0, v[32:33]
	s_xor_b32 s10, exec_lo, s10
; %bb.5742:                             ;   in Loop: Header=BB2_5290 Depth=2
	v_lshrrev_b32_e32 v32, 24, v69
                                        ; implicit-def: $vgpr69
	s_delay_alu instid0(VALU_DEP_1)
	v_or_b32_e32 v96, 0x7f, v32
; %bb.5743:                             ;   in Loop: Header=BB2_5290 Depth=2
	s_and_not1_saveexec_b32 s10, s10
; %bb.5744:                             ;   in Loop: Header=BB2_5290 Depth=2
	v_cmp_lt_i32_e32 vcc_lo, -1, v69
	v_cndmask_b32_e64 v96, -4, 0x7c, vcc_lo
; %bb.5745:                             ;   in Loop: Header=BB2_5290 Depth=2
	s_or_b32 exec_lo, exec_lo, s10
.LBB2_5746:                             ;   in Loop: Header=BB2_5290 Depth=2
	s_delay_alu instid0(SALU_CYCLE_1) | instskip(SKIP_3) | instid1(VALU_DEP_2)
	s_or_b32 exec_lo, exec_lo, s7
	v_and_b32_e32 v71, 0xff, v82
	v_dual_mov_b32 v32, 0 :: v_dual_mov_b32 v67, 0
	s_mov_b32 s7, exec_lo
	v_cmpx_ne_u16_e32 0, v71
	s_cbranch_execz .LBB2_5756
; %bb.5747:                             ;   in Loop: Header=BB2_5290 Depth=2
	v_bfrev_b32_e32 v67, 1
	s_mov_b32 s10, exec_lo
	v_cmpx_ne_u16_e32 0x80, v71
	s_cbranch_execz .LBB2_5755
; %bb.5748:                             ;   in Loop: Header=BB2_5290 Depth=2
	v_and_b32_e32 v67, 0x7c, v82
	v_and_b32_e32 v69, 3, v82
	s_delay_alu instid0(VALU_DEP_2) | instskip(SKIP_1) | instid1(SALU_CYCLE_1)
	v_cmp_ne_u32_e32 vcc_lo, 0x7c, v67
                                        ; implicit-def: $vgpr67
	s_and_saveexec_b32 s11, vcc_lo
	s_xor_b32 s11, exec_lo, s11
	s_cbranch_execz .LBB2_5752
; %bb.5749:                             ;   in Loop: Header=BB2_5290 Depth=2
	v_bfe_u32 v67, v71, 2, 5
	s_mov_b32 s28, exec_lo
	s_delay_alu instid0(VALU_DEP_1)
	v_cmpx_eq_u32_e32 0, v67
	s_cbranch_execz .LBB2_5751
; %bb.5750:                             ;   in Loop: Header=BB2_5290 Depth=2
	v_clz_i32_u32_e32 v67, v69
	s_delay_alu instid0(VALU_DEP_1) | instskip(SKIP_1) | instid1(VALU_DEP_2)
	v_min_u32_e32 v67, 32, v67
	v_mov_b32_e32 v83, v33
	v_subrev_nc_u32_e32 v69, 29, v67
	v_sub_nc_u32_e32 v67, 30, v67
	s_delay_alu instid0(VALU_DEP_2) | instskip(NEXT) | instid1(VALU_DEP_1)
	v_lshlrev_b64_e32 v[84:85], v69, v[82:83]
	v_and_b32_e32 v69, 3, v84
.LBB2_5751:                             ;   in Loop: Header=BB2_5290 Depth=2
	s_or_b32 exec_lo, exec_lo, s28
	v_lshlrev_b32_e32 v71, 24, v82
                                        ; implicit-def: $vgpr82
	s_delay_alu instid0(VALU_DEP_1) | instskip(NEXT) | instid1(VALU_DEP_1)
	v_and_b32_e32 v71, 0x80000000, v71
	v_lshl_add_u32 v67, v67, 23, v71
	s_delay_alu instid0(VALU_DEP_1) | instskip(NEXT) | instid1(VALU_DEP_1)
	v_lshl_or_b32 v67, v69, 21, v67
                                        ; implicit-def: $vgpr69
	v_add_nc_u32_e32 v67, 0x38000000, v67
.LBB2_5752:                             ;   in Loop: Header=BB2_5290 Depth=2
	s_and_not1_saveexec_b32 s11, s11
; %bb.5753:                             ;   in Loop: Header=BB2_5290 Depth=2
	v_bfe_i32 v67, v82, 0, 8
	s_delay_alu instid0(VALU_DEP_1) | instskip(SKIP_2) | instid1(VALU_DEP_2)
	v_cmp_lt_i16_e32 vcc_lo, -1, v67
	v_cndmask_b32_e32 v67, 0xff800000, v45, vcc_lo
	v_cmp_eq_u32_e32 vcc_lo, 0, v69
	v_cndmask_b32_e32 v67, 0x7f800001, v67, vcc_lo
; %bb.5754:                             ;   in Loop: Header=BB2_5290 Depth=2
	s_or_b32 exec_lo, exec_lo, s11
.LBB2_5755:                             ;   in Loop: Header=BB2_5290 Depth=2
	s_delay_alu instid0(SALU_CYCLE_1)
	s_or_b32 exec_lo, exec_lo, s10
.LBB2_5756:                             ;   in Loop: Header=BB2_5290 Depth=2
	s_delay_alu instid0(SALU_CYCLE_1) | instskip(NEXT) | instid1(SALU_CYCLE_1)
	s_or_b32 exec_lo, exec_lo, s7
	s_mov_b32 s7, exec_lo
	s_wait_loadcnt_dscnt 0x303
	v_cmpx_ne_u16_e32 0, v112
	s_cbranch_execz .LBB2_5766
; %bb.5757:                             ;   in Loop: Header=BB2_5290 Depth=2
	v_bfrev_b32_e32 v32, 1
	s_mov_b32 s10, exec_lo
	v_cmpx_ne_u16_e32 0xff80, v112
	s_cbranch_execz .LBB2_5765
; %bb.5758:                             ;   in Loop: Header=BB2_5290 Depth=2
	v_and_b32_e32 v32, 0x7c, v112
	v_and_b32_e32 v69, 3, v112
	s_delay_alu instid0(VALU_DEP_2) | instskip(SKIP_1) | instid1(SALU_CYCLE_1)
	v_cmp_ne_u32_e32 vcc_lo, 0x7c, v32
                                        ; implicit-def: $vgpr32
	s_and_saveexec_b32 s11, vcc_lo
	s_xor_b32 s11, exec_lo, s11
	s_cbranch_execz .LBB2_5762
; %bb.5759:                             ;   in Loop: Header=BB2_5290 Depth=2
	v_and_b32_e32 v32, 0xff, v112
	s_mov_b32 s28, exec_lo
	s_delay_alu instid0(VALU_DEP_1) | instskip(NEXT) | instid1(VALU_DEP_1)
	v_bfe_u32 v32, v32, 2, 5
	v_cmpx_eq_u32_e32 0, v32
	s_cbranch_execz .LBB2_5761
; %bb.5760:                             ;   in Loop: Header=BB2_5290 Depth=2
	v_clz_i32_u32_e32 v32, v69
	s_delay_alu instid0(VALU_DEP_1) | instskip(SKIP_1) | instid1(VALU_DEP_2)
	v_min_u32_e32 v32, 32, v32
	v_mov_b32_e32 v113, v33
	v_subrev_nc_u32_e32 v69, 29, v32
	v_sub_nc_u32_e32 v32, 30, v32
	s_delay_alu instid0(VALU_DEP_2) | instskip(NEXT) | instid1(VALU_DEP_1)
	v_lshlrev_b64_e32 v[82:83], v69, v[112:113]
	v_and_b32_e32 v69, 3, v82
.LBB2_5761:                             ;   in Loop: Header=BB2_5290 Depth=2
	s_or_b32 exec_lo, exec_lo, s28
	v_bfe_i32 v71, v112, 0, 16
                                        ; implicit-def: $vgpr112
	s_delay_alu instid0(VALU_DEP_1) | instskip(NEXT) | instid1(VALU_DEP_1)
	v_and_b32_e32 v71, 0x80000000, v71
	v_lshl_add_u32 v32, v32, 23, v71
	s_delay_alu instid0(VALU_DEP_1) | instskip(NEXT) | instid1(VALU_DEP_1)
	v_lshl_or_b32 v32, v69, 21, v32
                                        ; implicit-def: $vgpr69
	v_add_nc_u32_e32 v32, 0x38000000, v32
.LBB2_5762:                             ;   in Loop: Header=BB2_5290 Depth=2
	s_and_not1_saveexec_b32 s11, s11
; %bb.5763:                             ;   in Loop: Header=BB2_5290 Depth=2
	v_cmp_lt_i16_e32 vcc_lo, -1, v112
	v_cndmask_b32_e32 v32, 0xff800000, v45, vcc_lo
	v_cmp_eq_u32_e32 vcc_lo, 0, v69
	s_delay_alu instid0(VALU_DEP_2)
	v_cndmask_b32_e32 v32, 0x7f800001, v32, vcc_lo
; %bb.5764:                             ;   in Loop: Header=BB2_5290 Depth=2
	s_or_b32 exec_lo, exec_lo, s11
.LBB2_5765:                             ;   in Loop: Header=BB2_5290 Depth=2
	s_delay_alu instid0(SALU_CYCLE_1)
	s_or_b32 exec_lo, exec_lo, s10
.LBB2_5766:                             ;   in Loop: Header=BB2_5290 Depth=2
	s_delay_alu instid0(SALU_CYCLE_1) | instskip(NEXT) | instid1(VALU_DEP_1)
	s_or_b32 exec_lo, exec_lo, s7
	v_dual_add_f32 v69, v67, v32 :: v_dual_mov_b32 v83, v33
                                        ; implicit-def: $vgpr84
	s_mov_b32 s7, exec_lo
	s_delay_alu instid0(VALU_DEP_1) | instskip(SKIP_1) | instid1(VALU_DEP_2)
	v_and_b32_e32 v82, 0x7f800000, v69
	v_and_b32_e32 v32, 0x7fffff, v69
	v_cmpx_ne_u64_e32 0x7f800000, v[82:83]
	s_xor_b32 s10, exec_lo, s7
	s_cbranch_execz .LBB2_5784
; %bb.5767:                             ;   in Loop: Header=BB2_5290 Depth=2
	v_dual_mov_b32 v83, v33 :: v_dual_lshrrev_b32 v67, 24, v69
	v_and_b32_e32 v82, 0x7fffffff, v69
                                        ; implicit-def: $vgpr84
	s_mov_b32 s7, exec_lo
	s_delay_alu instid0(VALU_DEP_2) | instskip(NEXT) | instid1(VALU_DEP_2)
	v_and_b32_e32 v67, 0x80, v67
	v_cmpx_gt_u64_e32 0x47600001, v[82:83]
	s_xor_b32 s11, exec_lo, s7
	s_cbranch_execz .LBB2_5781
; %bb.5768:                             ;   in Loop: Header=BB2_5290 Depth=2
	v_mov_b32_e32 v84, 0
	s_mov_b32 s28, exec_lo
	v_cmpx_ne_u32_e32 0, v69
	s_cbranch_execz .LBB2_5780
; %bb.5769:                             ;   in Loop: Header=BB2_5290 Depth=2
	v_bfe_u32 v69, v69, 23, 8
	v_or_b32_e32 v84, 0x800000, v32
	s_delay_alu instid0(VALU_DEP_2) | instskip(SKIP_1) | instid1(VALU_DEP_2)
	v_sub_nc_u32_e32 v71, 0x71, v69
	v_cmp_gt_u32_e32 vcc_lo, 0x72, v69
	v_cndmask_b32_e32 v71, 0, v71, vcc_lo
	v_cmp_eq_u32_e32 vcc_lo, 0, v69
	s_delay_alu instid0(VALU_DEP_2) | instskip(NEXT) | instid1(VALU_DEP_1)
	v_cndmask_b32_e64 v71, v71, 0x70, vcc_lo
	v_dual_cndmask_b32 v32, v84, v32 :: v_dual_add_nc_u32 v81, 21, v71
	s_delay_alu instid0(VALU_DEP_1) | instskip(SKIP_1) | instid1(VALU_DEP_1)
	v_lshlrev_b64_e64 v[82:83], v81, -1
	v_add_nc_u32_e32 v81, 20, v71
	v_lshlrev_b64_e64 v[84:85], v81, 1
	s_delay_alu instid0(VALU_DEP_3) | instskip(NEXT) | instid1(VALU_DEP_4)
	v_bfi_b32 v113, v83, 0, 0
	v_bfi_b32 v112, v82, 0, v32
	v_lshrrev_b64 v[82:83], v71, v[32:33]
	s_delay_alu instid0(VALU_DEP_2) | instskip(NEXT) | instid1(VALU_DEP_2)
	v_cmp_eq_u64_e64 s7, v[112:113], v[84:85]
	v_mov_b64_e32 v[84:85], v[82:83]
	s_and_saveexec_b32 s29, s7
; %bb.5770:                             ;   in Loop: Header=BB2_5290 Depth=2
	v_bfe_u32 v32, v82, 21, 1
	s_delay_alu instid0(VALU_DEP_1) | instskip(NEXT) | instid1(VALU_DEP_1)
	v_add_nc_u64_e32 v[84:85], v[82:83], v[32:33]
	v_add_nc_u64_e32 v[84:85], -1, v[84:85]
; %bb.5771:                             ;   in Loop: Header=BB2_5290 Depth=2
	s_or_b32 exec_lo, exec_lo, s29
	v_add_nc_u32_e32 v32, 0xffffff81, v69
	v_lshrrev_b32_e32 v69, 23, v82
	s_mov_b32 s7, exec_lo
	s_delay_alu instid0(VALU_DEP_2) | instskip(NEXT) | instid1(VALU_DEP_1)
	v_cndmask_b32_e64 v32, v32, 0xffffff82, vcc_lo
	v_add3_u32 v71, v71, v32, v69
	v_and_b32_e32 v32, 0x1fffff, v84
                                        ; implicit-def: $vgpr69
	s_delay_alu instid0(VALU_DEP_1) | instskip(NEXT) | instid1(VALU_DEP_1)
	v_dual_add_nc_u32 v81, 14, v71 :: v_dual_add_nc_u32 v32, v32, v82
                                        ; implicit-def: $vgpr82_vgpr83
	v_cmpx_ne_u32_e32 0, v81
	s_xor_b32 s7, exec_lo, s7
; %bb.5772:                             ;   in Loop: Header=BB2_5290 Depth=2
	s_delay_alu instid0(VALU_DEP_2) | instskip(SKIP_2) | instid1(VALU_DEP_2)
	v_cmp_lt_u64_e32 vcc_lo, 0xffffff, v[32:33]
	v_add_nc_u32_e32 v69, 15, v71
	v_cndmask_b32_e64 v71, 0, 1, vcc_lo
	v_cndmask_b32_e32 v69, v81, v69, vcc_lo
	s_delay_alu instid0(VALU_DEP_2)
	v_lshrrev_b64 v[82:83], v71, v[32:33]
; %bb.5773:                             ;   in Loop: Header=BB2_5290 Depth=2
	s_and_not1_saveexec_b32 s7, s7
; %bb.5774:                             ;   in Loop: Header=BB2_5290 Depth=2
	v_mov_b64_e32 v[82:83], v[32:33]
	v_bfe_u32 v69, v32, 23, 1
; %bb.5775:                             ;   in Loop: Header=BB2_5290 Depth=2
	s_or_b32 exec_lo, exec_lo, s7
	s_delay_alu instid0(VALU_DEP_2) | instskip(NEXT) | instid1(VALU_DEP_2)
	v_lshrrev_b64 v[82:83], 21, v[82:83]
	v_cmp_gt_i32_e32 vcc_lo, 32, v69
	v_cmp_ne_u32_e64 s7, 0, v69
                                        ; implicit-def: $vgpr84
	s_delay_alu instid0(VALU_DEP_3) | instskip(NEXT) | instid1(VALU_DEP_1)
	v_dual_cndmask_b32 v83, 0, v83 :: v_dual_cndmask_b32 v82, 3, v82
	v_cmp_ne_u64_e32 vcc_lo, 0, v[82:83]
	s_or_b32 s7, s7, vcc_lo
	s_delay_alu instid0(SALU_CYCLE_1) | instskip(NEXT) | instid1(SALU_CYCLE_1)
	s_and_saveexec_b32 s29, s7
	s_xor_b32 s7, exec_lo, s29
; %bb.5776:                             ;   in Loop: Header=BB2_5290 Depth=2
	v_min_i32_e32 v32, 31, v69
	s_delay_alu instid0(VALU_DEP_1) | instskip(NEXT) | instid1(VALU_DEP_1)
	v_lshl_or_b32 v32, v32, 2, v67
                                        ; implicit-def: $vgpr67
	v_and_or_b32 v84, v82, 3, v32
; %bb.5777:                             ;   in Loop: Header=BB2_5290 Depth=2
	s_and_not1_saveexec_b32 s7, s7
; %bb.5778:                             ;   in Loop: Header=BB2_5290 Depth=2
	v_mov_b32_e32 v84, v67
; %bb.5779:                             ;   in Loop: Header=BB2_5290 Depth=2
	s_or_b32 exec_lo, exec_lo, s7
.LBB2_5780:                             ;   in Loop: Header=BB2_5290 Depth=2
	s_delay_alu instid0(SALU_CYCLE_1)
	s_or_b32 exec_lo, exec_lo, s28
                                        ; implicit-def: $vgpr67
.LBB2_5781:                             ;   in Loop: Header=BB2_5290 Depth=2
	s_and_not1_saveexec_b32 s7, s11
; %bb.5782:                             ;   in Loop: Header=BB2_5290 Depth=2
	v_or_b32_e32 v84, 0x7b, v67
; %bb.5783:                             ;   in Loop: Header=BB2_5290 Depth=2
	s_or_b32 exec_lo, exec_lo, s7
                                        ; implicit-def: $vgpr69
.LBB2_5784:                             ;   in Loop: Header=BB2_5290 Depth=2
	s_and_not1_saveexec_b32 s7, s10
	s_cbranch_execz .LBB2_5790
; %bb.5785:                             ;   in Loop: Header=BB2_5290 Depth=2
	s_mov_b32 s10, exec_lo
                                        ; implicit-def: $vgpr84
	v_cmpx_ne_u64_e32 0, v[32:33]
	s_xor_b32 s10, exec_lo, s10
; %bb.5786:                             ;   in Loop: Header=BB2_5290 Depth=2
	v_lshrrev_b32_e32 v32, 24, v69
                                        ; implicit-def: $vgpr69
	s_delay_alu instid0(VALU_DEP_1)
	v_or_b32_e32 v84, 0x7f, v32
; %bb.5787:                             ;   in Loop: Header=BB2_5290 Depth=2
	s_and_not1_saveexec_b32 s10, s10
; %bb.5788:                             ;   in Loop: Header=BB2_5290 Depth=2
	v_cmp_lt_i32_e32 vcc_lo, -1, v69
	v_cndmask_b32_e64 v84, -4, 0x7c, vcc_lo
; %bb.5789:                             ;   in Loop: Header=BB2_5290 Depth=2
	s_or_b32 exec_lo, exec_lo, s10
.LBB2_5790:                             ;   in Loop: Header=BB2_5290 Depth=2
	s_delay_alu instid0(SALU_CYCLE_1) | instskip(SKIP_3) | instid1(VALU_DEP_2)
	s_or_b32 exec_lo, exec_lo, s7
	v_and_b32_e32 v71, 0xff, v80
	v_dual_mov_b32 v32, 0 :: v_dual_mov_b32 v67, 0
	s_mov_b32 s7, exec_lo
	v_cmpx_ne_u16_e32 0, v71
	s_cbranch_execz .LBB2_5800
; %bb.5791:                             ;   in Loop: Header=BB2_5290 Depth=2
	v_bfrev_b32_e32 v67, 1
	s_mov_b32 s10, exec_lo
	v_cmpx_ne_u16_e32 0x80, v71
	s_cbranch_execz .LBB2_5799
; %bb.5792:                             ;   in Loop: Header=BB2_5290 Depth=2
	v_and_b32_e32 v67, 0x7c, v80
	v_and_b32_e32 v69, 3, v80
	s_delay_alu instid0(VALU_DEP_2) | instskip(SKIP_1) | instid1(SALU_CYCLE_1)
	v_cmp_ne_u32_e32 vcc_lo, 0x7c, v67
                                        ; implicit-def: $vgpr67
	s_and_saveexec_b32 s11, vcc_lo
	s_xor_b32 s11, exec_lo, s11
	s_cbranch_execz .LBB2_5796
; %bb.5793:                             ;   in Loop: Header=BB2_5290 Depth=2
	v_bfe_u32 v67, v71, 2, 5
	s_mov_b32 s28, exec_lo
	s_delay_alu instid0(VALU_DEP_1)
	v_cmpx_eq_u32_e32 0, v67
	s_cbranch_execz .LBB2_5795
; %bb.5794:                             ;   in Loop: Header=BB2_5290 Depth=2
	v_clz_i32_u32_e32 v67, v69
	s_delay_alu instid0(VALU_DEP_1) | instskip(SKIP_1) | instid1(VALU_DEP_2)
	v_min_u32_e32 v67, 32, v67
	v_mov_b32_e32 v81, v33
	v_subrev_nc_u32_e32 v69, 29, v67
	v_sub_nc_u32_e32 v67, 30, v67
	s_delay_alu instid0(VALU_DEP_2) | instskip(NEXT) | instid1(VALU_DEP_1)
	v_lshlrev_b64_e32 v[82:83], v69, v[80:81]
	v_and_b32_e32 v69, 3, v82
.LBB2_5795:                             ;   in Loop: Header=BB2_5290 Depth=2
	s_or_b32 exec_lo, exec_lo, s28
	v_lshlrev_b32_e32 v71, 24, v80
                                        ; implicit-def: $vgpr80
	s_delay_alu instid0(VALU_DEP_1) | instskip(NEXT) | instid1(VALU_DEP_1)
	v_and_b32_e32 v71, 0x80000000, v71
	v_lshl_add_u32 v67, v67, 23, v71
	s_delay_alu instid0(VALU_DEP_1) | instskip(NEXT) | instid1(VALU_DEP_1)
	v_lshl_or_b32 v67, v69, 21, v67
                                        ; implicit-def: $vgpr69
	v_add_nc_u32_e32 v67, 0x38000000, v67
.LBB2_5796:                             ;   in Loop: Header=BB2_5290 Depth=2
	s_and_not1_saveexec_b32 s11, s11
; %bb.5797:                             ;   in Loop: Header=BB2_5290 Depth=2
	v_bfe_i32 v67, v80, 0, 8
	s_delay_alu instid0(VALU_DEP_1) | instskip(SKIP_2) | instid1(VALU_DEP_2)
	v_cmp_lt_i16_e32 vcc_lo, -1, v67
	v_cndmask_b32_e32 v67, 0xff800000, v45, vcc_lo
	v_cmp_eq_u32_e32 vcc_lo, 0, v69
	v_cndmask_b32_e32 v67, 0x7f800001, v67, vcc_lo
; %bb.5798:                             ;   in Loop: Header=BB2_5290 Depth=2
	s_or_b32 exec_lo, exec_lo, s11
.LBB2_5799:                             ;   in Loop: Header=BB2_5290 Depth=2
	s_delay_alu instid0(SALU_CYCLE_1)
	s_or_b32 exec_lo, exec_lo, s10
.LBB2_5800:                             ;   in Loop: Header=BB2_5290 Depth=2
	s_delay_alu instid0(SALU_CYCLE_1) | instskip(NEXT) | instid1(SALU_CYCLE_1)
	s_or_b32 exec_lo, exec_lo, s7
	s_mov_b32 s7, exec_lo
	s_wait_loadcnt_dscnt 0x202
	v_cmpx_ne_u16_e32 0, v102
	s_cbranch_execz .LBB2_5810
; %bb.5801:                             ;   in Loop: Header=BB2_5290 Depth=2
	v_bfrev_b32_e32 v32, 1
	s_mov_b32 s10, exec_lo
	v_cmpx_ne_u16_e32 0xff80, v102
	s_cbranch_execz .LBB2_5809
; %bb.5802:                             ;   in Loop: Header=BB2_5290 Depth=2
	v_and_b32_e32 v32, 0x7c, v102
	v_and_b32_e32 v69, 3, v102
	s_delay_alu instid0(VALU_DEP_2) | instskip(SKIP_1) | instid1(SALU_CYCLE_1)
	v_cmp_ne_u32_e32 vcc_lo, 0x7c, v32
                                        ; implicit-def: $vgpr32
	s_and_saveexec_b32 s11, vcc_lo
	s_xor_b32 s11, exec_lo, s11
	s_cbranch_execz .LBB2_5806
; %bb.5803:                             ;   in Loop: Header=BB2_5290 Depth=2
	v_and_b32_e32 v32, 0xff, v102
	s_mov_b32 s28, exec_lo
	s_delay_alu instid0(VALU_DEP_1) | instskip(NEXT) | instid1(VALU_DEP_1)
	v_bfe_u32 v32, v32, 2, 5
	v_cmpx_eq_u32_e32 0, v32
	s_cbranch_execz .LBB2_5805
; %bb.5804:                             ;   in Loop: Header=BB2_5290 Depth=2
	v_clz_i32_u32_e32 v32, v69
	s_delay_alu instid0(VALU_DEP_1) | instskip(SKIP_1) | instid1(VALU_DEP_2)
	v_min_u32_e32 v32, 32, v32
	v_mov_b32_e32 v103, v33
	v_subrev_nc_u32_e32 v69, 29, v32
	v_sub_nc_u32_e32 v32, 30, v32
	s_delay_alu instid0(VALU_DEP_2) | instskip(NEXT) | instid1(VALU_DEP_1)
	v_lshlrev_b64_e32 v[80:81], v69, v[102:103]
	v_and_b32_e32 v69, 3, v80
.LBB2_5805:                             ;   in Loop: Header=BB2_5290 Depth=2
	s_or_b32 exec_lo, exec_lo, s28
	v_bfe_i32 v71, v102, 0, 16
                                        ; implicit-def: $vgpr102
	s_delay_alu instid0(VALU_DEP_1) | instskip(NEXT) | instid1(VALU_DEP_1)
	v_and_b32_e32 v71, 0x80000000, v71
	v_lshl_add_u32 v32, v32, 23, v71
	s_delay_alu instid0(VALU_DEP_1) | instskip(NEXT) | instid1(VALU_DEP_1)
	v_lshl_or_b32 v32, v69, 21, v32
                                        ; implicit-def: $vgpr69
	v_add_nc_u32_e32 v32, 0x38000000, v32
.LBB2_5806:                             ;   in Loop: Header=BB2_5290 Depth=2
	s_and_not1_saveexec_b32 s11, s11
; %bb.5807:                             ;   in Loop: Header=BB2_5290 Depth=2
	v_cmp_lt_i16_e32 vcc_lo, -1, v102
	v_cndmask_b32_e32 v32, 0xff800000, v45, vcc_lo
	v_cmp_eq_u32_e32 vcc_lo, 0, v69
	s_delay_alu instid0(VALU_DEP_2)
	v_cndmask_b32_e32 v32, 0x7f800001, v32, vcc_lo
; %bb.5808:                             ;   in Loop: Header=BB2_5290 Depth=2
	s_or_b32 exec_lo, exec_lo, s11
.LBB2_5809:                             ;   in Loop: Header=BB2_5290 Depth=2
	s_delay_alu instid0(SALU_CYCLE_1)
	s_or_b32 exec_lo, exec_lo, s10
.LBB2_5810:                             ;   in Loop: Header=BB2_5290 Depth=2
	s_delay_alu instid0(SALU_CYCLE_1) | instskip(NEXT) | instid1(VALU_DEP_1)
	s_or_b32 exec_lo, exec_lo, s7
	v_dual_add_f32 v69, v67, v32 :: v_dual_mov_b32 v81, v33
                                        ; implicit-def: $vgpr82
	s_mov_b32 s7, exec_lo
	s_delay_alu instid0(VALU_DEP_1) | instskip(SKIP_1) | instid1(VALU_DEP_2)
	v_and_b32_e32 v80, 0x7f800000, v69
	v_and_b32_e32 v32, 0x7fffff, v69
	v_cmpx_ne_u64_e32 0x7f800000, v[80:81]
	s_xor_b32 s10, exec_lo, s7
	s_cbranch_execz .LBB2_5828
; %bb.5811:                             ;   in Loop: Header=BB2_5290 Depth=2
	v_dual_mov_b32 v81, v33 :: v_dual_lshrrev_b32 v67, 24, v69
	v_and_b32_e32 v80, 0x7fffffff, v69
                                        ; implicit-def: $vgpr82
	s_mov_b32 s7, exec_lo
	s_delay_alu instid0(VALU_DEP_2) | instskip(NEXT) | instid1(VALU_DEP_2)
	v_and_b32_e32 v67, 0x80, v67
	v_cmpx_gt_u64_e32 0x47600001, v[80:81]
	s_xor_b32 s11, exec_lo, s7
	s_cbranch_execz .LBB2_5825
; %bb.5812:                             ;   in Loop: Header=BB2_5290 Depth=2
	v_mov_b32_e32 v82, 0
	s_mov_b32 s28, exec_lo
	v_cmpx_ne_u32_e32 0, v69
	s_cbranch_execz .LBB2_5824
; %bb.5813:                             ;   in Loop: Header=BB2_5290 Depth=2
	v_bfe_u32 v69, v69, 23, 8
	v_or_b32_e32 v82, 0x800000, v32
	s_delay_alu instid0(VALU_DEP_2) | instskip(SKIP_1) | instid1(VALU_DEP_2)
	v_sub_nc_u32_e32 v71, 0x71, v69
	v_cmp_gt_u32_e32 vcc_lo, 0x72, v69
	v_cndmask_b32_e32 v71, 0, v71, vcc_lo
	v_cmp_eq_u32_e32 vcc_lo, 0, v69
	s_delay_alu instid0(VALU_DEP_2) | instskip(NEXT) | instid1(VALU_DEP_1)
	v_cndmask_b32_e64 v71, v71, 0x70, vcc_lo
	v_dual_cndmask_b32 v32, v82, v32, vcc_lo :: v_dual_add_nc_u32 v80, 21, v71
	v_add_nc_u32_e32 v83, 20, v71
	s_delay_alu instid0(VALU_DEP_2) | instskip(NEXT) | instid1(VALU_DEP_2)
	v_lshlrev_b64_e64 v[80:81], v80, -1
	v_lshlrev_b64_e64 v[82:83], v83, 1
	s_delay_alu instid0(VALU_DEP_2) | instskip(NEXT) | instid1(VALU_DEP_3)
	v_bfi_b32 v103, v81, 0, 0
	v_bfi_b32 v102, v80, 0, v32
	v_lshrrev_b64 v[80:81], v71, v[32:33]
	s_delay_alu instid0(VALU_DEP_2) | instskip(NEXT) | instid1(VALU_DEP_2)
	v_cmp_eq_u64_e64 s7, v[102:103], v[82:83]
	v_mov_b64_e32 v[82:83], v[80:81]
	s_and_saveexec_b32 s29, s7
; %bb.5814:                             ;   in Loop: Header=BB2_5290 Depth=2
	v_bfe_u32 v32, v80, 21, 1
	s_delay_alu instid0(VALU_DEP_1) | instskip(NEXT) | instid1(VALU_DEP_1)
	v_add_nc_u64_e32 v[82:83], v[80:81], v[32:33]
	v_add_nc_u64_e32 v[82:83], -1, v[82:83]
; %bb.5815:                             ;   in Loop: Header=BB2_5290 Depth=2
	s_or_b32 exec_lo, exec_lo, s29
	v_add_nc_u32_e32 v32, 0xffffff81, v69
	v_lshrrev_b32_e32 v69, 23, v80
	s_mov_b32 s7, exec_lo
	s_delay_alu instid0(VALU_DEP_2) | instskip(NEXT) | instid1(VALU_DEP_1)
	v_cndmask_b32_e64 v32, v32, 0xffffff82, vcc_lo
	v_add3_u32 v71, v71, v32, v69
	v_and_b32_e32 v32, 0x1fffff, v82
                                        ; implicit-def: $vgpr69
	s_delay_alu instid0(VALU_DEP_1) | instskip(NEXT) | instid1(VALU_DEP_1)
	v_dual_add_nc_u32 v82, 14, v71 :: v_dual_add_nc_u32 v32, v32, v80
                                        ; implicit-def: $vgpr80_vgpr81
	v_cmpx_ne_u32_e32 0, v82
	s_xor_b32 s7, exec_lo, s7
; %bb.5816:                             ;   in Loop: Header=BB2_5290 Depth=2
	s_delay_alu instid0(VALU_DEP_2) | instskip(SKIP_2) | instid1(VALU_DEP_2)
	v_cmp_lt_u64_e32 vcc_lo, 0xffffff, v[32:33]
	v_add_nc_u32_e32 v69, 15, v71
	v_cndmask_b32_e64 v71, 0, 1, vcc_lo
	v_cndmask_b32_e32 v69, v82, v69, vcc_lo
	s_delay_alu instid0(VALU_DEP_2)
	v_lshrrev_b64 v[80:81], v71, v[32:33]
; %bb.5817:                             ;   in Loop: Header=BB2_5290 Depth=2
	s_and_not1_saveexec_b32 s7, s7
; %bb.5818:                             ;   in Loop: Header=BB2_5290 Depth=2
	v_mov_b64_e32 v[80:81], v[32:33]
	v_bfe_u32 v69, v32, 23, 1
; %bb.5819:                             ;   in Loop: Header=BB2_5290 Depth=2
	s_or_b32 exec_lo, exec_lo, s7
	s_delay_alu instid0(VALU_DEP_2) | instskip(NEXT) | instid1(VALU_DEP_2)
	v_lshrrev_b64 v[80:81], 21, v[80:81]
	v_cmp_gt_i32_e32 vcc_lo, 32, v69
	v_cmp_ne_u32_e64 s7, 0, v69
                                        ; implicit-def: $vgpr82
	s_delay_alu instid0(VALU_DEP_3) | instskip(NEXT) | instid1(VALU_DEP_1)
	v_dual_cndmask_b32 v81, 0, v81 :: v_dual_cndmask_b32 v80, 3, v80
	v_cmp_ne_u64_e32 vcc_lo, 0, v[80:81]
	s_or_b32 s7, s7, vcc_lo
	s_delay_alu instid0(SALU_CYCLE_1) | instskip(NEXT) | instid1(SALU_CYCLE_1)
	s_and_saveexec_b32 s29, s7
	s_xor_b32 s7, exec_lo, s29
; %bb.5820:                             ;   in Loop: Header=BB2_5290 Depth=2
	v_min_i32_e32 v32, 31, v69
	s_delay_alu instid0(VALU_DEP_1) | instskip(NEXT) | instid1(VALU_DEP_1)
	v_lshl_or_b32 v32, v32, 2, v67
                                        ; implicit-def: $vgpr67
	v_and_or_b32 v82, v80, 3, v32
; %bb.5821:                             ;   in Loop: Header=BB2_5290 Depth=2
	s_and_not1_saveexec_b32 s7, s7
; %bb.5822:                             ;   in Loop: Header=BB2_5290 Depth=2
	v_mov_b32_e32 v82, v67
; %bb.5823:                             ;   in Loop: Header=BB2_5290 Depth=2
	s_or_b32 exec_lo, exec_lo, s7
.LBB2_5824:                             ;   in Loop: Header=BB2_5290 Depth=2
	s_delay_alu instid0(SALU_CYCLE_1)
	s_or_b32 exec_lo, exec_lo, s28
                                        ; implicit-def: $vgpr67
.LBB2_5825:                             ;   in Loop: Header=BB2_5290 Depth=2
	s_and_not1_saveexec_b32 s7, s11
; %bb.5826:                             ;   in Loop: Header=BB2_5290 Depth=2
	v_or_b32_e32 v82, 0x7b, v67
; %bb.5827:                             ;   in Loop: Header=BB2_5290 Depth=2
	s_or_b32 exec_lo, exec_lo, s7
                                        ; implicit-def: $vgpr69
.LBB2_5828:                             ;   in Loop: Header=BB2_5290 Depth=2
	s_and_not1_saveexec_b32 s7, s10
	s_cbranch_execz .LBB2_5834
; %bb.5829:                             ;   in Loop: Header=BB2_5290 Depth=2
	s_mov_b32 s10, exec_lo
                                        ; implicit-def: $vgpr82
	v_cmpx_ne_u64_e32 0, v[32:33]
	s_xor_b32 s10, exec_lo, s10
; %bb.5830:                             ;   in Loop: Header=BB2_5290 Depth=2
	v_lshrrev_b32_e32 v32, 24, v69
                                        ; implicit-def: $vgpr69
	s_delay_alu instid0(VALU_DEP_1)
	v_or_b32_e32 v82, 0x7f, v32
; %bb.5831:                             ;   in Loop: Header=BB2_5290 Depth=2
	s_and_not1_saveexec_b32 s10, s10
; %bb.5832:                             ;   in Loop: Header=BB2_5290 Depth=2
	v_cmp_lt_i32_e32 vcc_lo, -1, v69
	v_cndmask_b32_e64 v82, -4, 0x7c, vcc_lo
; %bb.5833:                             ;   in Loop: Header=BB2_5290 Depth=2
	s_or_b32 exec_lo, exec_lo, s10
.LBB2_5834:                             ;   in Loop: Header=BB2_5290 Depth=2
	s_delay_alu instid0(SALU_CYCLE_1) | instskip(SKIP_3) | instid1(VALU_DEP_2)
	s_or_b32 exec_lo, exec_lo, s7
	v_and_b32_e32 v71, 0xff, v70
	v_dual_mov_b32 v32, 0 :: v_dual_mov_b32 v67, 0
	s_mov_b32 s7, exec_lo
	v_cmpx_ne_u16_e32 0, v71
	s_cbranch_execz .LBB2_5844
; %bb.5835:                             ;   in Loop: Header=BB2_5290 Depth=2
	v_bfrev_b32_e32 v67, 1
	s_mov_b32 s10, exec_lo
	v_cmpx_ne_u16_e32 0x80, v71
	s_cbranch_execz .LBB2_5843
; %bb.5836:                             ;   in Loop: Header=BB2_5290 Depth=2
	v_and_b32_e32 v67, 0x7c, v70
	v_and_b32_e32 v69, 3, v70
	s_delay_alu instid0(VALU_DEP_2) | instskip(SKIP_1) | instid1(SALU_CYCLE_1)
	v_cmp_ne_u32_e32 vcc_lo, 0x7c, v67
                                        ; implicit-def: $vgpr67
	s_and_saveexec_b32 s11, vcc_lo
	s_xor_b32 s11, exec_lo, s11
	s_cbranch_execz .LBB2_5840
; %bb.5837:                             ;   in Loop: Header=BB2_5290 Depth=2
	v_bfe_u32 v67, v71, 2, 5
	s_mov_b32 s28, exec_lo
	s_delay_alu instid0(VALU_DEP_1)
	v_cmpx_eq_u32_e32 0, v67
	s_cbranch_execz .LBB2_5839
; %bb.5838:                             ;   in Loop: Header=BB2_5290 Depth=2
	v_clz_i32_u32_e32 v67, v69
	s_delay_alu instid0(VALU_DEP_1) | instskip(SKIP_1) | instid1(VALU_DEP_2)
	v_min_u32_e32 v67, 32, v67
	v_mov_b32_e32 v71, v33
	v_subrev_nc_u32_e32 v69, 29, v67
	v_sub_nc_u32_e32 v67, 30, v67
	s_delay_alu instid0(VALU_DEP_2) | instskip(NEXT) | instid1(VALU_DEP_1)
	v_lshlrev_b64_e32 v[80:81], v69, v[70:71]
	v_and_b32_e32 v69, 3, v80
.LBB2_5839:                             ;   in Loop: Header=BB2_5290 Depth=2
	s_or_b32 exec_lo, exec_lo, s28
	v_lshlrev_b32_e32 v70, 24, v70
	s_delay_alu instid0(VALU_DEP_1) | instskip(NEXT) | instid1(VALU_DEP_1)
	v_and_b32_e32 v70, 0x80000000, v70
	v_lshl_add_u32 v67, v67, 23, v70
                                        ; implicit-def: $vgpr70
	s_delay_alu instid0(VALU_DEP_1) | instskip(NEXT) | instid1(VALU_DEP_1)
	v_lshl_or_b32 v67, v69, 21, v67
                                        ; implicit-def: $vgpr69
	v_add_nc_u32_e32 v67, 0x38000000, v67
.LBB2_5840:                             ;   in Loop: Header=BB2_5290 Depth=2
	s_and_not1_saveexec_b32 s11, s11
; %bb.5841:                             ;   in Loop: Header=BB2_5290 Depth=2
	v_bfe_i32 v67, v70, 0, 8
	s_delay_alu instid0(VALU_DEP_1) | instskip(SKIP_2) | instid1(VALU_DEP_2)
	v_cmp_lt_i16_e32 vcc_lo, -1, v67
	v_cndmask_b32_e32 v67, 0xff800000, v45, vcc_lo
	v_cmp_eq_u32_e32 vcc_lo, 0, v69
	v_cndmask_b32_e32 v67, 0x7f800001, v67, vcc_lo
; %bb.5842:                             ;   in Loop: Header=BB2_5290 Depth=2
	s_or_b32 exec_lo, exec_lo, s11
.LBB2_5843:                             ;   in Loop: Header=BB2_5290 Depth=2
	s_delay_alu instid0(SALU_CYCLE_1)
	s_or_b32 exec_lo, exec_lo, s10
.LBB2_5844:                             ;   in Loop: Header=BB2_5290 Depth=2
	s_delay_alu instid0(SALU_CYCLE_1) | instskip(NEXT) | instid1(SALU_CYCLE_1)
	s_or_b32 exec_lo, exec_lo, s7
	s_mov_b32 s7, exec_lo
	s_wait_loadcnt_dscnt 0x101
	v_cmpx_ne_u16_e32 0, v86
	s_cbranch_execz .LBB2_5854
; %bb.5845:                             ;   in Loop: Header=BB2_5290 Depth=2
	v_bfrev_b32_e32 v32, 1
	s_mov_b32 s10, exec_lo
	v_cmpx_ne_u16_e32 0xff80, v86
	s_cbranch_execz .LBB2_5853
; %bb.5846:                             ;   in Loop: Header=BB2_5290 Depth=2
	v_and_b32_e32 v32, 0x7c, v86
	v_and_b32_e32 v69, 3, v86
	s_delay_alu instid0(VALU_DEP_2) | instskip(SKIP_1) | instid1(SALU_CYCLE_1)
	v_cmp_ne_u32_e32 vcc_lo, 0x7c, v32
                                        ; implicit-def: $vgpr32
	s_and_saveexec_b32 s11, vcc_lo
	s_xor_b32 s11, exec_lo, s11
	s_cbranch_execz .LBB2_5850
; %bb.5847:                             ;   in Loop: Header=BB2_5290 Depth=2
	v_and_b32_e32 v32, 0xff, v86
	s_mov_b32 s28, exec_lo
	s_delay_alu instid0(VALU_DEP_1) | instskip(NEXT) | instid1(VALU_DEP_1)
	v_bfe_u32 v32, v32, 2, 5
	v_cmpx_eq_u32_e32 0, v32
	s_cbranch_execz .LBB2_5849
; %bb.5848:                             ;   in Loop: Header=BB2_5290 Depth=2
	v_clz_i32_u32_e32 v32, v69
	s_delay_alu instid0(VALU_DEP_1) | instskip(SKIP_1) | instid1(VALU_DEP_2)
	v_min_u32_e32 v32, 32, v32
	v_mov_b32_e32 v87, v33
	v_subrev_nc_u32_e32 v69, 29, v32
	v_sub_nc_u32_e32 v32, 30, v32
	s_delay_alu instid0(VALU_DEP_2) | instskip(NEXT) | instid1(VALU_DEP_1)
	v_lshlrev_b64_e32 v[70:71], v69, v[86:87]
	v_and_b32_e32 v69, 3, v70
.LBB2_5849:                             ;   in Loop: Header=BB2_5290 Depth=2
	s_or_b32 exec_lo, exec_lo, s28
	v_bfe_i32 v70, v86, 0, 16
                                        ; implicit-def: $vgpr86
	s_delay_alu instid0(VALU_DEP_1) | instskip(NEXT) | instid1(VALU_DEP_1)
	v_and_b32_e32 v70, 0x80000000, v70
	v_lshl_add_u32 v32, v32, 23, v70
	s_delay_alu instid0(VALU_DEP_1) | instskip(NEXT) | instid1(VALU_DEP_1)
	v_lshl_or_b32 v32, v69, 21, v32
                                        ; implicit-def: $vgpr69
	v_add_nc_u32_e32 v32, 0x38000000, v32
.LBB2_5850:                             ;   in Loop: Header=BB2_5290 Depth=2
	s_and_not1_saveexec_b32 s11, s11
; %bb.5851:                             ;   in Loop: Header=BB2_5290 Depth=2
	v_cmp_lt_i16_e32 vcc_lo, -1, v86
	v_cndmask_b32_e32 v32, 0xff800000, v45, vcc_lo
	v_cmp_eq_u32_e32 vcc_lo, 0, v69
	s_delay_alu instid0(VALU_DEP_2)
	v_cndmask_b32_e32 v32, 0x7f800001, v32, vcc_lo
; %bb.5852:                             ;   in Loop: Header=BB2_5290 Depth=2
	s_or_b32 exec_lo, exec_lo, s11
.LBB2_5853:                             ;   in Loop: Header=BB2_5290 Depth=2
	s_delay_alu instid0(SALU_CYCLE_1)
	s_or_b32 exec_lo, exec_lo, s10
.LBB2_5854:                             ;   in Loop: Header=BB2_5290 Depth=2
	s_delay_alu instid0(SALU_CYCLE_1) | instskip(NEXT) | instid1(VALU_DEP_1)
	s_or_b32 exec_lo, exec_lo, s7
	v_dual_add_f32 v69, v67, v32 :: v_dual_mov_b32 v71, v33
	s_delay_alu instid0(VALU_DEP_1) | instskip(SKIP_1) | instid1(VALU_DEP_2)
	v_and_b32_e32 v70, 0x7f800000, v69
	v_and_b32_e32 v32, 0x7fffff, v69
	v_cmp_ne_u64_e32 vcc_lo, 0x7f800000, v[70:71]
                                        ; implicit-def: $vgpr71
	s_and_saveexec_b32 s7, vcc_lo
	s_delay_alu instid0(SALU_CYCLE_1)
	s_xor_b32 s10, exec_lo, s7
	s_cbranch_execz .LBB2_5872
; %bb.5855:                             ;   in Loop: Header=BB2_5290 Depth=2
	v_and_b32_e32 v70, 0x7fffffff, v69
	v_dual_mov_b32 v71, v33 :: v_dual_lshrrev_b32 v67, 24, v69
	s_delay_alu instid0(VALU_DEP_1) | instskip(NEXT) | instid1(VALU_DEP_2)
	v_cmp_gt_u64_e32 vcc_lo, 0x47600001, v[70:71]
	v_and_b32_e32 v67, 0x80, v67
                                        ; implicit-def: $vgpr71
	s_and_saveexec_b32 s7, vcc_lo
	s_delay_alu instid0(SALU_CYCLE_1)
	s_xor_b32 s11, exec_lo, s7
	s_cbranch_execz .LBB2_5869
; %bb.5856:                             ;   in Loop: Header=BB2_5290 Depth=2
	v_mov_b32_e32 v71, 0
	s_mov_b32 s28, exec_lo
	v_cmpx_ne_u32_e32 0, v69
	s_cbranch_execz .LBB2_5868
; %bb.5857:                             ;   in Loop: Header=BB2_5290 Depth=2
	v_bfe_u32 v69, v69, 23, 8
	v_or_b32_e32 v80, 0x800000, v32
	s_delay_alu instid0(VALU_DEP_2) | instskip(SKIP_1) | instid1(VALU_DEP_2)
	v_sub_nc_u32_e32 v70, 0x71, v69
	v_cmp_gt_u32_e32 vcc_lo, 0x72, v69
	v_cndmask_b32_e32 v70, 0, v70, vcc_lo
	v_cmp_eq_u32_e32 vcc_lo, 0, v69
	s_delay_alu instid0(VALU_DEP_2) | instskip(NEXT) | instid1(VALU_DEP_1)
	v_cndmask_b32_e64 v83, v70, 0x70, vcc_lo
	v_dual_cndmask_b32 v32, v80, v32, vcc_lo :: v_dual_add_nc_u32 v70, 21, v83
	v_add_nc_u32_e32 v81, 20, v83
	s_delay_alu instid0(VALU_DEP_2) | instskip(NEXT) | instid1(VALU_DEP_2)
	v_lshlrev_b64_e64 v[70:71], v70, -1
	v_lshlrev_b64_e64 v[80:81], v81, 1
	s_delay_alu instid0(VALU_DEP_2) | instskip(NEXT) | instid1(VALU_DEP_3)
	v_bfi_b32 v87, v71, 0, 0
	v_bfi_b32 v86, v70, 0, v32
	v_lshrrev_b64 v[70:71], v83, v[32:33]
	s_delay_alu instid0(VALU_DEP_2) | instskip(NEXT) | instid1(VALU_DEP_2)
	v_cmp_eq_u64_e64 s7, v[86:87], v[80:81]
	v_mov_b64_e32 v[80:81], v[70:71]
	s_and_saveexec_b32 s29, s7
; %bb.5858:                             ;   in Loop: Header=BB2_5290 Depth=2
	v_bfe_u32 v32, v70, 21, 1
	s_delay_alu instid0(VALU_DEP_1) | instskip(NEXT) | instid1(VALU_DEP_1)
	v_add_nc_u64_e32 v[80:81], v[70:71], v[32:33]
	v_add_nc_u64_e32 v[80:81], -1, v[80:81]
; %bb.5859:                             ;   in Loop: Header=BB2_5290 Depth=2
	s_or_b32 exec_lo, exec_lo, s29
	v_add_nc_u32_e32 v32, 0xffffff81, v69
	v_lshrrev_b32_e32 v69, 23, v70
	s_mov_b32 s7, exec_lo
	s_delay_alu instid0(VALU_DEP_2) | instskip(NEXT) | instid1(VALU_DEP_1)
	v_cndmask_b32_e64 v32, v32, 0xffffff82, vcc_lo
	v_add3_u32 v81, v83, v32, v69
	v_and_b32_e32 v32, 0x1fffff, v80
                                        ; implicit-def: $vgpr69
	s_delay_alu instid0(VALU_DEP_1) | instskip(NEXT) | instid1(VALU_DEP_1)
	v_dual_add_nc_u32 v80, 14, v81 :: v_dual_add_nc_u32 v32, v32, v70
                                        ; implicit-def: $vgpr70_vgpr71
	v_cmpx_ne_u32_e32 0, v80
	s_xor_b32 s7, exec_lo, s7
; %bb.5860:                             ;   in Loop: Header=BB2_5290 Depth=2
	s_delay_alu instid0(VALU_DEP_2) | instskip(SKIP_2) | instid1(VALU_DEP_2)
	v_cmp_lt_u64_e32 vcc_lo, 0xffffff, v[32:33]
	v_add_nc_u32_e32 v69, 15, v81
	v_cndmask_b32_e64 v70, 0, 1, vcc_lo
	v_cndmask_b32_e32 v69, v80, v69, vcc_lo
	s_delay_alu instid0(VALU_DEP_2)
	v_lshrrev_b64 v[70:71], v70, v[32:33]
; %bb.5861:                             ;   in Loop: Header=BB2_5290 Depth=2
	s_and_not1_saveexec_b32 s7, s7
; %bb.5862:                             ;   in Loop: Header=BB2_5290 Depth=2
	v_mov_b64_e32 v[70:71], v[32:33]
	v_bfe_u32 v69, v32, 23, 1
; %bb.5863:                             ;   in Loop: Header=BB2_5290 Depth=2
	s_or_b32 exec_lo, exec_lo, s7
	s_delay_alu instid0(VALU_DEP_2) | instskip(NEXT) | instid1(VALU_DEP_2)
	v_lshrrev_b64 v[70:71], 21, v[70:71]
	v_cmp_gt_i32_e32 vcc_lo, 32, v69
	v_cmp_ne_u32_e64 s7, 0, v69
	s_delay_alu instid0(VALU_DEP_3) | instskip(NEXT) | instid1(VALU_DEP_1)
	v_dual_cndmask_b32 v71, 0, v71 :: v_dual_cndmask_b32 v70, 3, v70
	v_cmp_ne_u64_e32 vcc_lo, 0, v[70:71]
                                        ; implicit-def: $vgpr71
	s_or_b32 s7, s7, vcc_lo
	s_delay_alu instid0(SALU_CYCLE_1) | instskip(NEXT) | instid1(SALU_CYCLE_1)
	s_and_saveexec_b32 s29, s7
	s_xor_b32 s7, exec_lo, s29
; %bb.5864:                             ;   in Loop: Header=BB2_5290 Depth=2
	v_min_i32_e32 v32, 31, v69
	s_delay_alu instid0(VALU_DEP_1) | instskip(NEXT) | instid1(VALU_DEP_1)
	v_lshl_or_b32 v32, v32, 2, v67
                                        ; implicit-def: $vgpr67
	v_and_or_b32 v71, v70, 3, v32
; %bb.5865:                             ;   in Loop: Header=BB2_5290 Depth=2
	s_and_not1_saveexec_b32 s7, s7
; %bb.5866:                             ;   in Loop: Header=BB2_5290 Depth=2
	v_mov_b32_e32 v71, v67
; %bb.5867:                             ;   in Loop: Header=BB2_5290 Depth=2
	s_or_b32 exec_lo, exec_lo, s7
.LBB2_5868:                             ;   in Loop: Header=BB2_5290 Depth=2
	s_delay_alu instid0(SALU_CYCLE_1)
	s_or_b32 exec_lo, exec_lo, s28
                                        ; implicit-def: $vgpr67
.LBB2_5869:                             ;   in Loop: Header=BB2_5290 Depth=2
	s_and_not1_saveexec_b32 s7, s11
; %bb.5870:                             ;   in Loop: Header=BB2_5290 Depth=2
	v_or_b32_e32 v71, 0x7b, v67
; %bb.5871:                             ;   in Loop: Header=BB2_5290 Depth=2
	s_or_b32 exec_lo, exec_lo, s7
                                        ; implicit-def: $vgpr69
.LBB2_5872:                             ;   in Loop: Header=BB2_5290 Depth=2
	s_and_not1_saveexec_b32 s7, s10
	s_cbranch_execz .LBB2_5878
; %bb.5873:                             ;   in Loop: Header=BB2_5290 Depth=2
	s_mov_b32 s10, exec_lo
                                        ; implicit-def: $vgpr71
	v_cmpx_ne_u64_e32 0, v[32:33]
	s_xor_b32 s10, exec_lo, s10
; %bb.5874:                             ;   in Loop: Header=BB2_5290 Depth=2
	v_lshrrev_b32_e32 v32, 24, v69
                                        ; implicit-def: $vgpr69
	s_delay_alu instid0(VALU_DEP_1)
	v_or_b32_e32 v71, 0x7f, v32
; %bb.5875:                             ;   in Loop: Header=BB2_5290 Depth=2
	s_and_not1_saveexec_b32 s10, s10
; %bb.5876:                             ;   in Loop: Header=BB2_5290 Depth=2
	v_cmp_lt_i32_e32 vcc_lo, -1, v69
	v_cndmask_b32_e64 v71, -4, 0x7c, vcc_lo
; %bb.5877:                             ;   in Loop: Header=BB2_5290 Depth=2
	s_or_b32 exec_lo, exec_lo, s10
.LBB2_5878:                             ;   in Loop: Header=BB2_5290 Depth=2
	s_delay_alu instid0(SALU_CYCLE_1) | instskip(SKIP_3) | instid1(VALU_DEP_2)
	s_or_b32 exec_lo, exec_lo, s7
	v_and_b32_e32 v70, 0xff, v66
	v_dual_mov_b32 v32, 0 :: v_dual_mov_b32 v67, 0
	s_mov_b32 s7, exec_lo
	v_cmpx_ne_u16_e32 0, v70
	s_cbranch_execz .LBB2_5888
; %bb.5879:                             ;   in Loop: Header=BB2_5290 Depth=2
	v_bfrev_b32_e32 v67, 1
	s_mov_b32 s10, exec_lo
	v_cmpx_ne_u16_e32 0x80, v70
	s_cbranch_execz .LBB2_5887
; %bb.5880:                             ;   in Loop: Header=BB2_5290 Depth=2
	v_and_b32_e32 v67, 0x7c, v66
	v_and_b32_e32 v69, 3, v66
	s_delay_alu instid0(VALU_DEP_2) | instskip(SKIP_1) | instid1(SALU_CYCLE_1)
	v_cmp_ne_u32_e32 vcc_lo, 0x7c, v67
                                        ; implicit-def: $vgpr67
	s_and_saveexec_b32 s11, vcc_lo
	s_xor_b32 s11, exec_lo, s11
	s_cbranch_execz .LBB2_5884
; %bb.5881:                             ;   in Loop: Header=BB2_5290 Depth=2
	v_bfe_u32 v67, v70, 2, 5
	s_mov_b32 s28, exec_lo
	s_delay_alu instid0(VALU_DEP_1)
	v_cmpx_eq_u32_e32 0, v67
; %bb.5882:                             ;   in Loop: Header=BB2_5290 Depth=2
	v_clz_i32_u32_e32 v67, v69
	s_delay_alu instid0(VALU_DEP_1) | instskip(SKIP_1) | instid1(VALU_DEP_2)
	v_min_u32_e32 v69, 32, v67
	v_mov_b32_e32 v67, v33
	v_subrev_nc_u32_e32 v70, 29, v69
	s_delay_alu instid0(VALU_DEP_1) | instskip(NEXT) | instid1(VALU_DEP_1)
	v_lshlrev_b64_e32 v[80:81], v70, v[66:67]
	v_dual_sub_nc_u32 v67, 30, v69 :: v_dual_bitop2_b32 v69, 3, v80 bitop3:0x40
; %bb.5883:                             ;   in Loop: Header=BB2_5290 Depth=2
	s_or_b32 exec_lo, exec_lo, s28
	v_lshlrev_b32_e32 v66, 24, v66
	s_delay_alu instid0(VALU_DEP_1) | instskip(NEXT) | instid1(VALU_DEP_1)
	v_and_b32_e32 v66, 0x80000000, v66
	v_lshl_add_u32 v66, v67, 23, v66
	s_delay_alu instid0(VALU_DEP_1) | instskip(NEXT) | instid1(VALU_DEP_1)
	v_lshl_or_b32 v66, v69, 21, v66
                                        ; implicit-def: $vgpr69
	v_add_nc_u32_e32 v67, 0x38000000, v66
                                        ; implicit-def: $vgpr66
.LBB2_5884:                             ;   in Loop: Header=BB2_5290 Depth=2
	s_and_not1_saveexec_b32 s11, s11
; %bb.5885:                             ;   in Loop: Header=BB2_5290 Depth=2
	v_bfe_i32 v66, v66, 0, 8
	s_delay_alu instid0(VALU_DEP_1) | instskip(SKIP_2) | instid1(VALU_DEP_2)
	v_cmp_lt_i16_e32 vcc_lo, -1, v66
	v_cndmask_b32_e32 v66, 0xff800000, v45, vcc_lo
	v_cmp_eq_u32_e32 vcc_lo, 0, v69
	v_cndmask_b32_e32 v67, 0x7f800001, v66, vcc_lo
; %bb.5886:                             ;   in Loop: Header=BB2_5290 Depth=2
	s_or_b32 exec_lo, exec_lo, s11
.LBB2_5887:                             ;   in Loop: Header=BB2_5290 Depth=2
	s_delay_alu instid0(SALU_CYCLE_1)
	s_or_b32 exec_lo, exec_lo, s10
.LBB2_5888:                             ;   in Loop: Header=BB2_5290 Depth=2
	s_delay_alu instid0(SALU_CYCLE_1) | instskip(NEXT) | instid1(SALU_CYCLE_1)
	s_or_b32 exec_lo, exec_lo, s7
	s_mov_b32 s7, exec_lo
	s_wait_loadcnt_dscnt 0x0
	v_cmpx_ne_u16_e32 0, v68
	s_cbranch_execz .LBB2_5898
; %bb.5889:                             ;   in Loop: Header=BB2_5290 Depth=2
	v_bfrev_b32_e32 v32, 1
	s_mov_b32 s10, exec_lo
	v_cmpx_ne_u16_e32 0xff80, v68
	s_cbranch_execz .LBB2_5897
; %bb.5890:                             ;   in Loop: Header=BB2_5290 Depth=2
	v_and_b32_e32 v32, 0x7c, v68
	v_and_b32_e32 v66, 3, v68
	s_delay_alu instid0(VALU_DEP_2) | instskip(SKIP_1) | instid1(SALU_CYCLE_1)
	v_cmp_ne_u32_e32 vcc_lo, 0x7c, v32
                                        ; implicit-def: $vgpr32
	s_and_saveexec_b32 s11, vcc_lo
	s_xor_b32 s11, exec_lo, s11
	s_cbranch_execz .LBB2_5894
; %bb.5891:                             ;   in Loop: Header=BB2_5290 Depth=2
	v_and_b32_e32 v32, 0xff, v68
	s_mov_b32 s28, exec_lo
	s_delay_alu instid0(VALU_DEP_1) | instskip(NEXT) | instid1(VALU_DEP_1)
	v_bfe_u32 v32, v32, 2, 5
	v_cmpx_eq_u32_e32 0, v32
	s_cbranch_execz .LBB2_5893
; %bb.5892:                             ;   in Loop: Header=BB2_5290 Depth=2
	v_clz_i32_u32_e32 v32, v66
	s_delay_alu instid0(VALU_DEP_1) | instskip(SKIP_1) | instid1(VALU_DEP_2)
	v_min_u32_e32 v32, 32, v32
	v_mov_b32_e32 v69, v33
	v_subrev_nc_u32_e32 v66, 29, v32
	v_sub_nc_u32_e32 v32, 30, v32
	s_delay_alu instid0(VALU_DEP_2) | instskip(NEXT) | instid1(VALU_DEP_1)
	v_lshlrev_b64_e32 v[80:81], v66, v[68:69]
	v_and_b32_e32 v66, 3, v80
.LBB2_5893:                             ;   in Loop: Header=BB2_5290 Depth=2
	s_or_b32 exec_lo, exec_lo, s28
	v_bfe_i32 v68, v68, 0, 16
	s_delay_alu instid0(VALU_DEP_1) | instskip(NEXT) | instid1(VALU_DEP_1)
	v_and_b32_e32 v68, 0x80000000, v68
	v_lshl_add_u32 v32, v32, 23, v68
                                        ; implicit-def: $vgpr68
	s_delay_alu instid0(VALU_DEP_1) | instskip(NEXT) | instid1(VALU_DEP_1)
	v_lshl_or_b32 v32, v66, 21, v32
                                        ; implicit-def: $vgpr66
	v_add_nc_u32_e32 v32, 0x38000000, v32
.LBB2_5894:                             ;   in Loop: Header=BB2_5290 Depth=2
	s_and_not1_saveexec_b32 s11, s11
; %bb.5895:                             ;   in Loop: Header=BB2_5290 Depth=2
	v_cmp_lt_i16_e32 vcc_lo, -1, v68
	v_cndmask_b32_e32 v32, 0xff800000, v45, vcc_lo
	v_cmp_eq_u32_e32 vcc_lo, 0, v66
	s_delay_alu instid0(VALU_DEP_2)
	v_cndmask_b32_e32 v32, 0x7f800001, v32, vcc_lo
; %bb.5896:                             ;   in Loop: Header=BB2_5290 Depth=2
	s_or_b32 exec_lo, exec_lo, s11
.LBB2_5897:                             ;   in Loop: Header=BB2_5290 Depth=2
	s_delay_alu instid0(SALU_CYCLE_1)
	s_or_b32 exec_lo, exec_lo, s10
.LBB2_5898:                             ;   in Loop: Header=BB2_5290 Depth=2
	s_delay_alu instid0(SALU_CYCLE_1) | instskip(NEXT) | instid1(VALU_DEP_1)
	s_or_b32 exec_lo, exec_lo, s7
	v_dual_add_f32 v66, v67, v32 :: v_dual_mov_b32 v69, v33
                                        ; implicit-def: $vgpr67
	s_mov_b32 s7, exec_lo
	s_delay_alu instid0(VALU_DEP_1) | instskip(SKIP_1) | instid1(VALU_DEP_2)
	v_and_b32_e32 v68, 0x7f800000, v66
	v_and_b32_e32 v32, 0x7fffff, v66
	v_cmpx_ne_u64_e32 0x7f800000, v[68:69]
	s_xor_b32 s10, exec_lo, s7
	s_cbranch_execz .LBB2_5916
; %bb.5899:                             ;   in Loop: Header=BB2_5290 Depth=2
	v_dual_mov_b32 v69, v33 :: v_dual_lshrrev_b32 v67, 24, v66
	v_and_b32_e32 v68, 0x7fffffff, v66
	s_mov_b32 s7, exec_lo
	s_delay_alu instid0(VALU_DEP_2) | instskip(NEXT) | instid1(VALU_DEP_2)
	v_and_b32_e32 v70, 0x80, v67
                                        ; implicit-def: $vgpr67
	v_cmpx_gt_u64_e32 0x47600001, v[68:69]
	s_xor_b32 s11, exec_lo, s7
	s_cbranch_execz .LBB2_5913
; %bb.5900:                             ;   in Loop: Header=BB2_5290 Depth=2
	v_mov_b32_e32 v67, 0
	s_mov_b32 s28, exec_lo
	v_cmpx_ne_u32_e32 0, v66
	s_cbranch_execz .LBB2_5912
; %bb.5901:                             ;   in Loop: Header=BB2_5290 Depth=2
	v_bfe_u32 v80, v66, 23, 8
	v_or_b32_e32 v68, 0x800000, v32
	s_delay_alu instid0(VALU_DEP_2) | instskip(SKIP_1) | instid1(VALU_DEP_2)
	v_sub_nc_u32_e32 v66, 0x71, v80
	v_cmp_gt_u32_e32 vcc_lo, 0x72, v80
	v_cndmask_b32_e32 v66, 0, v66, vcc_lo
	v_cmp_eq_u32_e32 vcc_lo, 0, v80
	s_delay_alu instid0(VALU_DEP_2) | instskip(NEXT) | instid1(VALU_DEP_1)
	v_cndmask_b32_e64 v81, v66, 0x70, vcc_lo
	v_dual_cndmask_b32 v32, v68, v32, vcc_lo :: v_dual_add_nc_u32 v66, 21, v81
	v_add_nc_u32_e32 v69, 20, v81
	s_delay_alu instid0(VALU_DEP_2) | instskip(NEXT) | instid1(VALU_DEP_2)
	v_lshlrev_b64_e64 v[66:67], v66, -1
	v_lshlrev_b64_e64 v[68:69], v69, 1
	s_delay_alu instid0(VALU_DEP_2) | instskip(NEXT) | instid1(VALU_DEP_3)
	v_bfi_b32 v87, v67, 0, 0
	v_bfi_b32 v86, v66, 0, v32
	v_lshrrev_b64 v[66:67], v81, v[32:33]
	s_delay_alu instid0(VALU_DEP_2) | instskip(NEXT) | instid1(VALU_DEP_2)
	v_cmp_eq_u64_e64 s7, v[86:87], v[68:69]
	v_mov_b64_e32 v[68:69], v[66:67]
	s_and_saveexec_b32 s29, s7
; %bb.5902:                             ;   in Loop: Header=BB2_5290 Depth=2
	v_bfe_u32 v32, v66, 21, 1
	s_delay_alu instid0(VALU_DEP_1) | instskip(NEXT) | instid1(VALU_DEP_1)
	v_add_nc_u64_e32 v[68:69], v[66:67], v[32:33]
	v_add_nc_u64_e32 v[68:69], -1, v[68:69]
; %bb.5903:                             ;   in Loop: Header=BB2_5290 Depth=2
	s_or_b32 exec_lo, exec_lo, s29
	v_add_nc_u32_e32 v32, 0xffffff81, v80
	v_lshrrev_b32_e32 v67, 23, v66
	s_mov_b32 s7, exec_lo
	s_delay_alu instid0(VALU_DEP_2) | instskip(NEXT) | instid1(VALU_DEP_1)
	v_cndmask_b32_e64 v32, v32, 0xffffff82, vcc_lo
	v_add3_u32 v69, v81, v32, v67
	v_and_b32_e32 v32, 0x1fffff, v68
                                        ; implicit-def: $vgpr68
	s_delay_alu instid0(VALU_DEP_1) | instskip(NEXT) | instid1(VALU_DEP_1)
	v_dual_add_nc_u32 v80, 14, v69 :: v_dual_add_nc_u32 v32, v32, v66
                                        ; implicit-def: $vgpr66_vgpr67
	v_cmpx_ne_u32_e32 0, v80
	s_xor_b32 s7, exec_lo, s7
; %bb.5904:                             ;   in Loop: Header=BB2_5290 Depth=2
	s_delay_alu instid0(VALU_DEP_2) | instskip(SKIP_1) | instid1(VALU_DEP_1)
	v_cmp_lt_u64_e32 vcc_lo, 0xffffff, v[32:33]
	v_add_nc_u32_e32 v66, 15, v69
	v_cndmask_b32_e32 v68, v80, v66, vcc_lo
	v_cndmask_b32_e64 v66, 0, 1, vcc_lo
	s_delay_alu instid0(VALU_DEP_1)
	v_lshrrev_b64 v[66:67], v66, v[32:33]
; %bb.5905:                             ;   in Loop: Header=BB2_5290 Depth=2
	s_and_not1_saveexec_b32 s7, s7
; %bb.5906:                             ;   in Loop: Header=BB2_5290 Depth=2
	v_mov_b64_e32 v[66:67], v[32:33]
	v_bfe_u32 v68, v32, 23, 1
; %bb.5907:                             ;   in Loop: Header=BB2_5290 Depth=2
	s_or_b32 exec_lo, exec_lo, s7
	s_delay_alu instid0(VALU_DEP_2) | instskip(NEXT) | instid1(VALU_DEP_2)
	v_lshrrev_b64 v[66:67], 21, v[66:67]
	v_cmp_gt_i32_e32 vcc_lo, 32, v68
	v_cmp_ne_u32_e64 s7, 0, v68
	s_delay_alu instid0(VALU_DEP_3) | instskip(NEXT) | instid1(VALU_DEP_1)
	v_dual_cndmask_b32 v67, 0, v67 :: v_dual_cndmask_b32 v66, 3, v66
	v_cmp_ne_u64_e32 vcc_lo, 0, v[66:67]
                                        ; implicit-def: $vgpr67
	s_or_b32 s7, s7, vcc_lo
	s_delay_alu instid0(SALU_CYCLE_1) | instskip(NEXT) | instid1(SALU_CYCLE_1)
	s_and_saveexec_b32 s29, s7
	s_xor_b32 s7, exec_lo, s29
; %bb.5908:                             ;   in Loop: Header=BB2_5290 Depth=2
	v_min_i32_e32 v32, 31, v68
	s_delay_alu instid0(VALU_DEP_1) | instskip(NEXT) | instid1(VALU_DEP_1)
	v_lshl_or_b32 v32, v32, 2, v70
                                        ; implicit-def: $vgpr70
	v_and_or_b32 v67, v66, 3, v32
; %bb.5909:                             ;   in Loop: Header=BB2_5290 Depth=2
	s_and_not1_saveexec_b32 s7, s7
; %bb.5910:                             ;   in Loop: Header=BB2_5290 Depth=2
	v_mov_b32_e32 v67, v70
; %bb.5911:                             ;   in Loop: Header=BB2_5290 Depth=2
	s_or_b32 exec_lo, exec_lo, s7
.LBB2_5912:                             ;   in Loop: Header=BB2_5290 Depth=2
	s_delay_alu instid0(SALU_CYCLE_1)
	s_or_b32 exec_lo, exec_lo, s28
                                        ; implicit-def: $vgpr70
.LBB2_5913:                             ;   in Loop: Header=BB2_5290 Depth=2
	s_and_not1_saveexec_b32 s7, s11
; %bb.5914:                             ;   in Loop: Header=BB2_5290 Depth=2
	v_or_b32_e32 v67, 0x7b, v70
; %bb.5915:                             ;   in Loop: Header=BB2_5290 Depth=2
	s_or_b32 exec_lo, exec_lo, s7
                                        ; implicit-def: $vgpr66
.LBB2_5916:                             ;   in Loop: Header=BB2_5290 Depth=2
	s_and_not1_saveexec_b32 s7, s10
	s_cbranch_execz .LBB2_5289
; %bb.5917:                             ;   in Loop: Header=BB2_5290 Depth=2
	s_mov_b32 s10, exec_lo
                                        ; implicit-def: $vgpr67
	v_cmpx_ne_u64_e32 0, v[32:33]
	s_xor_b32 s10, exec_lo, s10
; %bb.5918:                             ;   in Loop: Header=BB2_5290 Depth=2
	v_lshrrev_b32_e32 v32, 24, v66
                                        ; implicit-def: $vgpr66
	s_delay_alu instid0(VALU_DEP_1)
	v_or_b32_e32 v67, 0x7f, v32
; %bb.5919:                             ;   in Loop: Header=BB2_5290 Depth=2
	s_and_not1_saveexec_b32 s10, s10
	s_cbranch_execz .LBB2_5288
; %bb.5920:                             ;   in Loop: Header=BB2_5290 Depth=2
	v_cmp_lt_i32_e32 vcc_lo, -1, v66
	v_cndmask_b32_e64 v67, -4, 0x7c, vcc_lo
	s_branch .LBB2_5288
.LBB2_5921:                             ;   in Loop: Header=BB2_3075 Depth=1
	s_or_b32 exec_lo, exec_lo, s27
.LBB2_5922:                             ;   in Loop: Header=BB2_3075 Depth=1
	s_delay_alu instid0(SALU_CYCLE_1) | instskip(SKIP_1) | instid1(VALU_DEP_1)
	s_or_b32 exec_lo, exec_lo, s26
	v_and_b32_e32 v10, 0x3fffff00, v59
	v_cmp_ne_u32_e32 vcc_lo, v59, v10
	s_and_b32 exec_lo, exec_lo, vcc_lo
	s_cbranch_execz .LBB2_6012
; %bb.5923:                             ;   in Loop: Header=BB2_3075 Depth=1
	v_dual_lshlrev_b32 v11, 5, v60 :: v_dual_lshlrev_b32 v12, 5, v61
	s_delay_alu instid0(VALU_DEP_1) | instskip(NEXT) | instid1(VALU_DEP_1)
	v_sub_nc_u32_e32 v11, v30, v11
	v_sub_nc_u32_e32 v11, v11, v12
	v_and_b32_e32 v12, 0xff, v59
	s_delay_alu instid0(VALU_DEP_1) | instskip(NEXT) | instid1(VALU_DEP_1)
	v_sub_nc_u32_e32 v30, v12, v11
	v_cmp_lt_i32_e32 vcc_lo, 0, v30
	s_and_b32 exec_lo, exec_lo, vcc_lo
	s_cbranch_execz .LBB2_6012
; %bb.5924:                             ;   in Loop: Header=BB2_3075 Depth=1
	s_trap 2
	ds_load_b128 v[64:67], v0
	ds_load_b64 v[68:69], v0
	v_add3_u32 v70, v10, v58, v11
	s_mov_b32 s26, 0
	s_delay_alu instid0(VALU_DEP_1) | instskip(SKIP_1) | instid1(VALU_DEP_1)
	v_ashrrev_i32_e32 v71, 31, v70
	s_wait_dscnt 0x1
	v_add_nc_u64_e32 v[10:11], v[64:65], v[70:71]
	v_add_nc_u64_e32 v[12:13], v[66:67], v[70:71]
	s_wait_dscnt 0x0
	v_add_nc_u64_e32 v[64:65], v[68:69], v[70:71]
	s_branch .LBB2_5927
.LBB2_5925:                             ;   in Loop: Header=BB2_5927 Depth=2
	s_or_b32 exec_lo, exec_lo, s10
.LBB2_5926:                             ;   in Loop: Header=BB2_5927 Depth=2
	s_delay_alu instid0(SALU_CYCLE_1)
	s_or_b32 exec_lo, exec_lo, s7
	v_sub_nc_u32_e32 v30, v30, v50
	flat_store_b8 v[64:65], v67 th:TH_STORE_NT
	v_add_nc_u64_e32 v[10:11], v[10:11], v[50:51]
	v_add_nc_u64_e32 v[12:13], v[12:13], v[50:51]
	s_wait_xcnt 0x0
	v_add_nc_u64_e32 v[64:65], v[64:65], v[50:51]
	v_cmp_gt_i32_e32 vcc_lo, 1, v30
	s_or_b32 s26, vcc_lo, s26
	s_delay_alu instid0(SALU_CYCLE_1)
	s_and_not1_b32 exec_lo, exec_lo, s26
	s_cbranch_execz .LBB2_6012
.LBB2_5927:                             ;   Parent Loop BB2_3075 Depth=1
                                        ; =>  This Inner Loop Header: Depth=2
	s_trap 2
	ds_load_b64 v[66:67], v0
	s_mov_b32 s7, 0
	s_wait_dscnt 0x0
	v_and_b32_e32 v32, 0xff, v66
	v_readfirstlane_b32 s10, v66
	v_readfirstlane_b32 s11, v67
	s_delay_alu instid0(VALU_DEP_3)
	v_cmp_eq_u32_e32 vcc_lo, 0, v32
	s_cbranch_vccnz .LBB2_5935
; %bb.5928:                             ;   in Loop: Header=BB2_5927 Depth=2
	s_bfe_i32 s28, s10, 0x80000
	s_delay_alu instid0(SALU_CYCLE_1) | instskip(NEXT) | instid1(SALU_CYCLE_1)
	s_and_b32 s7, 0xffff, s28
	s_cmp_eq_u32 s7, 0xff80
	s_brev_b32 s7, 1
	s_cbranch_scc1 .LBB2_5935
; %bb.5929:                             ;   in Loop: Header=BB2_5927 Depth=2
	s_and_b32 s7, s10, 0x7c
	s_and_b32 s27, s10, 3
	s_mov_b32 s29, -1
	s_cmp_lg_u32 s7, 0x7c
	s_sext_i32_i16 s28, s28
                                        ; implicit-def: $sgpr7
	s_cbranch_scc0 .LBB2_5933
; %bb.5930:                             ;   in Loop: Header=BB2_5927 Depth=2
	s_bfe_u32 s7, s10, 0x50002
	s_mov_b32 s29, s27
	s_cmp_lg_u32 s7, 0
	s_cbranch_scc1 .LBB2_5932
; %bb.5931:                             ;   in Loop: Header=BB2_5927 Depth=2
	s_clz_i32_u32 s7, s27
	s_delay_alu instid0(SALU_CYCLE_1) | instskip(NEXT) | instid1(SALU_CYCLE_1)
	s_min_u32 s7, s7, 32
	s_sub_co_i32 s29, s7, 29
	s_sub_co_i32 s7, 30, s7
	s_lshl_b64 s[10:11], s[10:11], s29
	s_delay_alu instid0(SALU_CYCLE_1)
	s_and_b32 s29, s10, 3
.LBB2_5932:                             ;   in Loop: Header=BB2_5927 Depth=2
	s_and_b32 s10, s28, 0x80000000
	s_lshl_b32 s7, s7, 23
	s_lshl_b32 s11, s29, 21
	s_add_co_i32 s7, s7, s10
	s_mov_b32 s29, 0
	s_or_b32 s7, s7, s11
	s_delay_alu instid0(SALU_CYCLE_1)
	s_add_co_i32 s7, s7, 0x38000000
.LBB2_5933:                             ;   in Loop: Header=BB2_5927 Depth=2
	s_and_b32 vcc_lo, exec_lo, s29
	s_cbranch_vccz .LBB2_5935
; %bb.5934:                             ;   in Loop: Header=BB2_5927 Depth=2
	s_cmp_gt_i32 s28, -1
	s_cselect_b32 s7, s22, 0xff800000
	s_cmp_eq_u32 s27, 0
	s_cselect_b32 s7, s7, 0x7f800001
.LBB2_5935:                             ;   in Loop: Header=BB2_5927 Depth=2
	flat_load_i8 v32, v[10:11] th:TH_LOAD_NT
	v_mov_b32_e32 v67, 0
	s_mov_b32 s10, exec_lo
	s_wait_loadcnt_dscnt 0x0
	v_cmpx_ne_u16_e32 0, v32
	s_cbranch_execz .LBB2_5945
; %bb.5936:                             ;   in Loop: Header=BB2_5927 Depth=2
	v_bfrev_b32_e32 v67, 1
	s_mov_b32 s11, exec_lo
	v_cmpx_ne_u16_e32 0xff80, v32
	s_cbranch_execz .LBB2_5944
; %bb.5937:                             ;   in Loop: Header=BB2_5927 Depth=2
	v_and_b32_e32 v67, 0x7c, v32
	v_and_b32_e32 v66, 3, v32
	s_delay_alu instid0(VALU_DEP_2) | instskip(SKIP_1) | instid1(SALU_CYCLE_1)
	v_cmp_ne_u32_e32 vcc_lo, 0x7c, v67
                                        ; implicit-def: $vgpr67
	s_and_saveexec_b32 s27, vcc_lo
	s_xor_b32 s27, exec_lo, s27
	s_cbranch_execz .LBB2_5941
; %bb.5938:                             ;   in Loop: Header=BB2_5927 Depth=2
	v_and_b32_e32 v67, 0xff, v32
	s_mov_b32 s28, exec_lo
	s_delay_alu instid0(VALU_DEP_1) | instskip(NEXT) | instid1(VALU_DEP_1)
	v_bfe_u32 v67, v67, 2, 5
	v_cmpx_eq_u32_e32 0, v67
; %bb.5939:                             ;   in Loop: Header=BB2_5927 Depth=2
	v_clz_i32_u32_e32 v66, v66
	s_delay_alu instid0(VALU_DEP_1) | instskip(NEXT) | instid1(VALU_DEP_1)
	v_min_u32_e32 v68, 32, v66
	v_subrev_nc_u32_e32 v66, 29, v68
	s_delay_alu instid0(VALU_DEP_1) | instskip(NEXT) | instid1(VALU_DEP_1)
	v_lshlrev_b64_e32 v[66:67], v66, v[32:33]
	v_dual_sub_nc_u32 v67, 30, v68 :: v_dual_bitop2_b32 v66, 3, v66 bitop3:0x40
; %bb.5940:                             ;   in Loop: Header=BB2_5927 Depth=2
	s_or_b32 exec_lo, exec_lo, s28
	v_bfe_i32 v32, v32, 0, 16
	s_delay_alu instid0(VALU_DEP_1) | instskip(NEXT) | instid1(VALU_DEP_1)
	v_and_b32_e32 v32, 0x80000000, v32
	v_lshl_add_u32 v32, v67, 23, v32
	s_delay_alu instid0(VALU_DEP_1) | instskip(NEXT) | instid1(VALU_DEP_1)
	v_lshl_or_b32 v32, v66, 21, v32
                                        ; implicit-def: $vgpr66
	v_add_nc_u32_e32 v67, 0x38000000, v32
.LBB2_5941:                             ;   in Loop: Header=BB2_5927 Depth=2
	s_and_not1_saveexec_b32 s27, s27
; %bb.5942:                             ;   in Loop: Header=BB2_5927 Depth=2
	v_cmp_lt_i16_e32 vcc_lo, -1, v32
	v_cndmask_b32_e32 v32, 0xff800000, v45, vcc_lo
	v_cmp_eq_u32_e32 vcc_lo, 0, v66
	s_delay_alu instid0(VALU_DEP_2)
	v_cndmask_b32_e32 v67, 0x7f800001, v32, vcc_lo
; %bb.5943:                             ;   in Loop: Header=BB2_5927 Depth=2
	s_or_b32 exec_lo, exec_lo, s27
.LBB2_5944:                             ;   in Loop: Header=BB2_5927 Depth=2
	s_delay_alu instid0(SALU_CYCLE_1)
	s_or_b32 exec_lo, exec_lo, s11
.LBB2_5945:                             ;   in Loop: Header=BB2_5927 Depth=2
	s_delay_alu instid0(SALU_CYCLE_1) | instskip(NEXT) | instid1(VALU_DEP_1)
	s_or_b32 exec_lo, exec_lo, s10
	v_dual_mul_f32 v67, s7, v67 :: v_dual_mov_b32 v69, v33
                                        ; implicit-def: $vgpr66
	s_mov_b32 s7, exec_lo
	s_delay_alu instid0(VALU_DEP_1) | instskip(SKIP_1) | instid1(VALU_DEP_2)
	v_and_b32_e32 v68, 0x7f800000, v67
	v_and_b32_e32 v32, 0x7fffff, v67
	v_cmpx_ne_u64_e32 0x7f800000, v[68:69]
	s_xor_b32 s10, exec_lo, s7
	s_cbranch_execz .LBB2_5963
; %bb.5946:                             ;   in Loop: Header=BB2_5927 Depth=2
	v_dual_mov_b32 v69, v33 :: v_dual_lshrrev_b32 v66, 24, v67
	v_and_b32_e32 v68, 0x7fffffff, v67
	s_mov_b32 s7, exec_lo
	s_delay_alu instid0(VALU_DEP_2) | instskip(NEXT) | instid1(VALU_DEP_2)
	v_and_b32_e32 v70, 0x80, v66
                                        ; implicit-def: $vgpr66
	v_cmpx_gt_u64_e32 0x47600001, v[68:69]
	s_xor_b32 s11, exec_lo, s7
	s_cbranch_execz .LBB2_5960
; %bb.5947:                             ;   in Loop: Header=BB2_5927 Depth=2
	v_mov_b32_e32 v66, 0
	s_mov_b32 s27, exec_lo
	v_cmpx_ne_u32_e32 0, v67
	s_cbranch_execz .LBB2_5959
; %bb.5948:                             ;   in Loop: Header=BB2_5927 Depth=2
	v_bfe_u32 v71, v67, 23, 8
	v_or_b32_e32 v68, 0x800000, v32
	s_delay_alu instid0(VALU_DEP_2) | instskip(SKIP_1) | instid1(VALU_DEP_2)
	v_sub_nc_u32_e32 v66, 0x71, v71
	v_cmp_gt_u32_e32 vcc_lo, 0x72, v71
	v_cndmask_b32_e32 v66, 0, v66, vcc_lo
	v_cmp_eq_u32_e32 vcc_lo, 0, v71
	s_delay_alu instid0(VALU_DEP_2) | instskip(SKIP_1) | instid1(VALU_DEP_2)
	v_cndmask_b32_e64 v80, v66, 0x70, vcc_lo
	v_cndmask_b32_e32 v32, v68, v32, vcc_lo
	v_dual_add_nc_u32 v66, 21, v80 :: v_dual_add_nc_u32 v69, 20, v80
	s_delay_alu instid0(VALU_DEP_1) | instskip(NEXT) | instid1(VALU_DEP_2)
	v_lshlrev_b64_e64 v[66:67], v66, -1
	v_lshlrev_b64_e64 v[68:69], v69, 1
	s_delay_alu instid0(VALU_DEP_2) | instskip(NEXT) | instid1(VALU_DEP_3)
	v_bfi_b32 v83, v67, 0, 0
	v_bfi_b32 v82, v66, 0, v32
	v_lshrrev_b64 v[66:67], v80, v[32:33]
	s_delay_alu instid0(VALU_DEP_2) | instskip(NEXT) | instid1(VALU_DEP_2)
	v_cmp_eq_u64_e64 s7, v[82:83], v[68:69]
	v_mov_b64_e32 v[68:69], v[66:67]
	s_and_saveexec_b32 s28, s7
; %bb.5949:                             ;   in Loop: Header=BB2_5927 Depth=2
	v_bfe_u32 v32, v66, 21, 1
	s_delay_alu instid0(VALU_DEP_1) | instskip(NEXT) | instid1(VALU_DEP_1)
	v_add_nc_u64_e32 v[68:69], v[66:67], v[32:33]
	v_add_nc_u64_e32 v[68:69], -1, v[68:69]
; %bb.5950:                             ;   in Loop: Header=BB2_5927 Depth=2
	s_or_b32 exec_lo, exec_lo, s28
	v_add_nc_u32_e32 v32, 0xffffff81, v71
	v_lshrrev_b32_e32 v67, 23, v66
	s_mov_b32 s7, exec_lo
                                        ; implicit-def: $vgpr71
	s_delay_alu instid0(VALU_DEP_2) | instskip(NEXT) | instid1(VALU_DEP_1)
	v_cndmask_b32_e64 v32, v32, 0xffffff82, vcc_lo
	v_add3_u32 v69, v80, v32, v67
	v_and_b32_e32 v32, 0x1fffff, v68
	s_delay_alu instid0(VALU_DEP_1) | instskip(NEXT) | instid1(VALU_DEP_1)
	v_dual_add_nc_u32 v68, 14, v69 :: v_dual_add_nc_u32 v32, v32, v66
                                        ; implicit-def: $vgpr66_vgpr67
	v_cmpx_ne_u32_e32 0, v68
	s_xor_b32 s7, exec_lo, s7
; %bb.5951:                             ;   in Loop: Header=BB2_5927 Depth=2
	s_delay_alu instid0(VALU_DEP_2) | instskip(SKIP_1) | instid1(VALU_DEP_1)
	v_cmp_lt_u64_e32 vcc_lo, 0xffffff, v[32:33]
	v_add_nc_u32_e32 v66, 15, v69
	v_cndmask_b32_e32 v71, v68, v66, vcc_lo
	v_cndmask_b32_e64 v66, 0, 1, vcc_lo
	s_delay_alu instid0(VALU_DEP_1)
	v_lshrrev_b64 v[66:67], v66, v[32:33]
; %bb.5952:                             ;   in Loop: Header=BB2_5927 Depth=2
	s_and_not1_saveexec_b32 s7, s7
; %bb.5953:                             ;   in Loop: Header=BB2_5927 Depth=2
	v_mov_b64_e32 v[66:67], v[32:33]
	v_bfe_u32 v71, v32, 23, 1
; %bb.5954:                             ;   in Loop: Header=BB2_5927 Depth=2
	s_or_b32 exec_lo, exec_lo, s7
	s_delay_alu instid0(VALU_DEP_2) | instskip(NEXT) | instid1(VALU_DEP_2)
	v_lshrrev_b64 v[66:67], 21, v[66:67]
	v_cmp_gt_i32_e32 vcc_lo, 32, v71
	v_cmp_ne_u32_e64 s7, 0, v71
	s_delay_alu instid0(VALU_DEP_3) | instskip(NEXT) | instid1(VALU_DEP_1)
	v_dual_cndmask_b32 v69, 0, v67 :: v_dual_cndmask_b32 v68, 3, v66
                                        ; implicit-def: $vgpr66
	v_cmp_ne_u64_e32 vcc_lo, 0, v[68:69]
	s_or_b32 s7, s7, vcc_lo
	s_delay_alu instid0(SALU_CYCLE_1) | instskip(NEXT) | instid1(SALU_CYCLE_1)
	s_and_saveexec_b32 s28, s7
	s_xor_b32 s7, exec_lo, s28
; %bb.5955:                             ;   in Loop: Header=BB2_5927 Depth=2
	v_min_i32_e32 v32, 31, v71
	s_delay_alu instid0(VALU_DEP_1) | instskip(NEXT) | instid1(VALU_DEP_1)
	v_lshl_or_b32 v32, v32, 2, v70
                                        ; implicit-def: $vgpr70
	v_and_or_b32 v66, v68, 3, v32
; %bb.5956:                             ;   in Loop: Header=BB2_5927 Depth=2
	s_and_not1_saveexec_b32 s7, s7
; %bb.5957:                             ;   in Loop: Header=BB2_5927 Depth=2
	v_mov_b32_e32 v66, v70
; %bb.5958:                             ;   in Loop: Header=BB2_5927 Depth=2
	s_or_b32 exec_lo, exec_lo, s7
.LBB2_5959:                             ;   in Loop: Header=BB2_5927 Depth=2
	s_delay_alu instid0(SALU_CYCLE_1)
	s_or_b32 exec_lo, exec_lo, s27
                                        ; implicit-def: $vgpr70
.LBB2_5960:                             ;   in Loop: Header=BB2_5927 Depth=2
	s_and_not1_saveexec_b32 s7, s11
; %bb.5961:                             ;   in Loop: Header=BB2_5927 Depth=2
	v_or_b32_e32 v66, 0x7b, v70
; %bb.5962:                             ;   in Loop: Header=BB2_5927 Depth=2
	s_or_b32 exec_lo, exec_lo, s7
                                        ; implicit-def: $vgpr67
.LBB2_5963:                             ;   in Loop: Header=BB2_5927 Depth=2
	s_and_not1_saveexec_b32 s7, s10
	s_cbranch_execz .LBB2_5969
; %bb.5964:                             ;   in Loop: Header=BB2_5927 Depth=2
	s_mov_b32 s10, exec_lo
                                        ; implicit-def: $vgpr66
	v_cmpx_ne_u64_e32 0, v[32:33]
	s_xor_b32 s10, exec_lo, s10
; %bb.5965:                             ;   in Loop: Header=BB2_5927 Depth=2
	v_lshrrev_b32_e32 v32, 24, v67
                                        ; implicit-def: $vgpr67
	s_delay_alu instid0(VALU_DEP_1)
	v_or_b32_e32 v66, 0x7f, v32
; %bb.5966:                             ;   in Loop: Header=BB2_5927 Depth=2
	s_and_not1_saveexec_b32 s10, s10
; %bb.5967:                             ;   in Loop: Header=BB2_5927 Depth=2
	v_cmp_lt_i32_e32 vcc_lo, -1, v67
	v_cndmask_b32_e64 v66, -4, 0x7c, vcc_lo
; %bb.5968:                             ;   in Loop: Header=BB2_5927 Depth=2
	s_or_b32 exec_lo, exec_lo, s10
.LBB2_5969:                             ;   in Loop: Header=BB2_5927 Depth=2
	s_delay_alu instid0(SALU_CYCLE_1)
	s_or_b32 exec_lo, exec_lo, s7
	flat_load_i8 v32, v[12:13] th:TH_LOAD_NT
	v_and_b32_e32 v70, 0xff, v66
	v_dual_mov_b32 v68, 0 :: v_dual_mov_b32 v67, 0
	s_mov_b32 s7, exec_lo
	s_wait_xcnt 0x0
	s_delay_alu instid0(VALU_DEP_2)
	v_cmpx_ne_u16_e32 0, v70
	s_cbranch_execz .LBB2_5979
; %bb.5970:                             ;   in Loop: Header=BB2_5927 Depth=2
	v_bfrev_b32_e32 v67, 1
	s_mov_b32 s10, exec_lo
	v_cmpx_ne_u16_e32 0x80, v70
	s_cbranch_execz .LBB2_5978
; %bb.5971:                             ;   in Loop: Header=BB2_5927 Depth=2
	v_and_b32_e32 v67, 0x7c, v66
	v_and_b32_e32 v69, 3, v66
	s_delay_alu instid0(VALU_DEP_2) | instskip(SKIP_1) | instid1(SALU_CYCLE_1)
	v_cmp_ne_u32_e32 vcc_lo, 0x7c, v67
                                        ; implicit-def: $vgpr67
	s_and_saveexec_b32 s11, vcc_lo
	s_xor_b32 s11, exec_lo, s11
	s_cbranch_execz .LBB2_5975
; %bb.5972:                             ;   in Loop: Header=BB2_5927 Depth=2
	v_bfe_u32 v67, v70, 2, 5
	s_mov_b32 s27, exec_lo
	s_delay_alu instid0(VALU_DEP_1)
	v_cmpx_eq_u32_e32 0, v67
; %bb.5973:                             ;   in Loop: Header=BB2_5927 Depth=2
	v_clz_i32_u32_e32 v67, v69
	s_delay_alu instid0(VALU_DEP_1) | instskip(SKIP_1) | instid1(VALU_DEP_2)
	v_min_u32_e32 v69, 32, v67
	v_mov_b32_e32 v67, v33
	v_subrev_nc_u32_e32 v70, 29, v69
	s_delay_alu instid0(VALU_DEP_1) | instskip(NEXT) | instid1(VALU_DEP_1)
	v_lshlrev_b64_e32 v[70:71], v70, v[66:67]
	v_dual_sub_nc_u32 v67, 30, v69 :: v_dual_bitop2_b32 v69, 3, v70 bitop3:0x40
; %bb.5974:                             ;   in Loop: Header=BB2_5927 Depth=2
	s_or_b32 exec_lo, exec_lo, s27
	v_lshlrev_b32_e32 v66, 24, v66
	s_delay_alu instid0(VALU_DEP_1) | instskip(NEXT) | instid1(VALU_DEP_1)
	v_and_b32_e32 v66, 0x80000000, v66
	v_lshl_add_u32 v66, v67, 23, v66
	s_delay_alu instid0(VALU_DEP_1) | instskip(NEXT) | instid1(VALU_DEP_1)
	v_lshl_or_b32 v66, v69, 21, v66
                                        ; implicit-def: $vgpr69
	v_add_nc_u32_e32 v67, 0x38000000, v66
                                        ; implicit-def: $vgpr66
.LBB2_5975:                             ;   in Loop: Header=BB2_5927 Depth=2
	s_and_not1_saveexec_b32 s11, s11
; %bb.5976:                             ;   in Loop: Header=BB2_5927 Depth=2
	v_bfe_i32 v66, v66, 0, 8
	s_delay_alu instid0(VALU_DEP_1) | instskip(SKIP_2) | instid1(VALU_DEP_2)
	v_cmp_lt_i16_e32 vcc_lo, -1, v66
	v_cndmask_b32_e32 v66, 0xff800000, v45, vcc_lo
	v_cmp_eq_u32_e32 vcc_lo, 0, v69
	v_cndmask_b32_e32 v67, 0x7f800001, v66, vcc_lo
; %bb.5977:                             ;   in Loop: Header=BB2_5927 Depth=2
	s_or_b32 exec_lo, exec_lo, s11
.LBB2_5978:                             ;   in Loop: Header=BB2_5927 Depth=2
	s_delay_alu instid0(SALU_CYCLE_1)
	s_or_b32 exec_lo, exec_lo, s10
.LBB2_5979:                             ;   in Loop: Header=BB2_5927 Depth=2
	s_delay_alu instid0(SALU_CYCLE_1) | instskip(NEXT) | instid1(SALU_CYCLE_1)
	s_or_b32 exec_lo, exec_lo, s7
	s_mov_b32 s7, exec_lo
	s_wait_loadcnt_dscnt 0x0
	v_cmpx_ne_u16_e32 0, v32
	s_cbranch_execz .LBB2_5989
; %bb.5980:                             ;   in Loop: Header=BB2_5927 Depth=2
	v_bfrev_b32_e32 v68, 1
	s_mov_b32 s10, exec_lo
	v_cmpx_ne_u16_e32 0xff80, v32
	s_cbranch_execz .LBB2_5988
; %bb.5981:                             ;   in Loop: Header=BB2_5927 Depth=2
	v_and_b32_e32 v68, 0x7c, v32
	v_and_b32_e32 v66, 3, v32
	s_delay_alu instid0(VALU_DEP_2) | instskip(SKIP_1) | instid1(SALU_CYCLE_1)
	v_cmp_ne_u32_e32 vcc_lo, 0x7c, v68
                                        ; implicit-def: $vgpr68
	s_and_saveexec_b32 s11, vcc_lo
	s_xor_b32 s11, exec_lo, s11
	s_cbranch_execz .LBB2_5985
; %bb.5982:                             ;   in Loop: Header=BB2_5927 Depth=2
	v_and_b32_e32 v68, 0xff, v32
	s_mov_b32 s27, exec_lo
	s_delay_alu instid0(VALU_DEP_1) | instskip(NEXT) | instid1(VALU_DEP_1)
	v_bfe_u32 v68, v68, 2, 5
	v_cmpx_eq_u32_e32 0, v68
; %bb.5983:                             ;   in Loop: Header=BB2_5927 Depth=2
	v_clz_i32_u32_e32 v66, v66
	s_delay_alu instid0(VALU_DEP_1) | instskip(NEXT) | instid1(VALU_DEP_1)
	v_min_u32_e32 v66, 32, v66
	v_subrev_nc_u32_e32 v68, 29, v66
	s_delay_alu instid0(VALU_DEP_1) | instskip(SKIP_1) | instid1(VALU_DEP_2)
	v_lshlrev_b64_e32 v[70:71], v68, v[32:33]
	v_sub_nc_u32_e32 v68, 30, v66
	v_and_b32_e32 v66, 3, v70
; %bb.5984:                             ;   in Loop: Header=BB2_5927 Depth=2
	s_or_b32 exec_lo, exec_lo, s27
	v_bfe_i32 v32, v32, 0, 16
	s_delay_alu instid0(VALU_DEP_1) | instskip(NEXT) | instid1(VALU_DEP_1)
	v_and_b32_e32 v32, 0x80000000, v32
	v_lshl_add_u32 v32, v68, 23, v32
	s_delay_alu instid0(VALU_DEP_1) | instskip(NEXT) | instid1(VALU_DEP_1)
	v_lshl_or_b32 v32, v66, 21, v32
                                        ; implicit-def: $vgpr66
	v_add_nc_u32_e32 v68, 0x38000000, v32
.LBB2_5985:                             ;   in Loop: Header=BB2_5927 Depth=2
	s_and_not1_saveexec_b32 s11, s11
; %bb.5986:                             ;   in Loop: Header=BB2_5927 Depth=2
	v_cmp_lt_i16_e32 vcc_lo, -1, v32
	v_cndmask_b32_e32 v32, 0xff800000, v45, vcc_lo
	v_cmp_eq_u32_e32 vcc_lo, 0, v66
	s_delay_alu instid0(VALU_DEP_2)
	v_cndmask_b32_e32 v68, 0x7f800001, v32, vcc_lo
; %bb.5987:                             ;   in Loop: Header=BB2_5927 Depth=2
	s_or_b32 exec_lo, exec_lo, s11
.LBB2_5988:                             ;   in Loop: Header=BB2_5927 Depth=2
	s_delay_alu instid0(SALU_CYCLE_1)
	s_or_b32 exec_lo, exec_lo, s10
.LBB2_5989:                             ;   in Loop: Header=BB2_5927 Depth=2
	s_delay_alu instid0(SALU_CYCLE_1) | instskip(NEXT) | instid1(VALU_DEP_1)
	s_or_b32 exec_lo, exec_lo, s7
	v_dual_add_f32 v66, v67, v68 :: v_dual_mov_b32 v69, v33
                                        ; implicit-def: $vgpr67
	s_mov_b32 s7, exec_lo
	s_delay_alu instid0(VALU_DEP_1) | instskip(SKIP_1) | instid1(VALU_DEP_2)
	v_and_b32_e32 v68, 0x7f800000, v66
	v_and_b32_e32 v32, 0x7fffff, v66
	v_cmpx_ne_u64_e32 0x7f800000, v[68:69]
	s_xor_b32 s10, exec_lo, s7
	s_cbranch_execz .LBB2_6007
; %bb.5990:                             ;   in Loop: Header=BB2_5927 Depth=2
	v_dual_mov_b32 v69, v33 :: v_dual_lshrrev_b32 v67, 24, v66
	v_and_b32_e32 v68, 0x7fffffff, v66
	s_mov_b32 s7, exec_lo
	s_delay_alu instid0(VALU_DEP_2) | instskip(NEXT) | instid1(VALU_DEP_2)
	v_and_b32_e32 v70, 0x80, v67
                                        ; implicit-def: $vgpr67
	v_cmpx_gt_u64_e32 0x47600001, v[68:69]
	s_xor_b32 s11, exec_lo, s7
	s_cbranch_execz .LBB2_6004
; %bb.5991:                             ;   in Loop: Header=BB2_5927 Depth=2
	v_mov_b32_e32 v67, 0
	s_mov_b32 s27, exec_lo
	v_cmpx_ne_u32_e32 0, v66
	s_cbranch_execz .LBB2_6003
; %bb.5992:                             ;   in Loop: Header=BB2_5927 Depth=2
	v_bfe_u32 v71, v66, 23, 8
	v_or_b32_e32 v68, 0x800000, v32
	s_delay_alu instid0(VALU_DEP_2) | instskip(SKIP_1) | instid1(VALU_DEP_2)
	v_sub_nc_u32_e32 v66, 0x71, v71
	v_cmp_gt_u32_e32 vcc_lo, 0x72, v71
	v_cndmask_b32_e32 v66, 0, v66, vcc_lo
	v_cmp_eq_u32_e32 vcc_lo, 0, v71
	s_delay_alu instid0(VALU_DEP_2) | instskip(SKIP_1) | instid1(VALU_DEP_2)
	v_cndmask_b32_e64 v80, v66, 0x70, vcc_lo
	v_cndmask_b32_e32 v32, v68, v32, vcc_lo
	v_dual_add_nc_u32 v66, 21, v80 :: v_dual_add_nc_u32 v69, 20, v80
	s_delay_alu instid0(VALU_DEP_1) | instskip(NEXT) | instid1(VALU_DEP_2)
	v_lshlrev_b64_e64 v[66:67], v66, -1
	v_lshlrev_b64_e64 v[68:69], v69, 1
	s_delay_alu instid0(VALU_DEP_2) | instskip(NEXT) | instid1(VALU_DEP_3)
	v_bfi_b32 v83, v67, 0, 0
	v_bfi_b32 v82, v66, 0, v32
	v_lshrrev_b64 v[66:67], v80, v[32:33]
	s_delay_alu instid0(VALU_DEP_2) | instskip(NEXT) | instid1(VALU_DEP_2)
	v_cmp_eq_u64_e64 s7, v[82:83], v[68:69]
	v_mov_b64_e32 v[68:69], v[66:67]
	s_and_saveexec_b32 s28, s7
; %bb.5993:                             ;   in Loop: Header=BB2_5927 Depth=2
	v_bfe_u32 v32, v66, 21, 1
	s_delay_alu instid0(VALU_DEP_1) | instskip(NEXT) | instid1(VALU_DEP_1)
	v_add_nc_u64_e32 v[68:69], v[66:67], v[32:33]
	v_add_nc_u64_e32 v[68:69], -1, v[68:69]
; %bb.5994:                             ;   in Loop: Header=BB2_5927 Depth=2
	s_or_b32 exec_lo, exec_lo, s28
	v_add_nc_u32_e32 v32, 0xffffff81, v71
	v_lshrrev_b32_e32 v67, 23, v66
	s_mov_b32 s7, exec_lo
	s_delay_alu instid0(VALU_DEP_2) | instskip(NEXT) | instid1(VALU_DEP_1)
	v_cndmask_b32_e64 v32, v32, 0xffffff82, vcc_lo
	v_add3_u32 v69, v80, v32, v67
	v_and_b32_e32 v32, 0x1fffff, v68
                                        ; implicit-def: $vgpr68
	s_delay_alu instid0(VALU_DEP_1) | instskip(NEXT) | instid1(VALU_DEP_1)
	v_dual_add_nc_u32 v71, 14, v69 :: v_dual_add_nc_u32 v32, v32, v66
                                        ; implicit-def: $vgpr66_vgpr67
	v_cmpx_ne_u32_e32 0, v71
	s_xor_b32 s7, exec_lo, s7
; %bb.5995:                             ;   in Loop: Header=BB2_5927 Depth=2
	s_delay_alu instid0(VALU_DEP_2) | instskip(SKIP_1) | instid1(VALU_DEP_1)
	v_cmp_lt_u64_e32 vcc_lo, 0xffffff, v[32:33]
	v_add_nc_u32_e32 v66, 15, v69
	v_cndmask_b32_e32 v68, v71, v66, vcc_lo
	v_cndmask_b32_e64 v66, 0, 1, vcc_lo
	s_delay_alu instid0(VALU_DEP_1)
	v_lshrrev_b64 v[66:67], v66, v[32:33]
; %bb.5996:                             ;   in Loop: Header=BB2_5927 Depth=2
	s_and_not1_saveexec_b32 s7, s7
; %bb.5997:                             ;   in Loop: Header=BB2_5927 Depth=2
	v_mov_b64_e32 v[66:67], v[32:33]
	v_bfe_u32 v68, v32, 23, 1
; %bb.5998:                             ;   in Loop: Header=BB2_5927 Depth=2
	s_or_b32 exec_lo, exec_lo, s7
	s_delay_alu instid0(VALU_DEP_2) | instskip(NEXT) | instid1(VALU_DEP_2)
	v_lshrrev_b64 v[66:67], 21, v[66:67]
	v_cmp_gt_i32_e32 vcc_lo, 32, v68
	v_cmp_ne_u32_e64 s7, 0, v68
	s_delay_alu instid0(VALU_DEP_3) | instskip(NEXT) | instid1(VALU_DEP_1)
	v_dual_cndmask_b32 v67, 0, v67 :: v_dual_cndmask_b32 v66, 3, v66
	v_cmp_ne_u64_e32 vcc_lo, 0, v[66:67]
                                        ; implicit-def: $vgpr67
	s_or_b32 s7, s7, vcc_lo
	s_delay_alu instid0(SALU_CYCLE_1) | instskip(NEXT) | instid1(SALU_CYCLE_1)
	s_and_saveexec_b32 s28, s7
	s_xor_b32 s7, exec_lo, s28
; %bb.5999:                             ;   in Loop: Header=BB2_5927 Depth=2
	v_min_i32_e32 v32, 31, v68
	s_delay_alu instid0(VALU_DEP_1) | instskip(NEXT) | instid1(VALU_DEP_1)
	v_lshl_or_b32 v32, v32, 2, v70
                                        ; implicit-def: $vgpr70
	v_and_or_b32 v67, v66, 3, v32
; %bb.6000:                             ;   in Loop: Header=BB2_5927 Depth=2
	s_and_not1_saveexec_b32 s7, s7
; %bb.6001:                             ;   in Loop: Header=BB2_5927 Depth=2
	v_mov_b32_e32 v67, v70
; %bb.6002:                             ;   in Loop: Header=BB2_5927 Depth=2
	s_or_b32 exec_lo, exec_lo, s7
.LBB2_6003:                             ;   in Loop: Header=BB2_5927 Depth=2
	s_delay_alu instid0(SALU_CYCLE_1)
	s_or_b32 exec_lo, exec_lo, s27
                                        ; implicit-def: $vgpr70
.LBB2_6004:                             ;   in Loop: Header=BB2_5927 Depth=2
	s_and_not1_saveexec_b32 s7, s11
; %bb.6005:                             ;   in Loop: Header=BB2_5927 Depth=2
	v_or_b32_e32 v67, 0x7b, v70
; %bb.6006:                             ;   in Loop: Header=BB2_5927 Depth=2
	s_or_b32 exec_lo, exec_lo, s7
                                        ; implicit-def: $vgpr66
.LBB2_6007:                             ;   in Loop: Header=BB2_5927 Depth=2
	s_and_not1_saveexec_b32 s7, s10
	s_cbranch_execz .LBB2_5926
; %bb.6008:                             ;   in Loop: Header=BB2_5927 Depth=2
	s_mov_b32 s10, exec_lo
                                        ; implicit-def: $vgpr67
	v_cmpx_ne_u64_e32 0, v[32:33]
	s_xor_b32 s10, exec_lo, s10
; %bb.6009:                             ;   in Loop: Header=BB2_5927 Depth=2
	v_lshrrev_b32_e32 v32, 24, v66
                                        ; implicit-def: $vgpr66
	s_delay_alu instid0(VALU_DEP_1)
	v_or_b32_e32 v67, 0x7f, v32
; %bb.6010:                             ;   in Loop: Header=BB2_5927 Depth=2
	s_and_not1_saveexec_b32 s10, s10
	s_cbranch_execz .LBB2_5925
; %bb.6011:                             ;   in Loop: Header=BB2_5927 Depth=2
	v_cmp_lt_i32_e32 vcc_lo, -1, v66
	v_cndmask_b32_e64 v67, -4, 0x7c, vcc_lo
	s_branch .LBB2_5925
.LBB2_6012:                             ;   in Loop: Header=BB2_3075 Depth=1
	s_or_b32 exec_lo, exec_lo, s25
	v_cmp_ne_u32_e64 s7, 0, v47
	s_and_saveexec_b32 s10, s2
	s_cbranch_execz .LBB2_6031
.LBB2_6013:                             ;   in Loop: Header=BB2_3075 Depth=1
	s_and_saveexec_b32 s11, s3
	s_delay_alu instid0(SALU_CYCLE_1)
	s_xor_b32 s11, exec_lo, s11
	s_cbranch_execz .LBB2_6028
; %bb.6014:                             ;   in Loop: Header=BB2_3075 Depth=1
	s_and_saveexec_b32 s25, s4
	s_cbranch_execz .LBB2_6027
; %bb.6015:                             ;   in Loop: Header=BB2_3075 Depth=1
	s_mov_b32 s27, exec_lo
	s_mov_b32 s26, exec_lo
	v_mbcnt_lo_u32_b32 v10, s27, 0
	global_wb scope:SCOPE_DEV
	s_wait_storecnt 0x0
	s_wait_loadcnt_dscnt 0x0
	global_inv scope:SCOPE_DEV
	v_cmpx_eq_u32_e32 0, v10
	s_cbranch_execz .LBB2_6017
; %bb.6016:                             ;   in Loop: Header=BB2_3075 Depth=1
	s_bcnt1_i32_b32 s27, s27
	s_delay_alu instid0(SALU_CYCLE_1)
	v_mov_b32_e32 v32, s27
	s_wait_loadcnt 0x0
	ds_add_u64 v0, v[32:33]
	s_trap 2
.LBB2_6017:                             ;   in Loop: Header=BB2_3075 Depth=1
	s_or_b32 exec_lo, exec_lo, s26
	s_trap 2
	ds_load_b64 v[10:11], v0
	s_wait_dscnt 0x0
	v_add_nc_u64_e32 v[24:25], v[24:25], v[34:35]
	s_mov_b32 s26, exec_lo
	s_delay_alu instid0(VALU_DEP_1)
	v_cmpx_lt_u64_e64 v[10:11], v[24:25]
	s_cbranch_execz .LBB2_6026
; %bb.6018:                             ;   in Loop: Header=BB2_3075 Depth=1
	s_mov_b32 s27, 0
	s_mov_b32 s40, 0
                                        ; implicit-def: $sgpr28
                                        ; implicit-def: $sgpr29
	s_branch .LBB2_6020
.LBB2_6019:                             ;   in Loop: Header=BB2_6020 Depth=2
	s_or_b32 exec_lo, exec_lo, s42
	s_delay_alu instid0(SALU_CYCLE_1) | instskip(NEXT) | instid1(SALU_CYCLE_1)
	s_and_b32 s41, exec_lo, s43
	s_or_b32 s27, s41, s27
	s_and_not1_b32 s28, s28, exec_lo
	s_and_b32 s41, s29, exec_lo
	s_delay_alu instid0(SALU_CYCLE_1)
	s_or_b32 s28, s28, s41
	s_and_not1_b32 exec_lo, exec_lo, s27
	s_cbranch_execz .LBB2_6024
.LBB2_6020:                             ;   Parent Loop BB2_3075 Depth=1
                                        ; =>  This Inner Loop Header: Depth=2
	s_add_co_i32 s40, s40, 1
	s_delay_alu instid0(SALU_CYCLE_1) | instskip(SKIP_1) | instid1(SALU_CYCLE_1)
	s_cmp_lg_u32 s40, 0x2710
	s_cselect_b32 s41, -1, 0
	s_and_b32 vcc_lo, exec_lo, s41
	s_cbranch_vccz .LBB2_6022
; %bb.6021:                             ;   in Loop: Header=BB2_6020 Depth=2
	s_mov_b32 s43, -1
	s_or_b32 s29, s29, exec_lo
	s_and_saveexec_b32 s42, s41
	s_cbranch_execz .LBB2_6019
	s_branch .LBB2_6023
.LBB2_6022:                             ;   in Loop: Header=BB2_6020 Depth=2
	s_trap 2
	ds_load_b64 v[10:11], v0
	s_and_not1_b32 s41, s41, exec_lo
	s_mov_b32 s40, 0
	s_wait_loadcnt_dscnt 0x0
	flat_load_b32 v10, v[10:11] scope:SCOPE_SYS
	s_wait_loadcnt_dscnt 0x0
	global_inv scope:SCOPE_SYS
	v_cmp_eq_u32_e32 vcc_lo, 0, v10
	s_and_b32 s42, vcc_lo, exec_lo
	s_delay_alu instid0(SALU_CYCLE_1)
	s_or_b32 s41, s41, s42
	s_mov_b32 s43, -1
	s_or_b32 s29, s29, exec_lo
	s_and_saveexec_b32 s42, s41
	s_cbranch_execz .LBB2_6019
.LBB2_6023:                             ;   in Loop: Header=BB2_6020 Depth=2
	s_sleep 1
	s_trap 2
	ds_load_b64 v[10:11], v0
	s_wait_dscnt 0x0
	s_and_not1_b32 s29, s29, exec_lo
	v_cmp_ge_u64_e32 vcc_lo, v[10:11], v[24:25]
	s_or_not1_b32 s43, vcc_lo, exec_lo
	s_branch .LBB2_6019
.LBB2_6024:                             ;   in Loop: Header=BB2_3075 Depth=1
	s_or_b32 exec_lo, exec_lo, s27
	s_and_saveexec_b32 s27, s28
	s_delay_alu instid0(SALU_CYCLE_1)
	s_xor_b32 s27, exec_lo, s27
	s_cbranch_execz .LBB2_6026
; %bb.6025:                             ;   in Loop: Header=BB2_3075 Depth=1
	ds_store_b32 v0, v44
	s_trap 2
.LBB2_6026:                             ;   in Loop: Header=BB2_3075 Depth=1
	s_or_b32 exec_lo, exec_lo, s26
	;;#ASMSTART
	s_wakeup
	;;#ASMEND
.LBB2_6027:                             ;   in Loop: Header=BB2_3075 Depth=1
	s_or_b32 exec_lo, exec_lo, s25
.LBB2_6028:                             ;   in Loop: Header=BB2_3075 Depth=1
	s_and_not1_saveexec_b32 s11, s11
	s_cbranch_execz .LBB2_6030
; %bb.6029:                             ;   in Loop: Header=BB2_3075 Depth=1
	global_wb scope:SCOPE_DEV
	s_wait_storecnt 0x0
	s_wait_loadcnt_dscnt 0x0
	global_inv scope:SCOPE_DEV
	s_barrier_signal -1
	s_barrier_wait -1
.LBB2_6030:                             ;   in Loop: Header=BB2_3075 Depth=1
	s_or_b32 exec_lo, exec_lo, s11
.LBB2_6031:                             ;   in Loop: Header=BB2_3075 Depth=1
	s_delay_alu instid0(SALU_CYCLE_1) | instskip(SKIP_1) | instid1(VALU_DEP_1)
	s_or_b32 exec_lo, exec_lo, s10
	v_and_b32_e32 v10, 16, v56
	v_cmp_ne_u32_e32 vcc_lo, 0, v10
	s_and_b32 s10, vcc_lo, s7
	s_delay_alu instid0(SALU_CYCLE_1)
	s_and_saveexec_b32 s7, s10
	s_cbranch_execz .LBB2_6033
; %bb.6032:                             ;   in Loop: Header=BB2_3075 Depth=1
	global_wb scope:SCOPE_SYS
	s_wait_storecnt 0x0
	s_wait_loadcnt_dscnt 0x0
	global_inv scope:SCOPE_SYS
.LBB2_6033:                             ;   in Loop: Header=BB2_3075 Depth=1
	s_or_b32 exec_lo, exec_lo, s7
	v_and_b32_e32 v10, 32, v56
	s_mov_b32 s7, exec_lo
	s_delay_alu instid0(VALU_DEP_1)
	v_cmpx_ne_u32_e32 0, v10
	s_cbranch_execz .LBB2_6035
; %bb.6034:                             ;   in Loop: Header=BB2_3075 Depth=1
	v_add_nc_u64_e32 v[8:9], 1, v[8:9]
	global_wb scope:SCOPE_SYS
	s_wait_storecnt 0x0
	s_wait_loadcnt_dscnt 0x0
	flat_store_b64 v[18:19], v[8:9] scope:SCOPE_SYS
.LBB2_6035:                             ;   in Loop: Header=BB2_3075 Depth=1
	s_wait_xcnt 0x0
	s_or_b32 exec_lo, exec_lo, s7
	v_mov_b32_e32 v30, v55
.LBB2_6036:                             ;   in Loop: Header=BB2_3075 Depth=1
	s_or_b32 exec_lo, exec_lo, s24
	s_and_saveexec_b32 s10, s23
	s_cbranch_execz .LBB2_3074
; %bb.6037:                             ;   in Loop: Header=BB2_3075 Depth=1
	v_and_b32_e32 v10, 4, v56
	s_mov_b32 s11, exec_lo
	s_delay_alu instid0(VALU_DEP_1)
	v_cmpx_ne_u32_e32 0, v10
	s_cbranch_execz .LBB2_6059
; %bb.6038:                             ;   in Loop: Header=BB2_3075 Depth=1
	v_add_nc_u64_e32 v[10:11], 1, v[8:9]
	s_mov_b32 s23, exec_lo
	s_wait_loadcnt 0x0
	s_delay_alu instid0(VALU_DEP_1)
	v_cmpx_lt_u64_e64 v[26:27], v[10:11]
	s_cbranch_execz .LBB2_6050
; %bb.6039:                             ;   in Loop: Header=BB2_3075 Depth=1
	v_and_b32_e32 v9, 64, v56
	s_mov_b32 s24, 0
	s_mov_b32 s28, 0
                                        ; implicit-def: $sgpr25
                                        ; implicit-def: $sgpr26
                                        ; implicit-def: $sgpr27
	s_delay_alu instid0(VALU_DEP_1)
	v_cmp_eq_u32_e32 vcc_lo, 0, v9
	s_branch .LBB2_6042
.LBB2_6040:                             ;   in Loop: Header=BB2_6042 Depth=2
	s_or_b32 exec_lo, exec_lo, s43
	s_delay_alu instid0(SALU_CYCLE_1)
	s_and_not1_b32 s7, s27, exec_lo
	s_and_b32 s27, s41, exec_lo
	s_and_not1_b32 s26, s26, exec_lo
	s_and_b32 s40, s40, exec_lo
	s_or_b32 s27, s7, s27
	s_or_b32 s26, s26, s40
.LBB2_6041:                             ;   in Loop: Header=BB2_6042 Depth=2
	s_or_b32 exec_lo, exec_lo, s29
	s_delay_alu instid0(SALU_CYCLE_1) | instskip(NEXT) | instid1(SALU_CYCLE_1)
	s_and_b32 s7, exec_lo, s26
	s_or_b32 s24, s7, s24
	s_and_not1_b32 s7, s25, exec_lo
	s_and_b32 s25, s27, exec_lo
	s_delay_alu instid0(SALU_CYCLE_1)
	s_or_b32 s25, s7, s25
	s_and_not1_b32 exec_lo, exec_lo, s24
	s_cbranch_execz .LBB2_6047
.LBB2_6042:                             ;   Parent Loop BB2_3075 Depth=1
                                        ; =>  This Inner Loop Header: Depth=2
	s_sleep 1
	s_wait_loadcnt_dscnt 0x0
	flat_load_b64 v[26:27], v[18:19] scope:SCOPE_SYS
	s_or_b32 s27, s27, exec_lo
	s_or_b32 s26, s26, exec_lo
                                        ; implicit-def: $vgpr9
	s_wait_xcnt 0x0
	s_and_saveexec_b32 s29, vcc_lo
	s_cbranch_execz .LBB2_6041
; %bb.6043:                             ;   in Loop: Header=BB2_6042 Depth=2
	s_cmp_lt_i32 s28, 0x270f
	s_mov_b32 s40, -1
	s_cselect_b32 s42, -1, 0
	s_cmp_gt_i32 s28, 0x270e
	s_cbranch_scc0 .LBB2_6045
; %bb.6044:                             ;   in Loop: Header=BB2_6042 Depth=2
	s_trap 2
	ds_load_b64 v[12:13], v0
	s_and_not1_b32 s28, s42, exec_lo
	s_mov_b32 s41, 0
	s_wait_storecnt 0x0
	s_wait_loadcnt_dscnt 0x0
	flat_load_b32 v9, v[12:13] scope:SCOPE_SYS
	s_wait_loadcnt_dscnt 0x0
	global_inv scope:SCOPE_SYS
	v_cmp_eq_u32_e64 s7, 0, v9
	s_and_b32 s7, s7, exec_lo
	s_delay_alu instid0(SALU_CYCLE_1)
	s_or_b32 s42, s28, s7
	s_mov_b32 s28, 0
	s_and_saveexec_b32 s43, s42
	s_cbranch_execz .LBB2_6040
	s_branch .LBB2_6046
.LBB2_6045:                             ;   in Loop: Header=BB2_6042 Depth=2
	s_add_co_i32 s28, s28, 1
	s_mov_b32 s41, -1
                                        ; implicit-def: $vgpr9
	s_and_saveexec_b32 s43, s42
	s_cbranch_execz .LBB2_6040
.LBB2_6046:                             ;   in Loop: Header=BB2_6042 Depth=2
	s_wait_loadcnt_dscnt 0x0
	v_cmp_ge_u64_e64 s7, v[26:27], v[10:11]
	s_or_b32 s41, s41, exec_lo
	s_or_not1_b32 s40, s7, exec_lo
	s_branch .LBB2_6040
.LBB2_6047:                             ;   in Loop: Header=BB2_3075 Depth=1
	s_or_b32 exec_lo, exec_lo, s24
	s_xor_b32 s7, s25, -1
	s_delay_alu instid0(SALU_CYCLE_1) | instskip(NEXT) | instid1(SALU_CYCLE_1)
	s_and_saveexec_b32 s24, s7
	s_xor_b32 s7, exec_lo, s24
	s_cbranch_execz .LBB2_6049
; %bb.6048:                             ;   in Loop: Header=BB2_3075 Depth=1
	v_or_b32_e32 v56, 64, v56
	s_wait_storecnt 0x0
	s_wait_loadcnt_dscnt 0x0
	ds_store_b32 v0, v9
	s_trap 2
.LBB2_6049:                             ;   in Loop: Header=BB2_3075 Depth=1
	s_or_b32 exec_lo, exec_lo, s7
.LBB2_6050:                             ;   in Loop: Header=BB2_3075 Depth=1
	s_delay_alu instid0(SALU_CYCLE_1) | instskip(SKIP_4) | instid1(VALU_DEP_2)
	s_or_b32 exec_lo, exec_lo, s23
	v_and_b32_e32 v9, 0x100, v56
	v_and_b32_e32 v32, 7, v8
	s_mov_b32 s7, -1
	;;#ASMSTART
	s_wakeup
	;;#ASMEND
	v_cmp_ne_u32_e32 vcc_lo, 0, v9
                                        ; implicit-def: $vgpr8_vgpr9
	s_and_saveexec_b32 s23, vcc_lo
	s_cbranch_execz .LBB2_6054
; %bb.6051:                             ;   in Loop: Header=BB2_3075 Depth=1
	v_mad_nc_u64_u32 v[12:13], v32, 24, v[6:7]
	flat_load_b32 v8, v[12:13]
	s_wait_loadcnt_dscnt 0x0
	v_cmp_eq_u32_e64 s7, 1, v8
	v_cmp_ne_u32_e32 vcc_lo, 1, v8
                                        ; implicit-def: $vgpr8_vgpr9
	s_wait_xcnt 0x0
	s_and_saveexec_b32 s24, s7
	s_cbranch_execz .LBB2_6053
; %bb.6052:                             ;   in Loop: Header=BB2_3075 Depth=1
	flat_load_b32 v8, v[12:13] offset:4 scope:SCOPE_SYS
	s_wait_loadcnt_dscnt 0x0
	v_ashrrev_i32_e32 v9, 31, v8
.LBB2_6053:                             ;   in Loop: Header=BB2_3075 Depth=1
	s_wait_xcnt 0x0
	s_or_b32 exec_lo, exec_lo, s24
	s_delay_alu instid0(SALU_CYCLE_1)
	s_or_not1_b32 s7, vcc_lo, exec_lo
.LBB2_6054:                             ;   in Loop: Header=BB2_3075 Depth=1
	s_or_b32 exec_lo, exec_lo, s23
	s_and_saveexec_b32 s23, s7
; %bb.6055:                             ;   in Loop: Header=BB2_3075 Depth=1
	v_mul_u64_e32 v[8:9], v[32:33], v[20:21]
; %bb.6056:                             ;   in Loop: Header=BB2_3075 Depth=1
	s_or_b32 exec_lo, exec_lo, s23
	s_delay_alu instid0(VALU_DEP_1)
	v_add_nc_u64_e32 v[8:9], v[22:23], v[8:9]
	v_and_b32_e32 v12, 0x2000, v56
	s_mov_b32 s7, exec_lo
	ds_store_b64 v0, v[8:9] offset:728
	v_cmpx_ne_u32_e32 0, v12
	s_cbranch_execz .LBB2_6058
; %bb.6057:                             ;   in Loop: Header=BB2_3075 Depth=1
	ds_load_b64 v[8:9], v0 offset:872
	s_wait_dscnt 0x0
	v_add_nc_u64_e32 v[8:9], 1, v[8:9]
	ds_store_b64 v0, v[8:9] offset:872
.LBB2_6058:                             ;   in Loop: Header=BB2_3075 Depth=1
	s_or_b32 exec_lo, exec_lo, s7
	v_mov_b64_e32 v[8:9], v[10:11]
.LBB2_6059:                             ;   in Loop: Header=BB2_3075 Depth=1
	s_or_b32 exec_lo, exec_lo, s11
	s_and_saveexec_b32 s7, s2
	s_cbranch_execz .LBB2_6078
; %bb.6060:                             ;   in Loop: Header=BB2_3075 Depth=1
	s_and_saveexec_b32 s11, s3
	s_delay_alu instid0(SALU_CYCLE_1)
	s_xor_b32 s11, exec_lo, s11
	s_cbranch_execz .LBB2_6075
; %bb.6061:                             ;   in Loop: Header=BB2_3075 Depth=1
	s_and_saveexec_b32 s23, s4
	s_cbranch_execz .LBB2_6074
; %bb.6062:                             ;   in Loop: Header=BB2_3075 Depth=1
	s_mov_b32 s25, exec_lo
	s_mov_b32 s24, exec_lo
	v_mbcnt_lo_u32_b32 v10, s25, 0
	global_wb scope:SCOPE_DEV
	s_wait_storecnt 0x0
	s_wait_loadcnt_dscnt 0x0
	global_inv scope:SCOPE_DEV
	v_cmpx_eq_u32_e32 0, v10
	s_cbranch_execz .LBB2_6064
; %bb.6063:                             ;   in Loop: Header=BB2_3075 Depth=1
	s_bcnt1_i32_b32 s25, s25
	s_delay_alu instid0(SALU_CYCLE_1)
	v_mov_b32_e32 v32, s25
	s_wait_loadcnt 0x0
	ds_add_u64 v0, v[32:33]
	s_trap 2
.LBB2_6064:                             ;   in Loop: Header=BB2_3075 Depth=1
	s_or_b32 exec_lo, exec_lo, s24
	s_trap 2
	ds_load_b64 v[10:11], v0
	s_wait_dscnt 0x0
	v_add_nc_u64_e32 v[24:25], v[24:25], v[34:35]
	s_mov_b32 s24, exec_lo
	s_delay_alu instid0(VALU_DEP_1)
	v_cmpx_lt_u64_e64 v[10:11], v[24:25]
	s_cbranch_execz .LBB2_6073
; %bb.6065:                             ;   in Loop: Header=BB2_3075 Depth=1
	s_mov_b32 s25, 0
	s_mov_b32 s28, 0
                                        ; implicit-def: $sgpr26
                                        ; implicit-def: $sgpr27
	s_branch .LBB2_6067
.LBB2_6066:                             ;   in Loop: Header=BB2_6067 Depth=2
	s_or_b32 exec_lo, exec_lo, s40
	s_delay_alu instid0(SALU_CYCLE_1) | instskip(NEXT) | instid1(SALU_CYCLE_1)
	s_and_b32 s29, exec_lo, s41
	s_or_b32 s25, s29, s25
	s_and_not1_b32 s26, s26, exec_lo
	s_and_b32 s29, s27, exec_lo
	s_delay_alu instid0(SALU_CYCLE_1)
	s_or_b32 s26, s26, s29
	s_and_not1_b32 exec_lo, exec_lo, s25
	s_cbranch_execz .LBB2_6071
.LBB2_6067:                             ;   Parent Loop BB2_3075 Depth=1
                                        ; =>  This Inner Loop Header: Depth=2
	s_add_co_i32 s28, s28, 1
	s_delay_alu instid0(SALU_CYCLE_1) | instskip(SKIP_1) | instid1(SALU_CYCLE_1)
	s_cmp_lg_u32 s28, 0x2710
	s_cselect_b32 s29, -1, 0
	s_and_b32 vcc_lo, exec_lo, s29
	s_cbranch_vccz .LBB2_6069
; %bb.6068:                             ;   in Loop: Header=BB2_6067 Depth=2
	s_mov_b32 s41, -1
	s_or_b32 s27, s27, exec_lo
	s_and_saveexec_b32 s40, s29
	s_cbranch_execz .LBB2_6066
	s_branch .LBB2_6070
.LBB2_6069:                             ;   in Loop: Header=BB2_6067 Depth=2
	s_trap 2
	ds_load_b64 v[10:11], v0
	s_and_not1_b32 s29, s29, exec_lo
	s_mov_b32 s28, 0
	s_wait_loadcnt_dscnt 0x0
	flat_load_b32 v10, v[10:11] scope:SCOPE_SYS
	s_wait_loadcnt_dscnt 0x0
	global_inv scope:SCOPE_SYS
	v_cmp_eq_u32_e32 vcc_lo, 0, v10
	s_and_b32 s40, vcc_lo, exec_lo
	s_delay_alu instid0(SALU_CYCLE_1)
	s_or_b32 s29, s29, s40
	s_mov_b32 s41, -1
	s_or_b32 s27, s27, exec_lo
	s_and_saveexec_b32 s40, s29
	s_cbranch_execz .LBB2_6066
.LBB2_6070:                             ;   in Loop: Header=BB2_6067 Depth=2
	s_sleep 1
	s_trap 2
	ds_load_b64 v[10:11], v0
	s_wait_dscnt 0x0
	s_and_not1_b32 s27, s27, exec_lo
	v_cmp_ge_u64_e32 vcc_lo, v[10:11], v[24:25]
	s_or_not1_b32 s41, vcc_lo, exec_lo
	s_branch .LBB2_6066
.LBB2_6071:                             ;   in Loop: Header=BB2_3075 Depth=1
	s_or_b32 exec_lo, exec_lo, s25
	s_and_saveexec_b32 s25, s26
	s_delay_alu instid0(SALU_CYCLE_1)
	s_xor_b32 s25, exec_lo, s25
	s_cbranch_execz .LBB2_6073
; %bb.6072:                             ;   in Loop: Header=BB2_3075 Depth=1
	ds_store_b32 v0, v44
	s_trap 2
.LBB2_6073:                             ;   in Loop: Header=BB2_3075 Depth=1
	s_or_b32 exec_lo, exec_lo, s24
	;;#ASMSTART
	s_wakeup
	;;#ASMEND
.LBB2_6074:                             ;   in Loop: Header=BB2_3075 Depth=1
	s_or_b32 exec_lo, exec_lo, s23
.LBB2_6075:                             ;   in Loop: Header=BB2_3075 Depth=1
	s_and_not1_saveexec_b32 s11, s11
	s_cbranch_execz .LBB2_6077
; %bb.6076:                             ;   in Loop: Header=BB2_3075 Depth=1
	global_wb scope:SCOPE_DEV
	s_wait_storecnt 0x0
	s_wait_loadcnt_dscnt 0x0
	global_inv scope:SCOPE_DEV
	s_barrier_signal -1
	s_barrier_wait -1
.LBB2_6077:                             ;   in Loop: Header=BB2_3075 Depth=1
	s_or_b32 exec_lo, exec_lo, s11
.LBB2_6078:                             ;   in Loop: Header=BB2_3075 Depth=1
	s_delay_alu instid0(SALU_CYCLE_1)
	s_or_b32 exec_lo, exec_lo, s7
	s_trap 2
	ds_load_b32 v10, v0
	v_sub_nc_u32_e32 v11, v54, v30
	s_wait_dscnt 0x0
	v_readfirstlane_b32 s7, v10
	v_and_b32_e32 v10, 16, v56
	s_delay_alu instid0(VALU_DEP_3) | instskip(SKIP_1) | instid1(VALU_DEP_2)
	v_min_i32_e32 v11, v55, v11
	s_cmp_eq_u32 s7, 0
	v_cmp_ne_u32_e64 s7, 0, v10
	s_delay_alu instid0(VALU_DEP_2) | instskip(SKIP_1) | instid1(SALU_CYCLE_1)
	v_cmp_lt_i32_e32 vcc_lo, 0, v11
	s_cselect_b32 s11, -1, 0
	s_and_b32 s11, vcc_lo, s11
	s_delay_alu instid0(SALU_CYCLE_1) | instskip(NEXT) | instid1(SALU_CYCLE_1)
	s_and_b32 s11, s7, s11
	s_and_saveexec_b32 s7, s11
	s_cbranch_execz .LBB2_6080
; %bb.6079:                             ;   in Loop: Header=BB2_3075 Depth=1
	global_wb scope:SCOPE_SYS
	s_wait_loadcnt 0x0
	s_wait_storecnt 0x0
	global_inv scope:SCOPE_SYS
.LBB2_6080:                             ;   in Loop: Header=BB2_3075 Depth=1
	s_or_b32 exec_lo, exec_lo, s7
	v_and_b32_e32 v10, 32, v56
	s_mov_b32 s7, exec_lo
	s_delay_alu instid0(VALU_DEP_1)
	v_cmpx_ne_u32_e32 0, v10
	s_cbranch_execz .LBB2_3073
; %bb.6081:                             ;   in Loop: Header=BB2_3075 Depth=1
	v_add_nc_u64_e32 v[8:9], 1, v[8:9]
	global_wb scope:SCOPE_SYS
	s_wait_loadcnt 0x0
	s_wait_storecnt 0x0
	flat_store_b64 v[18:19], v[8:9] scope:SCOPE_SYS
	s_branch .LBB2_3073
.LBB2_6082:
	s_or_b32 exec_lo, exec_lo, s20
.LBB2_6083:
	s_delay_alu instid0(SALU_CYCLE_1)
	s_or_b32 exec_lo, exec_lo, s18
.LBB2_6084:
	s_delay_alu instid0(SALU_CYCLE_1)
	s_or_b32 exec_lo, exec_lo, s17
                                        ; implicit-def: $vgpr14_vgpr15
                                        ; implicit-def: $vgpr4_vgpr5
                                        ; implicit-def: $vgpr32_vgpr33
                                        ; implicit-def: $vgpr20
                                        ; implicit-def: $vgpr26_vgpr27
                                        ; implicit-def: $vgpr22_vgpr23
                                        ; implicit-def: $vgpr18_vgpr19
                                        ; implicit-def: $vgpr0
                                        ; implicit-def: $vgpr30
                                        ; implicit-def: $vgpr28_vgpr29
.LBB2_6085:
	s_and_not1_saveexec_b32 s16, s16
	s_cbranch_execz .LBB2_8035
; %bb.6086:
	v_mov_b64_e32 v[24:25], 0
	s_mov_b32 s17, exec_lo
	v_cmpx_ne_u64_e32 0, v[4:5]
	s_cbranch_execz .LBB2_8034
; %bb.6087:
	v_dual_ashrrev_i32 v21, 31, v20 :: v_dual_bitop2_b32 v10, 31, v31 bitop3:0x40
	v_dual_mov_b32 v35, 0 :: v_dual_bitop2_b32 v100, 31, v0 bitop3:0x40
	v_dual_lshrrev_b32 v101, 5, v0 :: v_dual_lshrrev_b32 v36, 5, v1
	s_delay_alu instid0(VALU_DEP_3) | instskip(NEXT) | instid1(VALU_DEP_3)
	v_cmp_eq_u32_e64 s4, 0, v10
	v_dual_mov_b32 v39, v35 :: v_dual_lshlrev_b32 v10, 4, v100
	v_mov_b32_e32 v49, v35
	s_ashr_i32 s2, s15, 31
	v_cmp_eq_u32_e32 vcc_lo, 32, v1
	s_lshr_b32 s2, s2, 24
	v_lshl_or_b32 v34, v101, 10, v10
	v_mov_b64_e32 v[54:55], 0
	v_cmp_ne_u64_e64 s7, 0, v[32:33]
	v_mov_b64_e32 v[66:67], 0
	v_mov_b64_e32 v[24:25], 0
	;; [unrolled: 1-line block ×3, first 2 shown]
	v_cmp_ge_u32_e64 s1, v0, v1
	s_add_co_i32 s15, s15, s2
	v_cmp_ne_u32_e64 s2, 32, v1
	v_cmp_ne_u32_e64 s3, v1, v57
	v_mov_b32_e32 v37, v35
	v_cmp_eq_u32_e64 s5, 0, v100
	v_cmp_lt_u32_e64 s6, v100, v30
	v_dual_lshlrev_b32 v38, 10, v36 :: v_dual_lshlrev_b32 v48, 9, v36
	v_dual_mov_b32 v51, v35 :: v_dual_lshlrev_b32 v50, 8, v36
	v_and_b32_e32 v52, 0x1fe0, v1
	v_dual_mov_b32 v53, v35 :: v_dual_mov_b32 v102, 1
	v_mov_b32_e32 v103, 0x7f800000
	v_mov_b32_e32 v112, 0x7c
	s_ashr_i32 s15, s15, 8
	s_mov_b64 s[12:13], 0xffffffffffffff
	s_mov_b32 s18, 0
	s_xor_b32 s19, vcc_lo, -1
	s_mov_b32 s20, 0x7f800000
	s_trap 2
	s_branch .LBB2_6091
.LBB2_6088:                             ;   in Loop: Header=BB2_6091 Depth=1
	s_wait_xcnt 0x0
	s_or_b32 exec_lo, exec_lo, s21
	v_add_nc_u64_e32 v[8:9], 1, v[8:9]
	global_wb scope:SCOPE_SYS
	s_wait_storecnt 0x0
	s_wait_loadcnt_dscnt 0x0
	flat_store_b64 v[18:19], v[8:9] scope:SCOPE_SYS
.LBB2_6089:                             ;   in Loop: Header=BB2_6091 Depth=1
	s_wait_xcnt 0x0
	s_or_b32 exec_lo, exec_lo, s10
.LBB2_6090:                             ;   in Loop: Header=BB2_6091 Depth=1
	s_delay_alu instid0(SALU_CYCLE_1) | instskip(SKIP_1) | instid1(VALU_DEP_1)
	s_or_b32 exec_lo, exec_lo, s11
	v_add_nc_u64_e32 v[66:67], v[66:67], v[28:29]
	v_cmp_ge_u64_e32 vcc_lo, v[66:67], v[4:5]
	s_or_b32 s18, vcc_lo, s18
	s_delay_alu instid0(SALU_CYCLE_1)
	s_and_not1_b32 exec_lo, exec_lo, s18
	s_cbranch_execz .LBB2_8033
.LBB2_6091:                             ; =>This Loop Header: Depth=1
                                        ;     Child Loop BB2_6099 Depth 2
                                        ;     Child Loop BB2_6124 Depth 2
	;; [unrolled: 1-line block ×10, first 2 shown]
	v_sub_nc_u64_e32 v[10:11], v[4:5], v[66:67]
	s_delay_alu instid0(VALU_DEP_1) | instskip(NEXT) | instid1(VALU_DEP_1)
	v_min_u64 v[68:69], v[28:29], v[10:11]
	v_add_nc_u32_e32 v10, 15, v68
	s_delay_alu instid0(VALU_DEP_2) | instskip(NEXT) | instid1(VALU_DEP_2)
	v_cmp_eq_u64_e32 vcc_lo, 0, v[68:69]
	v_and_b32_e32 v10, 0x7ffffff0, v10
	s_or_b32 s21, s1, vcc_lo
	s_delay_alu instid0(SALU_CYCLE_1) | instskip(NEXT) | instid1(VALU_DEP_1)
	s_xor_b32 s10, s21, -1
	v_dual_mov_b32 v10, v35 :: v_dual_max_i32 v70, s15, v10
	s_and_saveexec_b32 s22, s10
	s_cbranch_execz .LBB2_7986
; %bb.6092:                             ;   in Loop: Header=BB2_6091 Depth=1
	s_and_saveexec_b32 s10, s0
	s_cbranch_execz .LBB2_6094
; %bb.6093:                             ;   in Loop: Header=BB2_6091 Depth=1
	s_trap 2
	ds_load_b64 v[10:11], v0
	s_wait_dscnt 0x0
	v_add_nc_u64_e32 v[10:11], v[10:11], v[14:15]
	s_delay_alu instid0(VALU_DEP_1)
	v_add_nc_u64_e32 v[10:11], v[10:11], v[66:67]
	ds_store_b64 v0, v[10:11]
	ds_store_b64 v0, v[54:55]
.LBB2_6094:                             ;   in Loop: Header=BB2_6091 Depth=1
	s_or_b32 exec_lo, exec_lo, s10
	v_and_b32_e32 v10, 8, v56
	v_min_u32_e32 v70, v70, v68
	s_mov_b32 s11, exec_lo
	s_delay_alu instid0(VALU_DEP_2)
	v_cmpx_ne_u32_e32 0, v10
	s_cbranch_execz .LBB2_6116
; %bb.6095:                             ;   in Loop: Header=BB2_6091 Depth=1
	s_wait_loadcnt 0x0
	v_add_nc_u64_e32 v[12:13], 8, v[26:27]
	v_add_nc_u64_e32 v[10:11], 1, v[8:9]
	s_mov_b32 s23, exec_lo
	s_delay_alu instid0(VALU_DEP_1)
	v_cmpx_lt_u64_e64 v[12:13], v[10:11]
	s_cbranch_execz .LBB2_6107
; %bb.6096:                             ;   in Loop: Header=BB2_6091 Depth=1
	v_and_b32_e32 v9, 64, v56
	s_mov_b32 s24, 0
	s_mov_b32 s28, 0
                                        ; implicit-def: $sgpr25
                                        ; implicit-def: $sgpr26
                                        ; implicit-def: $sgpr27
	s_delay_alu instid0(VALU_DEP_1)
	v_cmp_eq_u32_e32 vcc_lo, 0, v9
	s_branch .LBB2_6099
.LBB2_6097:                             ;   in Loop: Header=BB2_6099 Depth=2
	s_or_b32 exec_lo, exec_lo, s43
	s_delay_alu instid0(SALU_CYCLE_1)
	s_and_not1_b32 s10, s27, exec_lo
	s_and_b32 s27, s41, exec_lo
	s_and_not1_b32 s26, s26, exec_lo
	s_and_b32 s40, s40, exec_lo
	s_or_b32 s27, s10, s27
	s_or_b32 s26, s26, s40
.LBB2_6098:                             ;   in Loop: Header=BB2_6099 Depth=2
	s_or_b32 exec_lo, exec_lo, s29
	s_delay_alu instid0(SALU_CYCLE_1) | instskip(NEXT) | instid1(SALU_CYCLE_1)
	s_and_b32 s10, exec_lo, s26
	s_or_b32 s24, s10, s24
	s_and_not1_b32 s10, s25, exec_lo
	s_and_b32 s25, s27, exec_lo
	s_delay_alu instid0(SALU_CYCLE_1)
	s_or_b32 s25, s10, s25
	s_and_not1_b32 exec_lo, exec_lo, s24
	s_cbranch_execz .LBB2_6104
.LBB2_6099:                             ;   Parent Loop BB2_6091 Depth=1
                                        ; =>  This Inner Loop Header: Depth=2
	s_sleep 1
	s_wait_loadcnt_dscnt 0x0
	flat_load_b64 v[26:27], v[18:19] scope:SCOPE_SYS
	s_or_b32 s27, s27, exec_lo
	s_or_b32 s26, s26, exec_lo
                                        ; implicit-def: $vgpr9
	s_wait_xcnt 0x0
	s_and_saveexec_b32 s29, vcc_lo
	s_cbranch_execz .LBB2_6098
; %bb.6100:                             ;   in Loop: Header=BB2_6099 Depth=2
	s_cmp_lt_i32 s28, 0x270f
	s_mov_b32 s40, -1
	s_cselect_b32 s42, -1, 0
	s_cmp_gt_i32 s28, 0x270e
	s_cbranch_scc0 .LBB2_6102
; %bb.6101:                             ;   in Loop: Header=BB2_6099 Depth=2
	s_trap 2
	ds_load_b64 v[12:13], v0
	s_and_not1_b32 s28, s42, exec_lo
	s_mov_b32 s41, 0
	s_wait_storecnt 0x0
	s_wait_loadcnt_dscnt 0x0
	flat_load_b32 v9, v[12:13] scope:SCOPE_SYS
	s_wait_loadcnt_dscnt 0x0
	global_inv scope:SCOPE_SYS
	v_cmp_eq_u32_e64 s10, 0, v9
	s_and_b32 s10, s10, exec_lo
	s_delay_alu instid0(SALU_CYCLE_1)
	s_or_b32 s42, s28, s10
	s_mov_b32 s28, 0
	s_and_saveexec_b32 s43, s42
	s_cbranch_execz .LBB2_6097
	s_branch .LBB2_6103
.LBB2_6102:                             ;   in Loop: Header=BB2_6099 Depth=2
	s_add_co_i32 s28, s28, 1
	s_mov_b32 s41, -1
                                        ; implicit-def: $vgpr9
	s_and_saveexec_b32 s43, s42
	s_cbranch_execz .LBB2_6097
.LBB2_6103:                             ;   in Loop: Header=BB2_6099 Depth=2
	s_wait_loadcnt_dscnt 0x0
	v_add_nc_u64_e32 v[12:13], 8, v[26:27]
	s_or_b32 s41, s41, exec_lo
	s_delay_alu instid0(VALU_DEP_1)
	v_cmp_ge_u64_e64 s10, v[12:13], v[10:11]
	s_or_not1_b32 s40, s10, exec_lo
	s_branch .LBB2_6097
.LBB2_6104:                             ;   in Loop: Header=BB2_6091 Depth=1
	s_or_b32 exec_lo, exec_lo, s24
	s_xor_b32 s10, s25, -1
	s_delay_alu instid0(SALU_CYCLE_1) | instskip(NEXT) | instid1(SALU_CYCLE_1)
	s_and_saveexec_b32 s24, s10
	s_xor_b32 s10, exec_lo, s24
	s_cbranch_execz .LBB2_6106
; %bb.6105:                             ;   in Loop: Header=BB2_6091 Depth=1
	v_or_b32_e32 v56, 64, v56
	s_wait_storecnt 0x0
	s_wait_loadcnt_dscnt 0x0
	ds_store_b32 v0, v9
	s_trap 2
.LBB2_6106:                             ;   in Loop: Header=BB2_6091 Depth=1
	s_or_b32 exec_lo, exec_lo, s10
.LBB2_6107:                             ;   in Loop: Header=BB2_6091 Depth=1
	s_delay_alu instid0(SALU_CYCLE_1) | instskip(SKIP_4) | instid1(VALU_DEP_2)
	s_or_b32 exec_lo, exec_lo, s23
	v_and_b32_e32 v9, 0x100, v56
	v_and_b32_e32 v34, 7, v8
	s_mov_b32 s10, -1
	;;#ASMSTART
	s_wakeup
	;;#ASMEND
	v_cmp_ne_u32_e32 vcc_lo, 0, v9
                                        ; implicit-def: $vgpr8_vgpr9
	s_and_saveexec_b32 s23, vcc_lo
	s_cbranch_execz .LBB2_6111
; %bb.6108:                             ;   in Loop: Header=BB2_6091 Depth=1
	v_mad_nc_u64_u32 v[12:13], v34, 24, v[6:7]
	v_mov_b32_e32 v71, v35
	s_clause 0x1
	flat_load_b32 v8, v[12:13]
	flat_store_b64 v[12:13], v[70:71] offset:8
	s_wait_loadcnt_dscnt 0x1
	v_cmp_eq_u32_e64 s10, 1, v8
	v_cmp_ne_u32_e32 vcc_lo, 1, v8
                                        ; implicit-def: $vgpr8_vgpr9
	s_wait_xcnt 0x0
	s_and_saveexec_b32 s24, s10
	s_cbranch_execz .LBB2_6110
; %bb.6109:                             ;   in Loop: Header=BB2_6091 Depth=1
	flat_load_b32 v8, v[12:13] offset:4 scope:SCOPE_SYS
	s_wait_loadcnt_dscnt 0x0
	v_ashrrev_i32_e32 v9, 31, v8
.LBB2_6110:                             ;   in Loop: Header=BB2_6091 Depth=1
	s_wait_xcnt 0x0
	s_or_b32 exec_lo, exec_lo, s24
	s_delay_alu instid0(SALU_CYCLE_1)
	s_or_not1_b32 s10, vcc_lo, exec_lo
.LBB2_6111:                             ;   in Loop: Header=BB2_6091 Depth=1
	s_or_b32 exec_lo, exec_lo, s23
	s_and_saveexec_b32 s23, s10
; %bb.6112:                             ;   in Loop: Header=BB2_6091 Depth=1
	v_mul_u64_e32 v[8:9], v[34:35], v[20:21]
; %bb.6113:                             ;   in Loop: Header=BB2_6091 Depth=1
	s_or_b32 exec_lo, exec_lo, s23
	s_delay_alu instid0(VALU_DEP_1)
	v_add_nc_u64_e32 v[8:9], v[22:23], v[8:9]
	v_and_b32_e32 v12, 0x2000, v56
	s_mov_b32 s10, exec_lo
	ds_store_b64 v0, v[8:9] offset:784
	v_cmpx_ne_u32_e32 0, v12
	s_cbranch_execz .LBB2_6115
; %bb.6114:                             ;   in Loop: Header=BB2_6091 Depth=1
	ds_load_b64 v[8:9], v0 offset:872
	s_wait_dscnt 0x0
	v_add_nc_u64_e32 v[8:9], 1, v[8:9]
	ds_store_b64 v0, v[8:9] offset:872
.LBB2_6115:                             ;   in Loop: Header=BB2_6091 Depth=1
	s_or_b32 exec_lo, exec_lo, s10
	v_mov_b64_e32 v[8:9], v[10:11]
.LBB2_6116:                             ;   in Loop: Header=BB2_6091 Depth=1
	s_or_b32 exec_lo, exec_lo, s11
	s_and_saveexec_b32 s10, s2
	s_cbranch_execz .LBB2_6135
; %bb.6117:                             ;   in Loop: Header=BB2_6091 Depth=1
	s_and_saveexec_b32 s11, s3
	s_delay_alu instid0(SALU_CYCLE_1)
	s_xor_b32 s11, exec_lo, s11
	s_cbranch_execz .LBB2_6132
; %bb.6118:                             ;   in Loop: Header=BB2_6091 Depth=1
	s_and_saveexec_b32 s23, s4
	s_cbranch_execz .LBB2_6131
; %bb.6119:                             ;   in Loop: Header=BB2_6091 Depth=1
	s_mov_b32 s25, exec_lo
	s_mov_b32 s24, exec_lo
	v_mbcnt_lo_u32_b32 v10, s25, 0
	global_wb scope:SCOPE_DEV
	s_wait_storecnt 0x0
	s_wait_loadcnt_dscnt 0x0
	global_inv scope:SCOPE_DEV
	v_cmpx_eq_u32_e32 0, v10
	s_cbranch_execz .LBB2_6121
; %bb.6120:                             ;   in Loop: Header=BB2_6091 Depth=1
	s_bcnt1_i32_b32 s25, s25
	s_delay_alu instid0(SALU_CYCLE_1)
	v_mov_b32_e32 v34, s25
	s_wait_loadcnt 0x0
	ds_add_u64 v0, v[34:35]
	s_trap 2
.LBB2_6121:                             ;   in Loop: Header=BB2_6091 Depth=1
	s_or_b32 exec_lo, exec_lo, s24
	s_trap 2
	ds_load_b64 v[10:11], v0
	s_wait_dscnt 0x0
	v_add_nc_u64_e32 v[24:25], v[24:25], v[36:37]
	s_mov_b32 s24, exec_lo
	s_delay_alu instid0(VALU_DEP_1)
	v_cmpx_lt_u64_e64 v[10:11], v[24:25]
	s_cbranch_execz .LBB2_6130
; %bb.6122:                             ;   in Loop: Header=BB2_6091 Depth=1
	s_mov_b32 s25, 0
	s_mov_b32 s28, 0
                                        ; implicit-def: $sgpr26
                                        ; implicit-def: $sgpr27
	s_branch .LBB2_6124
.LBB2_6123:                             ;   in Loop: Header=BB2_6124 Depth=2
	s_or_b32 exec_lo, exec_lo, s40
	s_delay_alu instid0(SALU_CYCLE_1) | instskip(NEXT) | instid1(SALU_CYCLE_1)
	s_and_b32 s29, exec_lo, s41
	s_or_b32 s25, s29, s25
	s_and_not1_b32 s26, s26, exec_lo
	s_and_b32 s29, s27, exec_lo
	s_delay_alu instid0(SALU_CYCLE_1)
	s_or_b32 s26, s26, s29
	s_and_not1_b32 exec_lo, exec_lo, s25
	s_cbranch_execz .LBB2_6128
.LBB2_6124:                             ;   Parent Loop BB2_6091 Depth=1
                                        ; =>  This Inner Loop Header: Depth=2
	s_add_co_i32 s28, s28, 1
	s_delay_alu instid0(SALU_CYCLE_1) | instskip(SKIP_1) | instid1(SALU_CYCLE_1)
	s_cmp_lg_u32 s28, 0x2710
	s_cselect_b32 s29, -1, 0
	s_and_b32 vcc_lo, exec_lo, s29
	s_cbranch_vccz .LBB2_6126
; %bb.6125:                             ;   in Loop: Header=BB2_6124 Depth=2
	s_mov_b32 s41, -1
	s_or_b32 s27, s27, exec_lo
	s_and_saveexec_b32 s40, s29
	s_cbranch_execz .LBB2_6123
	s_branch .LBB2_6127
.LBB2_6126:                             ;   in Loop: Header=BB2_6124 Depth=2
	s_trap 2
	ds_load_b64 v[10:11], v0
	s_and_not1_b32 s29, s29, exec_lo
	s_mov_b32 s28, 0
	s_wait_loadcnt_dscnt 0x0
	flat_load_b32 v10, v[10:11] scope:SCOPE_SYS
	s_wait_loadcnt_dscnt 0x0
	global_inv scope:SCOPE_SYS
	v_cmp_eq_u32_e32 vcc_lo, 0, v10
	s_and_b32 s40, vcc_lo, exec_lo
	s_delay_alu instid0(SALU_CYCLE_1)
	s_or_b32 s29, s29, s40
	s_mov_b32 s41, -1
	s_or_b32 s27, s27, exec_lo
	s_and_saveexec_b32 s40, s29
	s_cbranch_execz .LBB2_6123
.LBB2_6127:                             ;   in Loop: Header=BB2_6124 Depth=2
	s_sleep 1
	s_trap 2
	ds_load_b64 v[10:11], v0
	s_wait_dscnt 0x0
	s_and_not1_b32 s27, s27, exec_lo
	v_cmp_ge_u64_e32 vcc_lo, v[10:11], v[24:25]
	s_or_not1_b32 s41, vcc_lo, exec_lo
	s_branch .LBB2_6123
.LBB2_6128:                             ;   in Loop: Header=BB2_6091 Depth=1
	s_or_b32 exec_lo, exec_lo, s25
	s_and_saveexec_b32 s25, s26
	s_delay_alu instid0(SALU_CYCLE_1)
	s_xor_b32 s25, exec_lo, s25
	s_cbranch_execz .LBB2_6130
; %bb.6129:                             ;   in Loop: Header=BB2_6091 Depth=1
	ds_store_b32 v0, v102
	s_trap 2
.LBB2_6130:                             ;   in Loop: Header=BB2_6091 Depth=1
	s_or_b32 exec_lo, exec_lo, s24
	;;#ASMSTART
	s_wakeup
	;;#ASMEND
.LBB2_6131:                             ;   in Loop: Header=BB2_6091 Depth=1
	s_or_b32 exec_lo, exec_lo, s23
.LBB2_6132:                             ;   in Loop: Header=BB2_6091 Depth=1
	s_and_not1_saveexec_b32 s11, s11
	s_cbranch_execz .LBB2_6134
; %bb.6133:                             ;   in Loop: Header=BB2_6091 Depth=1
	global_wb scope:SCOPE_DEV
	s_wait_storecnt 0x0
	s_wait_loadcnt_dscnt 0x0
	global_inv scope:SCOPE_DEV
	s_barrier_signal -1
	s_barrier_wait -1
.LBB2_6134:                             ;   in Loop: Header=BB2_6091 Depth=1
	s_or_b32 exec_lo, exec_lo, s11
.LBB2_6135:                             ;   in Loop: Header=BB2_6091 Depth=1
	s_delay_alu instid0(SALU_CYCLE_1) | instskip(SKIP_3) | instid1(VALU_DEP_1)
	s_or_b32 exec_lo, exec_lo, s10
	s_trap 2
	ds_load_b32 v10, v0
	v_and_b32_e32 v11, 0x4000, v56
	v_cmp_ne_u32_e32 vcc_lo, 0, v11
	s_and_b32 s11, s19, vcc_lo
	s_delay_alu instid0(SALU_CYCLE_1)
	s_and_saveexec_b32 s10, s11
	s_cbranch_execz .LBB2_6154
; %bb.6136:                             ;   in Loop: Header=BB2_6091 Depth=1
	s_and_saveexec_b32 s11, s3
	s_delay_alu instid0(SALU_CYCLE_1)
	s_xor_b32 s11, exec_lo, s11
	s_cbranch_execz .LBB2_6151
; %bb.6137:                             ;   in Loop: Header=BB2_6091 Depth=1
	s_and_saveexec_b32 s23, s4
	s_cbranch_execz .LBB2_6150
; %bb.6138:                             ;   in Loop: Header=BB2_6091 Depth=1
	s_mov_b32 s25, exec_lo
	s_mov_b32 s24, exec_lo
	v_mbcnt_lo_u32_b32 v11, s25, 0
	global_wb scope:SCOPE_DEV
	s_wait_storecnt 0x0
	s_wait_loadcnt_dscnt 0x0
	global_inv scope:SCOPE_DEV
	v_cmpx_eq_u32_e32 0, v11
	s_cbranch_execz .LBB2_6140
; %bb.6139:                             ;   in Loop: Header=BB2_6091 Depth=1
	s_bcnt1_i32_b32 s25, s25
	s_delay_alu instid0(SALU_CYCLE_1)
	v_mov_b32_e32 v34, s25
	s_wait_loadcnt 0x0
	ds_add_u64 v0, v[34:35]
	s_trap 2
.LBB2_6140:                             ;   in Loop: Header=BB2_6091 Depth=1
	s_or_b32 exec_lo, exec_lo, s24
	s_trap 2
	ds_load_b64 v[12:13], v0
	s_wait_dscnt 0x0
	v_add_nc_u64_e32 v[24:25], v[24:25], v[36:37]
	s_mov_b32 s24, exec_lo
	s_delay_alu instid0(VALU_DEP_1)
	v_cmpx_lt_u64_e64 v[12:13], v[24:25]
	s_cbranch_execz .LBB2_6149
; %bb.6141:                             ;   in Loop: Header=BB2_6091 Depth=1
	s_mov_b32 s25, 0
	s_mov_b32 s28, 0
                                        ; implicit-def: $sgpr26
                                        ; implicit-def: $sgpr27
	s_branch .LBB2_6143
.LBB2_6142:                             ;   in Loop: Header=BB2_6143 Depth=2
	s_or_b32 exec_lo, exec_lo, s40
	s_delay_alu instid0(SALU_CYCLE_1) | instskip(NEXT) | instid1(SALU_CYCLE_1)
	s_and_b32 s29, exec_lo, s41
	s_or_b32 s25, s29, s25
	s_and_not1_b32 s26, s26, exec_lo
	s_and_b32 s29, s27, exec_lo
	s_delay_alu instid0(SALU_CYCLE_1)
	s_or_b32 s26, s26, s29
	s_and_not1_b32 exec_lo, exec_lo, s25
	s_cbranch_execz .LBB2_6147
.LBB2_6143:                             ;   Parent Loop BB2_6091 Depth=1
                                        ; =>  This Inner Loop Header: Depth=2
	s_add_co_i32 s28, s28, 1
	s_delay_alu instid0(SALU_CYCLE_1) | instskip(SKIP_1) | instid1(SALU_CYCLE_1)
	s_cmp_lg_u32 s28, 0x2710
	s_cselect_b32 s29, -1, 0
	s_and_b32 vcc_lo, exec_lo, s29
	s_cbranch_vccz .LBB2_6145
; %bb.6144:                             ;   in Loop: Header=BB2_6143 Depth=2
	s_mov_b32 s41, -1
	s_or_b32 s27, s27, exec_lo
	s_and_saveexec_b32 s40, s29
	s_cbranch_execz .LBB2_6142
	s_branch .LBB2_6146
.LBB2_6145:                             ;   in Loop: Header=BB2_6143 Depth=2
	s_trap 2
	ds_load_b64 v[12:13], v0
	s_and_not1_b32 s29, s29, exec_lo
	s_mov_b32 s28, 0
	s_wait_loadcnt_dscnt 0x0
	flat_load_b32 v11, v[12:13] scope:SCOPE_SYS
	s_wait_loadcnt_dscnt 0x0
	global_inv scope:SCOPE_SYS
	v_cmp_eq_u32_e32 vcc_lo, 0, v11
	s_and_b32 s40, vcc_lo, exec_lo
	s_delay_alu instid0(SALU_CYCLE_1)
	s_or_b32 s29, s29, s40
	s_mov_b32 s41, -1
	s_or_b32 s27, s27, exec_lo
	s_and_saveexec_b32 s40, s29
	s_cbranch_execz .LBB2_6142
.LBB2_6146:                             ;   in Loop: Header=BB2_6143 Depth=2
	s_sleep 1
	s_trap 2
	ds_load_b64 v[12:13], v0
	s_wait_dscnt 0x0
	s_and_not1_b32 s27, s27, exec_lo
	v_cmp_ge_u64_e32 vcc_lo, v[12:13], v[24:25]
	s_or_not1_b32 s41, vcc_lo, exec_lo
	s_branch .LBB2_6142
.LBB2_6147:                             ;   in Loop: Header=BB2_6091 Depth=1
	s_or_b32 exec_lo, exec_lo, s25
	s_and_saveexec_b32 s25, s26
	s_delay_alu instid0(SALU_CYCLE_1)
	s_xor_b32 s25, exec_lo, s25
	s_cbranch_execz .LBB2_6149
; %bb.6148:                             ;   in Loop: Header=BB2_6091 Depth=1
	ds_store_b32 v0, v102
	s_trap 2
.LBB2_6149:                             ;   in Loop: Header=BB2_6091 Depth=1
	s_or_b32 exec_lo, exec_lo, s24
	;;#ASMSTART
	s_wakeup
	;;#ASMEND
.LBB2_6150:                             ;   in Loop: Header=BB2_6091 Depth=1
	s_or_b32 exec_lo, exec_lo, s23
.LBB2_6151:                             ;   in Loop: Header=BB2_6091 Depth=1
	s_and_not1_saveexec_b32 s11, s11
	s_cbranch_execz .LBB2_6153
; %bb.6152:                             ;   in Loop: Header=BB2_6091 Depth=1
	global_wb scope:SCOPE_DEV
	s_wait_storecnt 0x0
	s_wait_loadcnt_dscnt 0x0
	global_inv scope:SCOPE_DEV
	s_barrier_signal -1
	s_barrier_wait -1
.LBB2_6153:                             ;   in Loop: Header=BB2_6091 Depth=1
	s_or_b32 exec_lo, exec_lo, s11
.LBB2_6154:                             ;   in Loop: Header=BB2_6091 Depth=1
	s_delay_alu instid0(SALU_CYCLE_1)
	s_or_b32 exec_lo, exec_lo, s10
	s_trap 2
	ds_load_b64 v[80:81], v0
	s_wait_dscnt 0x0
	v_cmp_eq_u64_e32 vcc_lo, 0, v[80:81]
	s_cbranch_vccnz .LBB2_6162
; %bb.6155:                             ;   in Loop: Header=BB2_6091 Depth=1
	s_trap 2
	ds_load_b64 v[82:83], v0
	s_wait_dscnt 0x0
	v_cmp_eq_u64_e32 vcc_lo, 0, v[82:83]
	s_cbranch_vccnz .LBB2_6162
; %bb.6156:                             ;   in Loop: Header=BB2_6091 Depth=1
	s_mov_b32 s10, -1
	s_and_saveexec_b32 s11, s5
	s_cbranch_execz .LBB2_6158
; %bb.6157:                             ;   in Loop: Header=BB2_6091 Depth=1
	ds_load_b32 v11, v0 offset:720
	s_wait_dscnt 0x0
	v_and_b32_e32 v11, 15, v11
	s_delay_alu instid0(VALU_DEP_1)
	v_cmp_eq_u32_e32 vcc_lo, 0, v11
	s_or_not1_b32 s10, vcc_lo, exec_lo
.LBB2_6158:                             ;   in Loop: Header=BB2_6091 Depth=1
	s_or_b32 exec_lo, exec_lo, s11
	s_and_saveexec_b32 s11, s6
	s_cbranch_execz .LBB2_6160
; %bb.6159:                             ;   in Loop: Header=BB2_6091 Depth=1
	ds_load_b32 v11, v0 offset:784
	s_wait_dscnt 0x0
	v_and_b32_e32 v11, 15, v11
	s_delay_alu instid0(VALU_DEP_1) | instskip(SKIP_3) | instid1(SALU_CYCLE_1)
	v_cmp_eq_u32_e32 vcc_lo, 0, v11
	s_and_b32 s23, s10, vcc_lo
	s_and_not1_b32 s10, s10, exec_lo
	s_and_b32 s23, s23, exec_lo
	s_or_b32 s10, s10, s23
.LBB2_6160:                             ;   in Loop: Header=BB2_6091 Depth=1
	s_or_b32 exec_lo, exec_lo, s11
	v_cmp_eq_u32_e32 vcc_lo, 0, v10
	s_xor_b32 s10, s10, -1
	v_mov_b32_e32 v30, 0
	v_cndmask_b32_e64 v11, 0, 1, s10
	s_mov_b32 s10, -1
	v_dual_cndmask_b32 v69, 0, v70, vcc_lo :: v_dual_mov_b32 v97, v0
	s_delay_alu instid0(VALU_DEP_2) | instskip(NEXT) | instid1(VALU_DEP_2)
	v_cmp_ne_u32_e32 vcc_lo, 0, v11
	v_mov_b32_e32 v96, v69
	s_cbranch_vccz .LBB2_6163
; %bb.6161:                             ;   in Loop: Header=BB2_6091 Depth=1
	s_and_saveexec_b32 s23, s10
	s_cbranch_execnz .LBB2_7630
	s_branch .LBB2_7960
.LBB2_6162:                             ;   in Loop: Header=BB2_6091 Depth=1
	s_mov_b32 s10, 0
	s_and_saveexec_b32 s11, s2
	s_cbranch_execnz .LBB2_7961
	s_branch .LBB2_7979
.LBB2_6163:                             ;   in Loop: Header=BB2_6091 Depth=1
	v_lshrrev_b32_e32 v10, 10, v69
	s_mov_b32 s11, exec_lo
	s_delay_alu instid0(VALU_DEP_1) | instskip(NEXT) | instid1(VALU_DEP_1)
	v_sub_nc_u32_e32 v71, v10, v101
	v_cmpx_lt_i32_e32 0, v71
	s_cbranch_execz .LBB2_7135
; %bb.6164:                             ;   in Loop: Header=BB2_6091 Depth=1
	s_trap 2
	ds_load_b64 v[10:11], v0
	v_mov_b64_e32 v[84:85], v[64:65]
	s_wait_dscnt 0x0
	v_readfirstlane_b32 s24, v10
	v_readfirstlane_b32 s25, v11
	s_and_b32 s23, s24, 3
	s_bfe_i32 s10, s24, 0x80000
	s_clz_i32_u32 s28, s23
	s_bfe_u32 s26, s24, 0x50002
	s_min_u32 s28, s28, 32
	s_and_b32 s27, s24, 0x7c
	s_sub_co_i32 s41, s28, 29
	s_lshl_b32 s29, s24, 24
	s_sext_i32_i8 s40, s24
	s_lshl_b64 s[24:25], s[24:25], s41
	s_and_b32 s29, s29, 0x80000000
	s_sub_co_i32 s25, 30, s28
	s_and_b32 s24, s24, 3
	s_cmp_gt_i32 s40, -1
	s_cselect_b32 s28, s20, 0xff800000
	s_cmp_eq_u32 s23, 0
	s_cselect_b32 s28, s28, 0x7f800001
	s_cmp_eq_u32 s26, 0
	s_cselect_b32 s25, s25, s26
	s_cselect_b32 s23, s24, s23
	s_lshl_b32 s24, s25, 23
	s_lshl_b32 s23, s23, 21
	s_add_co_i32 s24, s24, s29
	s_delay_alu instid0(SALU_CYCLE_1)
	s_or_b32 s23, s24, s23
	s_mov_b32 s24, 0
	s_add_co_i32 s23, s23, 0x38000000
	s_cmp_eq_u32 s27, 0x7c
	s_cselect_b32 s23, s28, s23
	s_and_b32 s25, s10, 0xff
	s_delay_alu instid0(SALU_CYCLE_1)
	s_and_b32 s26, 0xffff, s25
	s_branch .LBB2_6167
.LBB2_6165:                             ;   in Loop: Header=BB2_6167 Depth=2
	s_or_b32 exec_lo, exec_lo, s27
.LBB2_6166:                             ;   in Loop: Header=BB2_6167 Depth=2
	s_delay_alu instid0(SALU_CYCLE_1)
	s_or_b32 exec_lo, exec_lo, s10
	v_lshl_or_b32 v11, v118, 8, v117
	v_dual_lshlrev_b32 v12, 16, v98 :: v_dual_lshlrev_b32 v13, 24, v99
	v_lshl_or_b32 v34, v114, 8, v113
	v_dual_lshlrev_b32 v87, 16, v115 :: v_dual_lshlrev_b32 v98, 24, v42
	v_dual_lshlrev_b32 v99, 24, v46 :: v_dual_lshlrev_b32 v113, 16, v45
	s_delay_alu instid0(VALU_DEP_4)
	v_or3_b32 v115, v11, v12, v13
	v_lshlrev_b32_e32 v11, 24, v116
	v_lshl_or_b32 v12, v40, 8, v119
	v_lshlrev_b32_e32 v13, 16, v41
	v_lshl_or_b32 v117, v44, 8, v43
	v_lshl_or_b32 v118, v62, 8, v61
	v_dual_lshlrev_b32 v96, 16, v96 :: v_dual_lshlrev_b32 v30, 24, v30
	v_or3_b32 v114, v34, v87, v11
	v_lshl_or_b32 v34, v63, 8, v97
	v_dual_lshlrev_b32 v97, 24, v10 :: v_dual_sub_nc_u32 v71, v71, v36
	v_or3_b32 v116, v12, v13, v98
	v_or3_b32 v117, v117, v113, v99
	;; [unrolled: 1-line block ×3, first 2 shown]
	v_lshl_or_b32 v12, v58, 8, v47
	v_dual_lshlrev_b32 v13, 16, v59 :: v_dual_lshlrev_b32 v30, 24, v60
	v_dual_lshlrev_b32 v87, 16, v72 :: v_dual_lshlrev_b32 v96, 24, v73
	v_lshlrev_b32_e32 v86, 16, v86
	v_lshl_or_b32 v113, v75, 8, v74
	v_add_nc_u64_e32 v[98:99], v[82:83], v[84:85]
	v_cmp_gt_i32_e32 vcc_lo, 1, v71
	v_add_nc_u64_e32 v[84:85], v[84:85], v[38:39]
	v_or3_b32 v10, v12, v13, v30
	v_or3_b32 v12, v34, v87, v96
	;; [unrolled: 1-line block ×3, first 2 shown]
	s_or_b32 s24, vcc_lo, s24
	s_clause 0x1
	global_store_b128 v[98:99], v[114:117], off th:TH_STORE_NT
	global_store_b128 v[98:99], v[10:13], off offset:512 th:TH_STORE_NT
	s_wait_xcnt 0x0
	s_and_not1_b32 exec_lo, exec_lo, s24
	s_cbranch_execz .LBB2_7134
.LBB2_6167:                             ;   Parent Loop BB2_6091 Depth=1
                                        ; =>  This Inner Loop Header: Depth=2
	s_cmp_lt_i32 s25, 0x80
	s_cbranch_scc1 .LBB2_6171
; %bb.6168:                             ;   in Loop: Header=BB2_6167 Depth=2
	s_cmp_eq_u32 s26, 0x80
	s_mov_b32 s10, -1
	s_cbranch_scc0 .LBB2_6170
; %bb.6169:                             ;   in Loop: Header=BB2_6167 Depth=2
	s_mov_b32 s10, 0
.LBB2_6170:                             ;   in Loop: Header=BB2_6167 Depth=2
	s_brev_b32 s27, 1
	s_branch .LBB2_6173
.LBB2_6171:                             ;   in Loop: Header=BB2_6167 Depth=2
	s_mov_b32 s10, 0
	s_brev_b32 s27, 1
	s_cbranch_execz .LBB2_6173
; %bb.6172:                             ;   in Loop: Header=BB2_6167 Depth=2
	s_cmp_lg_u32 s26, 0
	s_mov_b32 s27, 0
	s_cselect_b32 s10, -1, 0
.LBB2_6173:                             ;   in Loop: Header=BB2_6167 Depth=2
	s_delay_alu instid0(SALU_CYCLE_1)
	s_and_not1_b32 vcc_lo, exec_lo, s10
	s_cbranch_vccnz .LBB2_6175
; %bb.6174:                             ;   in Loop: Header=BB2_6167 Depth=2
	s_mov_b32 s27, s23
.LBB2_6175:                             ;   in Loop: Header=BB2_6167 Depth=2
	v_add_nc_u64_e32 v[86:87], v[80:81], v[84:85]
	global_load_b128 v[10:13], v[86:87], off th:TH_LOAD_NT
	s_wait_loadcnt 0x0
	v_and_b32_e32 v30, 0xff, v10
	s_delay_alu instid0(VALU_DEP_1)
	v_cmp_ne_u16_e32 vcc_lo, 0, v30
	v_mov_b32_e32 v30, 0
	s_wait_xcnt 0x0
	s_and_saveexec_b32 s10, vcc_lo
	s_cbranch_execz .LBB2_6185
; %bb.6176:                             ;   in Loop: Header=BB2_6167 Depth=2
	v_bfe_i32 v96, v10, 0, 8
	v_bfrev_b32_e32 v30, 1
	s_mov_b32 s28, exec_lo
	s_delay_alu instid0(VALU_DEP_2)
	v_cmpx_ne_u16_e32 0xff80, v96
	s_cbranch_execz .LBB2_6184
; %bb.6177:                             ;   in Loop: Header=BB2_6167 Depth=2
	v_and_b32_e32 v30, 0x7c, v10
	v_and_b32_e32 v34, 3, v10
	s_delay_alu instid0(VALU_DEP_2) | instskip(SKIP_1) | instid1(SALU_CYCLE_1)
	v_cmp_ne_u32_e32 vcc_lo, 0x7c, v30
                                        ; implicit-def: $vgpr30
	s_and_saveexec_b32 s29, vcc_lo
	s_xor_b32 s29, exec_lo, s29
	s_cbranch_execz .LBB2_6181
; %bb.6178:                             ;   in Loop: Header=BB2_6167 Depth=2
	v_bfe_u32 v30, v10, 2, 5
	s_mov_b32 s40, exec_lo
	s_delay_alu instid0(VALU_DEP_1)
	v_cmpx_eq_u32_e32 0, v30
; %bb.6179:                             ;   in Loop: Header=BB2_6167 Depth=2
	v_clz_i32_u32_e32 v30, v34
	s_delay_alu instid0(VALU_DEP_1) | instskip(NEXT) | instid1(VALU_DEP_1)
	v_min_u32_e32 v30, 32, v30
	v_subrev_nc_u32_e32 v34, 29, v30
	s_delay_alu instid0(VALU_DEP_1) | instskip(NEXT) | instid1(VALU_DEP_1)
	v_lshlrev_b64_e32 v[96:97], v34, v[10:11]
	v_dual_sub_nc_u32 v30, 30, v30 :: v_dual_bitop2_b32 v34, 3, v96 bitop3:0x40
; %bb.6180:                             ;   in Loop: Header=BB2_6167 Depth=2
	s_or_b32 exec_lo, exec_lo, s40
	v_lshlrev_b32_e32 v96, 24, v10
	s_delay_alu instid0(VALU_DEP_1) | instskip(NEXT) | instid1(VALU_DEP_1)
	v_and_b32_e32 v96, 0x80000000, v96
	v_lshl_add_u32 v30, v30, 23, v96
                                        ; implicit-def: $vgpr96
	s_delay_alu instid0(VALU_DEP_1) | instskip(NEXT) | instid1(VALU_DEP_1)
	v_lshl_or_b32 v30, v34, 21, v30
                                        ; implicit-def: $vgpr34
	v_add_nc_u32_e32 v30, 0x38000000, v30
.LBB2_6181:                             ;   in Loop: Header=BB2_6167 Depth=2
	s_and_not1_saveexec_b32 s29, s29
; %bb.6182:                             ;   in Loop: Header=BB2_6167 Depth=2
	v_cmp_lt_i16_e32 vcc_lo, -1, v96
	v_cndmask_b32_e32 v30, 0xff800000, v103, vcc_lo
	v_cmp_eq_u32_e32 vcc_lo, 0, v34
	s_delay_alu instid0(VALU_DEP_2)
	v_cndmask_b32_e32 v30, 0x7f800001, v30, vcc_lo
; %bb.6183:                             ;   in Loop: Header=BB2_6167 Depth=2
	s_or_b32 exec_lo, exec_lo, s29
.LBB2_6184:                             ;   in Loop: Header=BB2_6167 Depth=2
	s_delay_alu instid0(SALU_CYCLE_1)
	s_or_b32 exec_lo, exec_lo, s28
.LBB2_6185:                             ;   in Loop: Header=BB2_6167 Depth=2
	s_delay_alu instid0(SALU_CYCLE_1) | instskip(NEXT) | instid1(VALU_DEP_1)
	s_or_b32 exec_lo, exec_lo, s10
	v_dual_mul_f32 v96, s27, v30 :: v_dual_mov_b32 v99, v35
                                        ; implicit-def: $vgpr113
	s_mov_b32 s10, exec_lo
	s_delay_alu instid0(VALU_DEP_1) | instskip(SKIP_2) | instid1(VALU_DEP_3)
	v_and_b32_e32 v98, 0x7f800000, v96
	v_and_b32_e32 v34, 0x7fffff, v96
	v_lshrrev_b32_e32 v30, 24, v96
	v_cmpx_ne_u64_e32 0x7f800000, v[98:99]
	s_xor_b32 s28, exec_lo, s10
	s_cbranch_execz .LBB2_6199
; %bb.6186:                             ;   in Loop: Header=BB2_6167 Depth=2
	v_and_b32_e32 v98, 0x7fffffff, v96
	v_mov_b32_e32 v99, v35
	v_and_b32_e32 v30, 0x80, v30
                                        ; implicit-def: $vgpr113
	s_mov_b32 s10, exec_lo
	s_delay_alu instid0(VALU_DEP_2)
	v_cmpx_gt_u64_e32 0x47600001, v[98:99]
	s_xor_b32 s29, exec_lo, s10
	s_cbranch_execz .LBB2_6196
; %bb.6187:                             ;   in Loop: Header=BB2_6167 Depth=2
	v_mov_b32_e32 v113, 0
	s_mov_b32 s40, exec_lo
	v_cmpx_ne_u32_e32 0, v96
	s_cbranch_execz .LBB2_6195
; %bb.6188:                             ;   in Loop: Header=BB2_6167 Depth=2
	v_bfe_u32 v113, v96, 23, 8
	v_or_b32_e32 v98, 0x800000, v34
	s_delay_alu instid0(VALU_DEP_2) | instskip(SKIP_1) | instid1(VALU_DEP_2)
	v_sub_nc_u32_e32 v96, 0x71, v113
	v_cmp_gt_u32_e32 vcc_lo, 0x72, v113
	v_cndmask_b32_e32 v96, 0, v96, vcc_lo
	v_cmp_eq_u32_e32 vcc_lo, 0, v113
	s_delay_alu instid0(VALU_DEP_2) | instskip(SKIP_1) | instid1(VALU_DEP_2)
	v_cndmask_b32_e64 v114, v96, 0x70, vcc_lo
	v_cndmask_b32_e32 v34, v98, v34, vcc_lo
	v_dual_add_nc_u32 v96, 21, v114 :: v_dual_add_nc_u32 v99, 20, v114
	s_delay_alu instid0(VALU_DEP_1) | instskip(NEXT) | instid1(VALU_DEP_2)
	v_lshlrev_b64_e64 v[96:97], v96, -1
	v_lshlrev_b64_e64 v[98:99], v99, 1
	s_delay_alu instid0(VALU_DEP_2) | instskip(NEXT) | instid1(VALU_DEP_3)
	v_bfi_b32 v117, v97, 0, 0
	v_bfi_b32 v116, v96, 0, v34
	v_lshrrev_b64 v[96:97], v114, v[34:35]
	s_delay_alu instid0(VALU_DEP_2) | instskip(NEXT) | instid1(VALU_DEP_2)
	v_cmp_eq_u64_e64 s10, v[116:117], v[98:99]
	v_mov_b64_e32 v[98:99], v[96:97]
	s_and_saveexec_b32 s41, s10
; %bb.6189:                             ;   in Loop: Header=BB2_6167 Depth=2
	v_bfe_u32 v34, v96, 21, 1
	s_delay_alu instid0(VALU_DEP_1) | instskip(NEXT) | instid1(VALU_DEP_1)
	v_add_nc_u64_e32 v[98:99], v[96:97], v[34:35]
	v_add_nc_u64_e32 v[98:99], -1, v[98:99]
; %bb.6190:                             ;   in Loop: Header=BB2_6167 Depth=2
	s_or_b32 exec_lo, exec_lo, s41
	v_add_nc_u32_e32 v34, 0xffffff81, v113
	v_lshrrev_b32_e32 v97, 23, v96
	s_mov_b32 s10, exec_lo
	s_delay_alu instid0(VALU_DEP_2) | instskip(NEXT) | instid1(VALU_DEP_1)
	v_cndmask_b32_e64 v34, v34, 0xffffff82, vcc_lo
	v_add3_u32 v99, v114, v34, v97
	v_and_b32_e32 v34, 0x1fffff, v98
                                        ; implicit-def: $vgpr98
	s_delay_alu instid0(VALU_DEP_1) | instskip(NEXT) | instid1(VALU_DEP_1)
	v_dual_add_nc_u32 v113, 14, v99 :: v_dual_add_nc_u32 v34, v34, v96
                                        ; implicit-def: $vgpr96_vgpr97
	v_cmpx_ne_u32_e32 0, v113
	s_xor_b32 s10, exec_lo, s10
; %bb.6191:                             ;   in Loop: Header=BB2_6167 Depth=2
	s_delay_alu instid0(VALU_DEP_2) | instskip(SKIP_1) | instid1(VALU_DEP_1)
	v_cmp_lt_u64_e32 vcc_lo, 0xffffff, v[34:35]
	v_add_nc_u32_e32 v96, 15, v99
	v_cndmask_b32_e32 v98, v113, v96, vcc_lo
	v_cndmask_b32_e64 v96, 0, 1, vcc_lo
	s_delay_alu instid0(VALU_DEP_1)
	v_lshrrev_b64 v[96:97], v96, v[34:35]
; %bb.6192:                             ;   in Loop: Header=BB2_6167 Depth=2
	s_and_not1_saveexec_b32 s10, s10
; %bb.6193:                             ;   in Loop: Header=BB2_6167 Depth=2
	v_mov_b64_e32 v[96:97], v[34:35]
	v_bfe_u32 v98, v34, 23, 1
; %bb.6194:                             ;   in Loop: Header=BB2_6167 Depth=2
	s_or_b32 exec_lo, exec_lo, s10
	s_delay_alu instid0(VALU_DEP_2) | instskip(NEXT) | instid1(VALU_DEP_2)
	v_lshrrev_b64 v[96:97], 21, v[96:97]
	v_cmp_gt_i32_e32 vcc_lo, 32, v98
	v_min_i32_e32 v34, 31, v98
	v_cmp_eq_u32_e64 s10, 0, v98
	s_delay_alu instid0(VALU_DEP_2) | instskip(SKIP_1) | instid1(VALU_DEP_2)
	v_dual_cndmask_b32 v97, 0, v97 :: v_dual_lshlrev_b32 v34, 2, v34
	v_cndmask_b32_e32 v96, 3, v96, vcc_lo
	v_and_b32_e32 v34, 0xfc, v34
	s_delay_alu instid0(VALU_DEP_2) | instskip(NEXT) | instid1(VALU_DEP_2)
	v_cmp_eq_u64_e32 vcc_lo, 0, v[96:97]
	v_and_or_b32 v34, v96, 3, v34
	s_and_b32 s10, s10, vcc_lo
	s_delay_alu instid0(VALU_DEP_1) | instid1(SALU_CYCLE_1)
	v_cndmask_b32_e64 v34, v34, 0, s10
	s_delay_alu instid0(VALU_DEP_1)
	v_or_b32_e32 v113, v34, v30
.LBB2_6195:                             ;   in Loop: Header=BB2_6167 Depth=2
	s_or_b32 exec_lo, exec_lo, s40
                                        ; implicit-def: $vgpr30
.LBB2_6196:                             ;   in Loop: Header=BB2_6167 Depth=2
	s_and_not1_saveexec_b32 s10, s29
; %bb.6197:                             ;   in Loop: Header=BB2_6167 Depth=2
	v_or_b32_e32 v113, 0x7b, v30
; %bb.6198:                             ;   in Loop: Header=BB2_6167 Depth=2
	s_or_b32 exec_lo, exec_lo, s10
                                        ; implicit-def: $vgpr96
                                        ; implicit-def: $vgpr30
.LBB2_6199:                             ;   in Loop: Header=BB2_6167 Depth=2
	s_and_not1_saveexec_b32 s10, s28
	s_cbranch_execz .LBB2_6205
; %bb.6200:                             ;   in Loop: Header=BB2_6167 Depth=2
	s_mov_b32 s28, exec_lo
                                        ; implicit-def: $vgpr113
	v_cmpx_ne_u64_e32 0, v[34:35]
	s_xor_b32 s28, exec_lo, s28
; %bb.6201:                             ;   in Loop: Header=BB2_6167 Depth=2
	v_or_b32_e32 v113, 0x7f, v30
                                        ; implicit-def: $vgpr96
; %bb.6202:                             ;   in Loop: Header=BB2_6167 Depth=2
	s_and_not1_saveexec_b32 s28, s28
; %bb.6203:                             ;   in Loop: Header=BB2_6167 Depth=2
	v_cmp_lt_i32_e32 vcc_lo, -1, v96
	v_cndmask_b32_e32 v113, 0xfc, v112, vcc_lo
; %bb.6204:                             ;   in Loop: Header=BB2_6167 Depth=2
	s_or_b32 exec_lo, exec_lo, s28
.LBB2_6205:                             ;   in Loop: Header=BB2_6167 Depth=2
	s_delay_alu instid0(SALU_CYCLE_1) | instskip(SKIP_3) | instid1(VALU_DEP_2)
	s_or_b32 exec_lo, exec_lo, s10
	v_lshrrev_b16 v34, 8, v10
	v_mov_b32_e32 v96, 0
	s_mov_b32 s10, exec_lo
	v_cmpx_ne_u16_e32 0, v34
	s_cbranch_execz .LBB2_6215
; %bb.6206:                             ;   in Loop: Header=BB2_6167 Depth=2
	v_bfrev_b32_e32 v96, 1
	s_mov_b32 s28, exec_lo
	v_cmpx_ne_u16_e32 0x80, v34
	s_cbranch_execz .LBB2_6214
; %bb.6207:                             ;   in Loop: Header=BB2_6167 Depth=2
	v_and_b32_e32 v97, 0xffff, v34
	s_delay_alu instid0(VALU_DEP_1) | instskip(SKIP_1) | instid1(VALU_DEP_2)
	v_and_b32_e32 v96, 0x7c, v97
	v_and_b32_e32 v30, 3, v97
	v_cmp_ne_u32_e32 vcc_lo, 0x7c, v96
                                        ; implicit-def: $vgpr96
	s_and_saveexec_b32 s29, vcc_lo
	s_delay_alu instid0(SALU_CYCLE_1)
	s_xor_b32 s29, exec_lo, s29
	s_cbranch_execz .LBB2_6211
; %bb.6208:                             ;   in Loop: Header=BB2_6167 Depth=2
	v_bfe_u32 v96, v97, 2, 5
	s_mov_b32 s40, exec_lo
	s_delay_alu instid0(VALU_DEP_1)
	v_cmpx_eq_u32_e32 0, v96
; %bb.6209:                             ;   in Loop: Header=BB2_6167 Depth=2
	v_clz_i32_u32_e32 v30, v30
	s_delay_alu instid0(VALU_DEP_1) | instskip(NEXT) | instid1(VALU_DEP_1)
	v_min_u32_e32 v30, 32, v30
	v_subrev_nc_u32_e32 v96, 29, v30
	s_delay_alu instid0(VALU_DEP_1) | instskip(SKIP_1) | instid1(VALU_DEP_2)
	v_lshlrev_b64_e32 v[98:99], v96, v[34:35]
	v_sub_nc_u32_e32 v96, 30, v30
	v_and_b32_e32 v30, 3, v98
; %bb.6210:                             ;   in Loop: Header=BB2_6167 Depth=2
	s_or_b32 exec_lo, exec_lo, s40
	v_lshlrev_b32_e32 v34, 16, v10
	s_delay_alu instid0(VALU_DEP_1) | instskip(NEXT) | instid1(VALU_DEP_1)
	v_and_b32_e32 v34, 0x80000000, v34
	v_lshl_add_u32 v34, v96, 23, v34
	s_delay_alu instid0(VALU_DEP_1) | instskip(NEXT) | instid1(VALU_DEP_1)
	v_lshl_or_b32 v30, v30, 21, v34
	v_add_nc_u32_e32 v96, 0x38000000, v30
                                        ; implicit-def: $vgpr30
.LBB2_6211:                             ;   in Loop: Header=BB2_6167 Depth=2
	s_and_not1_saveexec_b32 s29, s29
; %bb.6212:                             ;   in Loop: Header=BB2_6167 Depth=2
	v_cmp_lt_i16_e32 vcc_lo, -1, v10
	v_cndmask_b32_e32 v34, 0xff800000, v103, vcc_lo
	v_cmp_eq_u32_e32 vcc_lo, 0, v30
	s_delay_alu instid0(VALU_DEP_2)
	v_cndmask_b32_e32 v96, 0x7f800001, v34, vcc_lo
; %bb.6213:                             ;   in Loop: Header=BB2_6167 Depth=2
	s_or_b32 exec_lo, exec_lo, s29
.LBB2_6214:                             ;   in Loop: Header=BB2_6167 Depth=2
	s_delay_alu instid0(SALU_CYCLE_1)
	s_or_b32 exec_lo, exec_lo, s28
.LBB2_6215:                             ;   in Loop: Header=BB2_6167 Depth=2
	s_delay_alu instid0(SALU_CYCLE_1) | instskip(NEXT) | instid1(VALU_DEP_1)
	s_or_b32 exec_lo, exec_lo, s10
	v_dual_mul_f32 v96, s27, v96 :: v_dual_mov_b32 v99, v35
                                        ; implicit-def: $vgpr114
	s_mov_b32 s10, exec_lo
	s_delay_alu instid0(VALU_DEP_1) | instskip(SKIP_2) | instid1(VALU_DEP_3)
	v_and_b32_e32 v98, 0x7f800000, v96
	v_and_b32_e32 v34, 0x7fffff, v96
	v_lshrrev_b32_e32 v30, 24, v96
	v_cmpx_ne_u64_e32 0x7f800000, v[98:99]
	s_xor_b32 s28, exec_lo, s10
	s_cbranch_execz .LBB2_6229
; %bb.6216:                             ;   in Loop: Header=BB2_6167 Depth=2
	v_and_b32_e32 v98, 0x7fffffff, v96
	v_mov_b32_e32 v99, v35
	v_and_b32_e32 v30, 0x80, v30
                                        ; implicit-def: $vgpr114
	s_mov_b32 s10, exec_lo
	s_delay_alu instid0(VALU_DEP_2)
	v_cmpx_gt_u64_e32 0x47600001, v[98:99]
	s_xor_b32 s29, exec_lo, s10
	s_cbranch_execz .LBB2_6226
; %bb.6217:                             ;   in Loop: Header=BB2_6167 Depth=2
	v_mov_b32_e32 v114, 0
	s_mov_b32 s40, exec_lo
	v_cmpx_ne_u32_e32 0, v96
	s_cbranch_execz .LBB2_6225
; %bb.6218:                             ;   in Loop: Header=BB2_6167 Depth=2
	v_bfe_u32 v114, v96, 23, 8
	v_or_b32_e32 v98, 0x800000, v34
	s_delay_alu instid0(VALU_DEP_2) | instskip(SKIP_1) | instid1(VALU_DEP_2)
	v_sub_nc_u32_e32 v96, 0x71, v114
	v_cmp_gt_u32_e32 vcc_lo, 0x72, v114
	v_cndmask_b32_e32 v96, 0, v96, vcc_lo
	v_cmp_eq_u32_e32 vcc_lo, 0, v114
	s_delay_alu instid0(VALU_DEP_2) | instskip(NEXT) | instid1(VALU_DEP_1)
	v_cndmask_b32_e64 v115, v96, 0x70, vcc_lo
	v_dual_cndmask_b32 v34, v98, v34, vcc_lo :: v_dual_add_nc_u32 v96, 21, v115
	v_add_nc_u32_e32 v99, 20, v115
	s_delay_alu instid0(VALU_DEP_2) | instskip(NEXT) | instid1(VALU_DEP_2)
	v_lshlrev_b64_e64 v[96:97], v96, -1
	v_lshlrev_b64_e64 v[98:99], v99, 1
	s_delay_alu instid0(VALU_DEP_2) | instskip(NEXT) | instid1(VALU_DEP_3)
	v_bfi_b32 v117, v97, 0, 0
	v_bfi_b32 v116, v96, 0, v34
	v_lshrrev_b64 v[96:97], v115, v[34:35]
	s_delay_alu instid0(VALU_DEP_2) | instskip(NEXT) | instid1(VALU_DEP_2)
	v_cmp_eq_u64_e64 s10, v[116:117], v[98:99]
	v_mov_b64_e32 v[98:99], v[96:97]
	s_and_saveexec_b32 s41, s10
; %bb.6219:                             ;   in Loop: Header=BB2_6167 Depth=2
	v_bfe_u32 v34, v96, 21, 1
	s_delay_alu instid0(VALU_DEP_1) | instskip(NEXT) | instid1(VALU_DEP_1)
	v_add_nc_u64_e32 v[98:99], v[96:97], v[34:35]
	v_add_nc_u64_e32 v[98:99], -1, v[98:99]
; %bb.6220:                             ;   in Loop: Header=BB2_6167 Depth=2
	s_or_b32 exec_lo, exec_lo, s41
	v_add_nc_u32_e32 v34, 0xffffff81, v114
	v_lshrrev_b32_e32 v97, 23, v96
	s_mov_b32 s10, exec_lo
	s_delay_alu instid0(VALU_DEP_2) | instskip(NEXT) | instid1(VALU_DEP_1)
	v_cndmask_b32_e64 v34, v34, 0xffffff82, vcc_lo
	v_add3_u32 v99, v115, v34, v97
	v_and_b32_e32 v34, 0x1fffff, v98
                                        ; implicit-def: $vgpr98
	s_delay_alu instid0(VALU_DEP_1) | instskip(NEXT) | instid1(VALU_DEP_1)
	v_dual_add_nc_u32 v114, 14, v99 :: v_dual_add_nc_u32 v34, v34, v96
                                        ; implicit-def: $vgpr96_vgpr97
	v_cmpx_ne_u32_e32 0, v114
	s_xor_b32 s10, exec_lo, s10
; %bb.6221:                             ;   in Loop: Header=BB2_6167 Depth=2
	s_delay_alu instid0(VALU_DEP_2) | instskip(SKIP_1) | instid1(VALU_DEP_1)
	v_cmp_lt_u64_e32 vcc_lo, 0xffffff, v[34:35]
	v_add_nc_u32_e32 v96, 15, v99
	v_cndmask_b32_e32 v98, v114, v96, vcc_lo
	v_cndmask_b32_e64 v96, 0, 1, vcc_lo
	s_delay_alu instid0(VALU_DEP_1)
	v_lshrrev_b64 v[96:97], v96, v[34:35]
; %bb.6222:                             ;   in Loop: Header=BB2_6167 Depth=2
	s_and_not1_saveexec_b32 s10, s10
; %bb.6223:                             ;   in Loop: Header=BB2_6167 Depth=2
	v_mov_b64_e32 v[96:97], v[34:35]
	v_bfe_u32 v98, v34, 23, 1
; %bb.6224:                             ;   in Loop: Header=BB2_6167 Depth=2
	s_or_b32 exec_lo, exec_lo, s10
	s_delay_alu instid0(VALU_DEP_2) | instskip(NEXT) | instid1(VALU_DEP_2)
	v_lshrrev_b64 v[96:97], 21, v[96:97]
	v_cmp_gt_i32_e32 vcc_lo, 32, v98
	v_min_i32_e32 v34, 31, v98
	v_cmp_eq_u32_e64 s10, 0, v98
	s_delay_alu instid0(VALU_DEP_2) | instskip(SKIP_1) | instid1(VALU_DEP_2)
	v_dual_cndmask_b32 v97, 0, v97 :: v_dual_lshlrev_b32 v34, 2, v34
	v_cndmask_b32_e32 v96, 3, v96, vcc_lo
	v_and_b32_e32 v34, 0xfc, v34
	s_delay_alu instid0(VALU_DEP_2) | instskip(NEXT) | instid1(VALU_DEP_2)
	v_cmp_eq_u64_e32 vcc_lo, 0, v[96:97]
	v_and_or_b32 v34, v96, 3, v34
	s_and_b32 s10, s10, vcc_lo
	s_delay_alu instid0(VALU_DEP_1) | instid1(SALU_CYCLE_1)
	v_cndmask_b32_e64 v34, v34, 0, s10
	s_delay_alu instid0(VALU_DEP_1)
	v_or_b32_e32 v114, v34, v30
.LBB2_6225:                             ;   in Loop: Header=BB2_6167 Depth=2
	s_or_b32 exec_lo, exec_lo, s40
                                        ; implicit-def: $vgpr30
.LBB2_6226:                             ;   in Loop: Header=BB2_6167 Depth=2
	s_and_not1_saveexec_b32 s10, s29
; %bb.6227:                             ;   in Loop: Header=BB2_6167 Depth=2
	v_or_b32_e32 v114, 0x7b, v30
; %bb.6228:                             ;   in Loop: Header=BB2_6167 Depth=2
	s_or_b32 exec_lo, exec_lo, s10
                                        ; implicit-def: $vgpr96
                                        ; implicit-def: $vgpr30
.LBB2_6229:                             ;   in Loop: Header=BB2_6167 Depth=2
	s_and_not1_saveexec_b32 s10, s28
	s_cbranch_execz .LBB2_6235
; %bb.6230:                             ;   in Loop: Header=BB2_6167 Depth=2
	s_mov_b32 s28, exec_lo
                                        ; implicit-def: $vgpr114
	v_cmpx_ne_u64_e32 0, v[34:35]
	s_xor_b32 s28, exec_lo, s28
; %bb.6231:                             ;   in Loop: Header=BB2_6167 Depth=2
	v_or_b32_e32 v114, 0x7f, v30
                                        ; implicit-def: $vgpr96
; %bb.6232:                             ;   in Loop: Header=BB2_6167 Depth=2
	s_and_not1_saveexec_b32 s28, s28
; %bb.6233:                             ;   in Loop: Header=BB2_6167 Depth=2
	v_cmp_lt_i32_e32 vcc_lo, -1, v96
	v_cndmask_b32_e32 v114, 0xfc, v112, vcc_lo
; %bb.6234:                             ;   in Loop: Header=BB2_6167 Depth=2
	s_or_b32 exec_lo, exec_lo, s28
.LBB2_6235:                             ;   in Loop: Header=BB2_6167 Depth=2
	s_delay_alu instid0(SALU_CYCLE_1) | instskip(SKIP_2) | instid1(VALU_DEP_1)
	s_or_b32 exec_lo, exec_lo, s10
	v_dual_lshrrev_b32 v30, 16, v10 :: v_dual_mov_b32 v34, 0
	s_mov_b32 s10, exec_lo
	v_and_b32_e32 v96, 0xff, v30
	s_delay_alu instid0(VALU_DEP_1)
	v_cmpx_ne_u16_e32 0, v96
	s_cbranch_execz .LBB2_6245
; %bb.6236:                             ;   in Loop: Header=BB2_6167 Depth=2
	v_bfrev_b32_e32 v34, 1
	s_mov_b32 s28, exec_lo
	v_cmpx_ne_u16_e32 0x80, v96
	s_cbranch_execz .LBB2_6244
; %bb.6237:                             ;   in Loop: Header=BB2_6167 Depth=2
	v_and_b32_e32 v34, 0x7c0000, v10
	v_bfe_u32 v96, v10, 16, 2
	s_delay_alu instid0(VALU_DEP_2) | instskip(SKIP_1) | instid1(SALU_CYCLE_1)
	v_cmp_ne_u32_e32 vcc_lo, 0x7c0000, v34
                                        ; implicit-def: $vgpr34
	s_and_saveexec_b32 s29, vcc_lo
	s_xor_b32 s29, exec_lo, s29
	s_cbranch_execz .LBB2_6241
; %bb.6238:                             ;   in Loop: Header=BB2_6167 Depth=2
	v_bfe_u32 v34, v10, 18, 5
	s_mov_b32 s40, exec_lo
	s_delay_alu instid0(VALU_DEP_1)
	v_cmpx_eq_u32_e32 0, v34
; %bb.6239:                             ;   in Loop: Header=BB2_6167 Depth=2
	v_clz_i32_u32_e32 v34, v96
	s_delay_alu instid0(VALU_DEP_1) | instskip(NEXT) | instid1(VALU_DEP_1)
	v_min_u32_e32 v34, 32, v34
	v_subrev_nc_u32_e32 v96, 29, v34
	s_delay_alu instid0(VALU_DEP_1) | instskip(NEXT) | instid1(VALU_DEP_1)
	v_lshlrev_b64_e32 v[96:97], v96, v[30:31]
	v_dual_sub_nc_u32 v34, 30, v34 :: v_dual_bitop2_b32 v96, 3, v96 bitop3:0x40
; %bb.6240:                             ;   in Loop: Header=BB2_6167 Depth=2
	s_or_b32 exec_lo, exec_lo, s40
	v_lshlrev_b32_e32 v30, 24, v30
	s_delay_alu instid0(VALU_DEP_1) | instskip(NEXT) | instid1(VALU_DEP_1)
	v_and_b32_e32 v30, 0x80000000, v30
	v_lshl_add_u32 v30, v34, 23, v30
	s_delay_alu instid0(VALU_DEP_1) | instskip(NEXT) | instid1(VALU_DEP_1)
	v_lshl_or_b32 v30, v96, 21, v30
                                        ; implicit-def: $vgpr96
	v_add_nc_u32_e32 v34, 0x38000000, v30
                                        ; implicit-def: $vgpr30
.LBB2_6241:                             ;   in Loop: Header=BB2_6167 Depth=2
	s_and_not1_saveexec_b32 s29, s29
; %bb.6242:                             ;   in Loop: Header=BB2_6167 Depth=2
	v_bfe_i32 v30, v30, 0, 8
	s_delay_alu instid0(VALU_DEP_1) | instskip(SKIP_2) | instid1(VALU_DEP_2)
	v_cmp_lt_i16_e32 vcc_lo, -1, v30
	v_cndmask_b32_e32 v30, 0xff800000, v103, vcc_lo
	v_cmp_eq_u32_e32 vcc_lo, 0, v96
	v_cndmask_b32_e32 v34, 0x7f800001, v30, vcc_lo
; %bb.6243:                             ;   in Loop: Header=BB2_6167 Depth=2
	s_or_b32 exec_lo, exec_lo, s29
.LBB2_6244:                             ;   in Loop: Header=BB2_6167 Depth=2
	s_delay_alu instid0(SALU_CYCLE_1)
	s_or_b32 exec_lo, exec_lo, s28
.LBB2_6245:                             ;   in Loop: Header=BB2_6167 Depth=2
	s_delay_alu instid0(SALU_CYCLE_1) | instskip(NEXT) | instid1(VALU_DEP_1)
	s_or_b32 exec_lo, exec_lo, s10
	v_dual_mul_f32 v96, s27, v34 :: v_dual_mov_b32 v99, v35
                                        ; implicit-def: $vgpr115
	s_mov_b32 s10, exec_lo
	s_delay_alu instid0(VALU_DEP_1) | instskip(SKIP_2) | instid1(VALU_DEP_3)
	v_and_b32_e32 v98, 0x7f800000, v96
	v_and_b32_e32 v34, 0x7fffff, v96
	v_lshrrev_b32_e32 v30, 24, v96
	v_cmpx_ne_u64_e32 0x7f800000, v[98:99]
	s_xor_b32 s28, exec_lo, s10
	s_cbranch_execz .LBB2_6259
; %bb.6246:                             ;   in Loop: Header=BB2_6167 Depth=2
	v_and_b32_e32 v98, 0x7fffffff, v96
	v_mov_b32_e32 v99, v35
	v_and_b32_e32 v30, 0x80, v30
                                        ; implicit-def: $vgpr115
	s_mov_b32 s10, exec_lo
	s_delay_alu instid0(VALU_DEP_2)
	v_cmpx_gt_u64_e32 0x47600001, v[98:99]
	s_xor_b32 s29, exec_lo, s10
	s_cbranch_execz .LBB2_6256
; %bb.6247:                             ;   in Loop: Header=BB2_6167 Depth=2
	v_mov_b32_e32 v115, 0
	s_mov_b32 s40, exec_lo
	v_cmpx_ne_u32_e32 0, v96
	s_cbranch_execz .LBB2_6255
; %bb.6248:                             ;   in Loop: Header=BB2_6167 Depth=2
	v_bfe_u32 v115, v96, 23, 8
	v_or_b32_e32 v98, 0x800000, v34
	s_delay_alu instid0(VALU_DEP_2) | instskip(SKIP_1) | instid1(VALU_DEP_2)
	v_sub_nc_u32_e32 v96, 0x71, v115
	v_cmp_gt_u32_e32 vcc_lo, 0x72, v115
	v_cndmask_b32_e32 v96, 0, v96, vcc_lo
	v_cmp_eq_u32_e32 vcc_lo, 0, v115
	v_cndmask_b32_e32 v34, v98, v34, vcc_lo
	s_delay_alu instid0(VALU_DEP_3) | instskip(NEXT) | instid1(VALU_DEP_1)
	v_cndmask_b32_e64 v116, v96, 0x70, vcc_lo
	v_dual_add_nc_u32 v96, 21, v116 :: v_dual_add_nc_u32 v99, 20, v116
	s_delay_alu instid0(VALU_DEP_1) | instskip(NEXT) | instid1(VALU_DEP_2)
	v_lshlrev_b64_e64 v[96:97], v96, -1
	v_lshlrev_b64_e64 v[98:99], v99, 1
	s_delay_alu instid0(VALU_DEP_2) | instskip(NEXT) | instid1(VALU_DEP_3)
	v_bfi_b32 v119, v97, 0, 0
	v_bfi_b32 v118, v96, 0, v34
	v_lshrrev_b64 v[96:97], v116, v[34:35]
	s_delay_alu instid0(VALU_DEP_2) | instskip(NEXT) | instid1(VALU_DEP_2)
	v_cmp_eq_u64_e64 s10, v[118:119], v[98:99]
	v_mov_b64_e32 v[98:99], v[96:97]
	s_and_saveexec_b32 s41, s10
; %bb.6249:                             ;   in Loop: Header=BB2_6167 Depth=2
	v_bfe_u32 v34, v96, 21, 1
	s_delay_alu instid0(VALU_DEP_1) | instskip(NEXT) | instid1(VALU_DEP_1)
	v_add_nc_u64_e32 v[98:99], v[96:97], v[34:35]
	v_add_nc_u64_e32 v[98:99], -1, v[98:99]
; %bb.6250:                             ;   in Loop: Header=BB2_6167 Depth=2
	s_or_b32 exec_lo, exec_lo, s41
	v_add_nc_u32_e32 v34, 0xffffff81, v115
	v_lshrrev_b32_e32 v97, 23, v96
	s_mov_b32 s10, exec_lo
	s_delay_alu instid0(VALU_DEP_2) | instskip(NEXT) | instid1(VALU_DEP_1)
	v_cndmask_b32_e64 v34, v34, 0xffffff82, vcc_lo
	v_add3_u32 v99, v116, v34, v97
	v_and_b32_e32 v34, 0x1fffff, v98
                                        ; implicit-def: $vgpr98
	s_delay_alu instid0(VALU_DEP_1) | instskip(NEXT) | instid1(VALU_DEP_1)
	v_dual_add_nc_u32 v115, 14, v99 :: v_dual_add_nc_u32 v34, v34, v96
                                        ; implicit-def: $vgpr96_vgpr97
	v_cmpx_ne_u32_e32 0, v115
	s_xor_b32 s10, exec_lo, s10
; %bb.6251:                             ;   in Loop: Header=BB2_6167 Depth=2
	s_delay_alu instid0(VALU_DEP_2) | instskip(SKIP_1) | instid1(VALU_DEP_1)
	v_cmp_lt_u64_e32 vcc_lo, 0xffffff, v[34:35]
	v_add_nc_u32_e32 v96, 15, v99
	v_cndmask_b32_e32 v98, v115, v96, vcc_lo
	v_cndmask_b32_e64 v96, 0, 1, vcc_lo
	s_delay_alu instid0(VALU_DEP_1)
	v_lshrrev_b64 v[96:97], v96, v[34:35]
; %bb.6252:                             ;   in Loop: Header=BB2_6167 Depth=2
	s_and_not1_saveexec_b32 s10, s10
; %bb.6253:                             ;   in Loop: Header=BB2_6167 Depth=2
	v_mov_b64_e32 v[96:97], v[34:35]
	v_bfe_u32 v98, v34, 23, 1
; %bb.6254:                             ;   in Loop: Header=BB2_6167 Depth=2
	s_or_b32 exec_lo, exec_lo, s10
	s_delay_alu instid0(VALU_DEP_2) | instskip(NEXT) | instid1(VALU_DEP_2)
	v_lshrrev_b64 v[96:97], 21, v[96:97]
	v_cmp_gt_i32_e32 vcc_lo, 32, v98
	v_min_i32_e32 v34, 31, v98
	v_cmp_eq_u32_e64 s10, 0, v98
	s_delay_alu instid0(VALU_DEP_2) | instskip(SKIP_1) | instid1(VALU_DEP_2)
	v_dual_cndmask_b32 v97, 0, v97 :: v_dual_lshlrev_b32 v34, 2, v34
	v_cndmask_b32_e32 v96, 3, v96, vcc_lo
	v_and_b32_e32 v34, 0xfc, v34
	s_delay_alu instid0(VALU_DEP_2) | instskip(NEXT) | instid1(VALU_DEP_2)
	v_cmp_eq_u64_e32 vcc_lo, 0, v[96:97]
	v_and_or_b32 v34, v96, 3, v34
	s_and_b32 s10, s10, vcc_lo
	s_delay_alu instid0(VALU_DEP_1) | instid1(SALU_CYCLE_1)
	v_cndmask_b32_e64 v34, v34, 0, s10
	s_delay_alu instid0(VALU_DEP_1)
	v_or_b32_e32 v115, v34, v30
.LBB2_6255:                             ;   in Loop: Header=BB2_6167 Depth=2
	s_or_b32 exec_lo, exec_lo, s40
                                        ; implicit-def: $vgpr30
.LBB2_6256:                             ;   in Loop: Header=BB2_6167 Depth=2
	s_and_not1_saveexec_b32 s10, s29
; %bb.6257:                             ;   in Loop: Header=BB2_6167 Depth=2
	v_or_b32_e32 v115, 0x7b, v30
; %bb.6258:                             ;   in Loop: Header=BB2_6167 Depth=2
	s_or_b32 exec_lo, exec_lo, s10
                                        ; implicit-def: $vgpr96
                                        ; implicit-def: $vgpr30
.LBB2_6259:                             ;   in Loop: Header=BB2_6167 Depth=2
	s_and_not1_saveexec_b32 s10, s28
	s_cbranch_execz .LBB2_6265
; %bb.6260:                             ;   in Loop: Header=BB2_6167 Depth=2
	s_mov_b32 s28, exec_lo
                                        ; implicit-def: $vgpr115
	v_cmpx_ne_u64_e32 0, v[34:35]
	s_xor_b32 s28, exec_lo, s28
; %bb.6261:                             ;   in Loop: Header=BB2_6167 Depth=2
	v_or_b32_e32 v115, 0x7f, v30
                                        ; implicit-def: $vgpr96
; %bb.6262:                             ;   in Loop: Header=BB2_6167 Depth=2
	s_and_not1_saveexec_b32 s28, s28
; %bb.6263:                             ;   in Loop: Header=BB2_6167 Depth=2
	v_cmp_lt_i32_e32 vcc_lo, -1, v96
	v_cndmask_b32_e32 v115, 0xfc, v112, vcc_lo
; %bb.6264:                             ;   in Loop: Header=BB2_6167 Depth=2
	s_or_b32 exec_lo, exec_lo, s28
.LBB2_6265:                             ;   in Loop: Header=BB2_6167 Depth=2
	s_delay_alu instid0(SALU_CYCLE_1)
	s_or_b32 exec_lo, exec_lo, s10
	v_mov_b32_e32 v34, 0
	s_mov_b32 s10, exec_lo
	v_cmpx_lt_u32_e32 0xffffff, v10
	s_cbranch_execz .LBB2_6275
; %bb.6266:                             ;   in Loop: Header=BB2_6167 Depth=2
	v_lshrrev_b32_e32 v30, 24, v10
	v_bfrev_b32_e32 v34, 1
	s_mov_b32 s28, exec_lo
	s_delay_alu instid0(VALU_DEP_2)
	v_cmpx_ne_u32_e32 0x80, v30
	s_cbranch_execz .LBB2_6274
; %bb.6267:                             ;   in Loop: Header=BB2_6167 Depth=2
	v_and_b32_e32 v34, 0x7c000000, v10
	v_bfe_u32 v96, v10, 24, 2
	s_delay_alu instid0(VALU_DEP_2) | instskip(SKIP_1) | instid1(SALU_CYCLE_1)
	v_cmp_ne_u32_e32 vcc_lo, 0x7c000000, v34
                                        ; implicit-def: $vgpr34
	s_and_saveexec_b32 s29, vcc_lo
	s_xor_b32 s29, exec_lo, s29
	s_cbranch_execz .LBB2_6271
; %bb.6268:                             ;   in Loop: Header=BB2_6167 Depth=2
	v_bfe_u32 v34, v10, 26, 5
	s_mov_b32 s40, exec_lo
	s_delay_alu instid0(VALU_DEP_1)
	v_cmpx_eq_u32_e32 0, v34
; %bb.6269:                             ;   in Loop: Header=BB2_6167 Depth=2
	v_clz_i32_u32_e32 v34, v96
	s_delay_alu instid0(VALU_DEP_1) | instskip(NEXT) | instid1(VALU_DEP_1)
	v_min_u32_e32 v34, 32, v34
	v_subrev_nc_u32_e32 v96, 29, v34
	s_delay_alu instid0(VALU_DEP_1) | instskip(NEXT) | instid1(VALU_DEP_1)
	v_lshlrev_b64_e32 v[96:97], v96, v[30:31]
	v_dual_sub_nc_u32 v34, 30, v34 :: v_dual_bitop2_b32 v96, 3, v96 bitop3:0x40
; %bb.6270:                             ;   in Loop: Header=BB2_6167 Depth=2
	s_or_b32 exec_lo, exec_lo, s40
	v_and_b32_e32 v30, 0x80000000, v10
	s_delay_alu instid0(VALU_DEP_1) | instskip(NEXT) | instid1(VALU_DEP_1)
	v_lshl_add_u32 v30, v34, 23, v30
	v_lshl_or_b32 v30, v96, 21, v30
                                        ; implicit-def: $vgpr96
	s_delay_alu instid0(VALU_DEP_1)
	v_add_nc_u32_e32 v34, 0x38000000, v30
.LBB2_6271:                             ;   in Loop: Header=BB2_6167 Depth=2
	s_and_not1_saveexec_b32 s29, s29
; %bb.6272:                             ;   in Loop: Header=BB2_6167 Depth=2
	v_cmp_lt_i32_e32 vcc_lo, -1, v10
	v_cndmask_b32_e32 v30, 0xff800000, v103, vcc_lo
	v_cmp_eq_u32_e32 vcc_lo, 0, v96
	s_delay_alu instid0(VALU_DEP_2)
	v_cndmask_b32_e32 v34, 0x7f800001, v30, vcc_lo
; %bb.6273:                             ;   in Loop: Header=BB2_6167 Depth=2
	s_or_b32 exec_lo, exec_lo, s29
.LBB2_6274:                             ;   in Loop: Header=BB2_6167 Depth=2
	s_delay_alu instid0(SALU_CYCLE_1)
	s_or_b32 exec_lo, exec_lo, s28
.LBB2_6275:                             ;   in Loop: Header=BB2_6167 Depth=2
	s_delay_alu instid0(SALU_CYCLE_1) | instskip(NEXT) | instid1(VALU_DEP_1)
	s_or_b32 exec_lo, exec_lo, s10
	v_dual_mul_f32 v96, s27, v34 :: v_dual_mov_b32 v99, v35
                                        ; implicit-def: $vgpr116
	s_mov_b32 s10, exec_lo
	s_delay_alu instid0(VALU_DEP_1) | instskip(SKIP_2) | instid1(VALU_DEP_3)
	v_and_b32_e32 v98, 0x7f800000, v96
	v_and_b32_e32 v34, 0x7fffff, v96
	v_lshrrev_b32_e32 v30, 24, v96
	v_cmpx_ne_u64_e32 0x7f800000, v[98:99]
	s_xor_b32 s28, exec_lo, s10
	s_cbranch_execz .LBB2_6289
; %bb.6276:                             ;   in Loop: Header=BB2_6167 Depth=2
	v_and_b32_e32 v98, 0x7fffffff, v96
	v_mov_b32_e32 v99, v35
	v_and_b32_e32 v30, 0x80, v30
                                        ; implicit-def: $vgpr116
	s_mov_b32 s10, exec_lo
	s_delay_alu instid0(VALU_DEP_2)
	v_cmpx_gt_u64_e32 0x47600001, v[98:99]
	s_xor_b32 s29, exec_lo, s10
	s_cbranch_execz .LBB2_6286
; %bb.6277:                             ;   in Loop: Header=BB2_6167 Depth=2
	v_mov_b32_e32 v116, 0
	s_mov_b32 s40, exec_lo
	v_cmpx_ne_u32_e32 0, v96
	s_cbranch_execz .LBB2_6285
; %bb.6278:                             ;   in Loop: Header=BB2_6167 Depth=2
	v_bfe_u32 v116, v96, 23, 8
	v_or_b32_e32 v98, 0x800000, v34
	s_delay_alu instid0(VALU_DEP_2) | instskip(SKIP_1) | instid1(VALU_DEP_2)
	v_sub_nc_u32_e32 v96, 0x71, v116
	v_cmp_gt_u32_e32 vcc_lo, 0x72, v116
	v_cndmask_b32_e32 v96, 0, v96, vcc_lo
	v_cmp_eq_u32_e32 vcc_lo, 0, v116
	s_delay_alu instid0(VALU_DEP_2) | instskip(NEXT) | instid1(VALU_DEP_1)
	v_cndmask_b32_e64 v117, v96, 0x70, vcc_lo
	v_dual_cndmask_b32 v34, v98, v34, vcc_lo :: v_dual_add_nc_u32 v96, 21, v117
	v_add_nc_u32_e32 v99, 20, v117
	s_delay_alu instid0(VALU_DEP_2) | instskip(NEXT) | instid1(VALU_DEP_2)
	v_lshlrev_b64_e64 v[96:97], v96, -1
	v_lshlrev_b64_e64 v[98:99], v99, 1
	s_delay_alu instid0(VALU_DEP_2) | instskip(NEXT) | instid1(VALU_DEP_3)
	v_bfi_b32 v119, v97, 0, 0
	v_bfi_b32 v118, v96, 0, v34
	v_lshrrev_b64 v[96:97], v117, v[34:35]
	s_delay_alu instid0(VALU_DEP_2) | instskip(NEXT) | instid1(VALU_DEP_2)
	v_cmp_eq_u64_e64 s10, v[118:119], v[98:99]
	v_mov_b64_e32 v[98:99], v[96:97]
	s_and_saveexec_b32 s41, s10
; %bb.6279:                             ;   in Loop: Header=BB2_6167 Depth=2
	v_bfe_u32 v34, v96, 21, 1
	s_delay_alu instid0(VALU_DEP_1) | instskip(NEXT) | instid1(VALU_DEP_1)
	v_add_nc_u64_e32 v[98:99], v[96:97], v[34:35]
	v_add_nc_u64_e32 v[98:99], -1, v[98:99]
; %bb.6280:                             ;   in Loop: Header=BB2_6167 Depth=2
	s_or_b32 exec_lo, exec_lo, s41
	v_add_nc_u32_e32 v34, 0xffffff81, v116
	v_lshrrev_b32_e32 v97, 23, v96
	s_mov_b32 s10, exec_lo
	s_delay_alu instid0(VALU_DEP_2) | instskip(NEXT) | instid1(VALU_DEP_1)
	v_cndmask_b32_e64 v34, v34, 0xffffff82, vcc_lo
	v_add3_u32 v99, v117, v34, v97
	v_and_b32_e32 v34, 0x1fffff, v98
                                        ; implicit-def: $vgpr98
	s_delay_alu instid0(VALU_DEP_1) | instskip(NEXT) | instid1(VALU_DEP_1)
	v_dual_add_nc_u32 v116, 14, v99 :: v_dual_add_nc_u32 v34, v34, v96
                                        ; implicit-def: $vgpr96_vgpr97
	v_cmpx_ne_u32_e32 0, v116
	s_xor_b32 s10, exec_lo, s10
; %bb.6281:                             ;   in Loop: Header=BB2_6167 Depth=2
	s_delay_alu instid0(VALU_DEP_2) | instskip(SKIP_1) | instid1(VALU_DEP_1)
	v_cmp_lt_u64_e32 vcc_lo, 0xffffff, v[34:35]
	v_add_nc_u32_e32 v96, 15, v99
	v_cndmask_b32_e32 v98, v116, v96, vcc_lo
	v_cndmask_b32_e64 v96, 0, 1, vcc_lo
	s_delay_alu instid0(VALU_DEP_1)
	v_lshrrev_b64 v[96:97], v96, v[34:35]
; %bb.6282:                             ;   in Loop: Header=BB2_6167 Depth=2
	s_and_not1_saveexec_b32 s10, s10
; %bb.6283:                             ;   in Loop: Header=BB2_6167 Depth=2
	v_mov_b64_e32 v[96:97], v[34:35]
	v_bfe_u32 v98, v34, 23, 1
; %bb.6284:                             ;   in Loop: Header=BB2_6167 Depth=2
	s_or_b32 exec_lo, exec_lo, s10
	s_delay_alu instid0(VALU_DEP_2) | instskip(NEXT) | instid1(VALU_DEP_2)
	v_lshrrev_b64 v[96:97], 21, v[96:97]
	v_cmp_gt_i32_e32 vcc_lo, 32, v98
	v_min_i32_e32 v34, 31, v98
	v_cmp_eq_u32_e64 s10, 0, v98
	s_delay_alu instid0(VALU_DEP_2) | instskip(SKIP_1) | instid1(VALU_DEP_2)
	v_dual_cndmask_b32 v97, 0, v97 :: v_dual_lshlrev_b32 v34, 2, v34
	v_cndmask_b32_e32 v96, 3, v96, vcc_lo
	v_and_b32_e32 v34, 0xfc, v34
	s_delay_alu instid0(VALU_DEP_2) | instskip(NEXT) | instid1(VALU_DEP_2)
	v_cmp_eq_u64_e32 vcc_lo, 0, v[96:97]
	v_and_or_b32 v34, v96, 3, v34
	s_and_b32 s10, s10, vcc_lo
	s_delay_alu instid0(VALU_DEP_1) | instid1(SALU_CYCLE_1)
	v_cndmask_b32_e64 v34, v34, 0, s10
	s_delay_alu instid0(VALU_DEP_1)
	v_or_b32_e32 v116, v34, v30
.LBB2_6285:                             ;   in Loop: Header=BB2_6167 Depth=2
	s_or_b32 exec_lo, exec_lo, s40
                                        ; implicit-def: $vgpr30
.LBB2_6286:                             ;   in Loop: Header=BB2_6167 Depth=2
	s_and_not1_saveexec_b32 s10, s29
; %bb.6287:                             ;   in Loop: Header=BB2_6167 Depth=2
	v_or_b32_e32 v116, 0x7b, v30
; %bb.6288:                             ;   in Loop: Header=BB2_6167 Depth=2
	s_or_b32 exec_lo, exec_lo, s10
                                        ; implicit-def: $vgpr96
                                        ; implicit-def: $vgpr30
.LBB2_6289:                             ;   in Loop: Header=BB2_6167 Depth=2
	s_and_not1_saveexec_b32 s10, s28
	s_cbranch_execz .LBB2_6295
; %bb.6290:                             ;   in Loop: Header=BB2_6167 Depth=2
	s_mov_b32 s28, exec_lo
                                        ; implicit-def: $vgpr116
	v_cmpx_ne_u64_e32 0, v[34:35]
	s_xor_b32 s28, exec_lo, s28
; %bb.6291:                             ;   in Loop: Header=BB2_6167 Depth=2
	v_or_b32_e32 v116, 0x7f, v30
                                        ; implicit-def: $vgpr96
; %bb.6292:                             ;   in Loop: Header=BB2_6167 Depth=2
	s_and_not1_saveexec_b32 s28, s28
; %bb.6293:                             ;   in Loop: Header=BB2_6167 Depth=2
	v_cmp_lt_i32_e32 vcc_lo, -1, v96
	v_cndmask_b32_e32 v116, 0xfc, v112, vcc_lo
; %bb.6294:                             ;   in Loop: Header=BB2_6167 Depth=2
	s_or_b32 exec_lo, exec_lo, s28
.LBB2_6295:                             ;   in Loop: Header=BB2_6167 Depth=2
	s_delay_alu instid0(SALU_CYCLE_1) | instskip(SKIP_3) | instid1(VALU_DEP_2)
	s_or_b32 exec_lo, exec_lo, s10
	v_and_b32_e32 v96, 0xff, v11
	v_dual_mov_b32 v34, v11 :: v_dual_mov_b32 v30, 0
	s_mov_b32 s10, exec_lo
	v_cmpx_ne_u16_e32 0, v96
	s_cbranch_execz .LBB2_6305
; %bb.6296:                             ;   in Loop: Header=BB2_6167 Depth=2
	v_bfrev_b32_e32 v30, 1
	s_mov_b32 s28, exec_lo
	v_cmpx_ne_u16_e32 0x80, v96
	s_cbranch_execz .LBB2_6304
; %bb.6297:                             ;   in Loop: Header=BB2_6167 Depth=2
	v_and_b32_e32 v30, 0x7c, v11
	v_and_b32_e32 v96, 3, v11
	s_delay_alu instid0(VALU_DEP_2) | instskip(SKIP_1) | instid1(SALU_CYCLE_1)
	v_cmp_ne_u32_e32 vcc_lo, 0x7c, v30
                                        ; implicit-def: $vgpr30
	s_and_saveexec_b32 s29, vcc_lo
	s_xor_b32 s29, exec_lo, s29
	s_cbranch_execz .LBB2_6301
; %bb.6298:                             ;   in Loop: Header=BB2_6167 Depth=2
	v_bfe_u32 v30, v11, 2, 5
	s_mov_b32 s40, exec_lo
	s_delay_alu instid0(VALU_DEP_1)
	v_cmpx_eq_u32_e32 0, v30
; %bb.6299:                             ;   in Loop: Header=BB2_6167 Depth=2
	v_clz_i32_u32_e32 v30, v96
	s_delay_alu instid0(VALU_DEP_1) | instskip(NEXT) | instid1(VALU_DEP_1)
	v_min_u32_e32 v30, 32, v30
	v_subrev_nc_u32_e32 v96, 29, v30
	s_delay_alu instid0(VALU_DEP_1) | instskip(NEXT) | instid1(VALU_DEP_1)
	v_lshlrev_b64_e32 v[96:97], v96, v[34:35]
	v_dual_sub_nc_u32 v30, 30, v30 :: v_dual_bitop2_b32 v96, 3, v96 bitop3:0x40
; %bb.6300:                             ;   in Loop: Header=BB2_6167 Depth=2
	s_or_b32 exec_lo, exec_lo, s40
	v_lshlrev_b32_e32 v97, 24, v11
	s_delay_alu instid0(VALU_DEP_1) | instskip(NEXT) | instid1(VALU_DEP_1)
	v_and_b32_e32 v97, 0x80000000, v97
	v_lshl_add_u32 v30, v30, 23, v97
	s_delay_alu instid0(VALU_DEP_1) | instskip(NEXT) | instid1(VALU_DEP_1)
	v_lshl_or_b32 v30, v96, 21, v30
                                        ; implicit-def: $vgpr96
	v_add_nc_u32_e32 v30, 0x38000000, v30
.LBB2_6301:                             ;   in Loop: Header=BB2_6167 Depth=2
	s_and_not1_saveexec_b32 s29, s29
; %bb.6302:                             ;   in Loop: Header=BB2_6167 Depth=2
	v_bfe_i32 v30, v11, 0, 8
	s_delay_alu instid0(VALU_DEP_1) | instskip(SKIP_2) | instid1(VALU_DEP_2)
	v_cmp_lt_i16_e32 vcc_lo, -1, v30
	v_cndmask_b32_e32 v30, 0xff800000, v103, vcc_lo
	v_cmp_eq_u32_e32 vcc_lo, 0, v96
	v_cndmask_b32_e32 v30, 0x7f800001, v30, vcc_lo
; %bb.6303:                             ;   in Loop: Header=BB2_6167 Depth=2
	s_or_b32 exec_lo, exec_lo, s29
.LBB2_6304:                             ;   in Loop: Header=BB2_6167 Depth=2
	s_delay_alu instid0(SALU_CYCLE_1)
	s_or_b32 exec_lo, exec_lo, s28
.LBB2_6305:                             ;   in Loop: Header=BB2_6167 Depth=2
	s_delay_alu instid0(SALU_CYCLE_1) | instskip(NEXT) | instid1(VALU_DEP_1)
	s_or_b32 exec_lo, exec_lo, s10
	v_dual_mul_f32 v98, s27, v30 :: v_dual_mov_b32 v119, v35
	v_mov_b32_e32 v97, v35
                                        ; implicit-def: $vgpr117
	s_mov_b32 s10, exec_lo
	s_delay_alu instid0(VALU_DEP_2) | instskip(SKIP_2) | instid1(VALU_DEP_3)
	v_and_b32_e32 v118, 0x7f800000, v98
	v_and_b32_e32 v96, 0x7fffff, v98
	v_lshrrev_b32_e32 v30, 24, v98
	v_cmpx_ne_u64_e32 0x7f800000, v[118:119]
	s_xor_b32 s28, exec_lo, s10
	s_cbranch_execz .LBB2_6319
; %bb.6306:                             ;   in Loop: Header=BB2_6167 Depth=2
	v_and_b32_e32 v118, 0x7fffffff, v98
	v_mov_b32_e32 v119, v35
	v_and_b32_e32 v30, 0x80, v30
                                        ; implicit-def: $vgpr117
	s_mov_b32 s10, exec_lo
	s_delay_alu instid0(VALU_DEP_2)
	v_cmpx_gt_u64_e32 0x47600001, v[118:119]
	s_xor_b32 s29, exec_lo, s10
	s_cbranch_execz .LBB2_6316
; %bb.6307:                             ;   in Loop: Header=BB2_6167 Depth=2
	v_mov_b32_e32 v117, 0
	s_mov_b32 s40, exec_lo
	v_cmpx_ne_u32_e32 0, v98
	s_cbranch_execz .LBB2_6315
; %bb.6308:                             ;   in Loop: Header=BB2_6167 Depth=2
	v_bfe_u32 v117, v98, 23, 8
	v_or_b32_e32 v119, 0x800000, v96
	s_delay_alu instid0(VALU_DEP_2) | instskip(SKIP_1) | instid1(VALU_DEP_2)
	v_sub_nc_u32_e32 v98, 0x71, v117
	v_cmp_gt_u32_e32 vcc_lo, 0x72, v117
	v_cndmask_b32_e32 v98, 0, v98, vcc_lo
	v_cmp_eq_u32_e32 vcc_lo, 0, v117
	v_cndmask_b32_e32 v96, v119, v96, vcc_lo
	s_delay_alu instid0(VALU_DEP_3) | instskip(NEXT) | instid1(VALU_DEP_1)
	v_cndmask_b32_e64 v118, v98, 0x70, vcc_lo
	v_dual_add_nc_u32 v98, 21, v118 :: v_dual_add_nc_u32 v40, 20, v118
	s_delay_alu instid0(VALU_DEP_1) | instskip(NEXT) | instid1(VALU_DEP_2)
	v_lshlrev_b64_e64 v[98:99], v98, -1
	v_lshlrev_b64_e64 v[40:41], v40, 1
	s_delay_alu instid0(VALU_DEP_2) | instskip(SKIP_1) | instid1(VALU_DEP_4)
	v_bfi_b32 v98, v98, 0, v96
	v_lshrrev_b64 v[96:97], v118, v[96:97]
	v_bfi_b32 v99, v99, 0, 0
	s_delay_alu instid0(VALU_DEP_1) | instskip(NEXT) | instid1(VALU_DEP_3)
	v_cmp_eq_u64_e64 s10, v[98:99], v[40:41]
	v_mov_b64_e32 v[98:99], v[96:97]
	s_and_saveexec_b32 s41, s10
; %bb.6309:                             ;   in Loop: Header=BB2_6167 Depth=2
	v_bfe_u32 v98, v96, 21, 1
	v_mov_b32_e32 v99, v35
	s_delay_alu instid0(VALU_DEP_1) | instskip(NEXT) | instid1(VALU_DEP_1)
	v_add_nc_u64_e32 v[98:99], v[96:97], v[98:99]
	v_add_nc_u64_e32 v[98:99], -1, v[98:99]
; %bb.6310:                             ;   in Loop: Header=BB2_6167 Depth=2
	s_or_b32 exec_lo, exec_lo, s41
	v_add_nc_u32_e32 v97, 0xffffff81, v117
	v_lshrrev_b32_e32 v99, 23, v96
	s_mov_b32 s10, exec_lo
	s_delay_alu instid0(VALU_DEP_2) | instskip(NEXT) | instid1(VALU_DEP_1)
	v_cndmask_b32_e64 v97, v97, 0xffffff82, vcc_lo
	v_add3_u32 v99, v118, v97, v99
	v_and_b32_e32 v97, 0x1fffff, v98
                                        ; implicit-def: $vgpr98
	s_delay_alu instid0(VALU_DEP_1) | instskip(SKIP_1) | instid1(VALU_DEP_2)
	v_dual_add_nc_u32 v117, 14, v99 :: v_dual_add_nc_u32 v96, v97, v96
	v_mov_b32_e32 v97, v35
	v_cmpx_ne_u32_e32 0, v117
	s_xor_b32 s10, exec_lo, s10
; %bb.6311:                             ;   in Loop: Header=BB2_6167 Depth=2
	s_delay_alu instid0(VALU_DEP_2) | instskip(SKIP_2) | instid1(VALU_DEP_2)
	v_cmp_lt_u64_e32 vcc_lo, 0xffffff, v[96:97]
	v_add_nc_u32_e32 v98, 15, v99
	v_cndmask_b32_e64 v99, 0, 1, vcc_lo
	v_cndmask_b32_e32 v98, v117, v98, vcc_lo
	s_delay_alu instid0(VALU_DEP_2)
	v_lshrrev_b64 v[96:97], v99, v[96:97]
; %bb.6312:                             ;   in Loop: Header=BB2_6167 Depth=2
	s_and_not1_saveexec_b32 s10, s10
; %bb.6313:                             ;   in Loop: Header=BB2_6167 Depth=2
	s_delay_alu instid0(VALU_DEP_1)
	v_bfe_u32 v98, v96, 23, 1
; %bb.6314:                             ;   in Loop: Header=BB2_6167 Depth=2
	s_or_b32 exec_lo, exec_lo, s10
	s_delay_alu instid0(VALU_DEP_2) | instskip(NEXT) | instid1(VALU_DEP_2)
	v_lshrrev_b64 v[96:97], 21, v[96:97]
	v_cmp_gt_i32_e32 vcc_lo, 32, v98
	v_min_i32_e32 v99, 31, v98
	v_cmp_eq_u32_e64 s10, 0, v98
	s_delay_alu instid0(VALU_DEP_2) | instskip(SKIP_1) | instid1(VALU_DEP_2)
	v_dual_cndmask_b32 v97, 0, v97, vcc_lo :: v_dual_lshlrev_b32 v99, 2, v99
	v_cndmask_b32_e32 v96, 3, v96, vcc_lo
	v_and_b32_e32 v99, 0xfc, v99
	s_delay_alu instid0(VALU_DEP_2) | instskip(NEXT) | instid1(VALU_DEP_2)
	v_cmp_eq_u64_e32 vcc_lo, 0, v[96:97]
	v_and_or_b32 v96, v96, 3, v99
	s_and_b32 s10, s10, vcc_lo
	s_delay_alu instid0(VALU_DEP_1) | instid1(SALU_CYCLE_1)
	v_cndmask_b32_e64 v96, v96, 0, s10
	s_delay_alu instid0(VALU_DEP_1)
	v_or_b32_e32 v117, v96, v30
.LBB2_6315:                             ;   in Loop: Header=BB2_6167 Depth=2
	s_or_b32 exec_lo, exec_lo, s40
                                        ; implicit-def: $vgpr30
.LBB2_6316:                             ;   in Loop: Header=BB2_6167 Depth=2
	s_and_not1_saveexec_b32 s10, s29
; %bb.6317:                             ;   in Loop: Header=BB2_6167 Depth=2
	v_or_b32_e32 v117, 0x7b, v30
; %bb.6318:                             ;   in Loop: Header=BB2_6167 Depth=2
	s_or_b32 exec_lo, exec_lo, s10
                                        ; implicit-def: $vgpr98
                                        ; implicit-def: $vgpr96_vgpr97
                                        ; implicit-def: $vgpr30
.LBB2_6319:                             ;   in Loop: Header=BB2_6167 Depth=2
	s_and_not1_saveexec_b32 s10, s28
	s_cbranch_execz .LBB2_6325
; %bb.6320:                             ;   in Loop: Header=BB2_6167 Depth=2
	s_mov_b32 s28, exec_lo
                                        ; implicit-def: $vgpr117
	v_cmpx_ne_u64_e32 0, v[96:97]
	s_xor_b32 s28, exec_lo, s28
; %bb.6321:                             ;   in Loop: Header=BB2_6167 Depth=2
	v_or_b32_e32 v117, 0x7f, v30
                                        ; implicit-def: $vgpr98
; %bb.6322:                             ;   in Loop: Header=BB2_6167 Depth=2
	s_and_not1_saveexec_b32 s28, s28
; %bb.6323:                             ;   in Loop: Header=BB2_6167 Depth=2
	v_cmp_lt_i32_e32 vcc_lo, -1, v98
	v_cndmask_b32_e32 v117, 0xfc, v112, vcc_lo
; %bb.6324:                             ;   in Loop: Header=BB2_6167 Depth=2
	s_or_b32 exec_lo, exec_lo, s28
.LBB2_6325:                             ;   in Loop: Header=BB2_6167 Depth=2
	s_delay_alu instid0(SALU_CYCLE_1) | instskip(SKIP_3) | instid1(VALU_DEP_2)
	s_or_b32 exec_lo, exec_lo, s10
	v_lshrrev_b16 v96, 8, v34
	v_mov_b32_e32 v97, 0
	s_mov_b32 s10, exec_lo
	v_cmpx_ne_u16_e32 0, v96
	s_cbranch_execz .LBB2_6335
; %bb.6326:                             ;   in Loop: Header=BB2_6167 Depth=2
	v_bfrev_b32_e32 v97, 1
	s_mov_b32 s28, exec_lo
	v_cmpx_ne_u16_e32 0x80, v96
	s_cbranch_execz .LBB2_6334
; %bb.6327:                             ;   in Loop: Header=BB2_6167 Depth=2
	v_and_b32_e32 v98, 0xffff, v96
	s_delay_alu instid0(VALU_DEP_1) | instskip(SKIP_1) | instid1(VALU_DEP_2)
	v_and_b32_e32 v97, 0x7c, v98
	v_and_b32_e32 v30, 3, v98
	v_cmp_ne_u32_e32 vcc_lo, 0x7c, v97
                                        ; implicit-def: $vgpr97
	s_and_saveexec_b32 s29, vcc_lo
	s_delay_alu instid0(SALU_CYCLE_1)
	s_xor_b32 s29, exec_lo, s29
	s_cbranch_execz .LBB2_6331
; %bb.6328:                             ;   in Loop: Header=BB2_6167 Depth=2
	v_bfe_u32 v97, v98, 2, 5
	s_mov_b32 s40, exec_lo
	s_delay_alu instid0(VALU_DEP_1)
	v_cmpx_eq_u32_e32 0, v97
; %bb.6329:                             ;   in Loop: Header=BB2_6167 Depth=2
	v_clz_i32_u32_e32 v30, v30
	v_mov_b32_e32 v97, v35
	s_delay_alu instid0(VALU_DEP_2) | instskip(NEXT) | instid1(VALU_DEP_1)
	v_min_u32_e32 v30, 32, v30
	v_subrev_nc_u32_e32 v98, 29, v30
	s_delay_alu instid0(VALU_DEP_1) | instskip(NEXT) | instid1(VALU_DEP_1)
	v_lshlrev_b64_e32 v[96:97], v98, v[96:97]
	v_dual_sub_nc_u32 v97, 30, v30 :: v_dual_bitop2_b32 v30, 3, v96 bitop3:0x40
; %bb.6330:                             ;   in Loop: Header=BB2_6167 Depth=2
	s_or_b32 exec_lo, exec_lo, s40
	v_lshlrev_b32_e32 v34, 16, v34
	s_delay_alu instid0(VALU_DEP_1) | instskip(NEXT) | instid1(VALU_DEP_1)
	v_and_b32_e32 v34, 0x80000000, v34
	v_lshl_add_u32 v34, v97, 23, v34
	s_delay_alu instid0(VALU_DEP_1) | instskip(NEXT) | instid1(VALU_DEP_1)
	v_lshl_or_b32 v30, v30, 21, v34
	v_add_nc_u32_e32 v97, 0x38000000, v30
                                        ; implicit-def: $vgpr30
.LBB2_6331:                             ;   in Loop: Header=BB2_6167 Depth=2
	s_and_not1_saveexec_b32 s29, s29
; %bb.6332:                             ;   in Loop: Header=BB2_6167 Depth=2
	v_cmp_lt_i16_e32 vcc_lo, -1, v34
	v_cndmask_b32_e32 v34, 0xff800000, v103, vcc_lo
	v_cmp_eq_u32_e32 vcc_lo, 0, v30
	s_delay_alu instid0(VALU_DEP_2)
	v_cndmask_b32_e32 v97, 0x7f800001, v34, vcc_lo
; %bb.6333:                             ;   in Loop: Header=BB2_6167 Depth=2
	s_or_b32 exec_lo, exec_lo, s29
.LBB2_6334:                             ;   in Loop: Header=BB2_6167 Depth=2
	s_delay_alu instid0(SALU_CYCLE_1)
	s_or_b32 exec_lo, exec_lo, s28
.LBB2_6335:                             ;   in Loop: Header=BB2_6167 Depth=2
	s_delay_alu instid0(SALU_CYCLE_1) | instskip(NEXT) | instid1(VALU_DEP_1)
	s_or_b32 exec_lo, exec_lo, s10
	v_dual_mul_f32 v96, s27, v97 :: v_dual_mov_b32 v99, v35
                                        ; implicit-def: $vgpr118
	s_mov_b32 s10, exec_lo
	s_delay_alu instid0(VALU_DEP_1) | instskip(SKIP_2) | instid1(VALU_DEP_3)
	v_and_b32_e32 v98, 0x7f800000, v96
	v_and_b32_e32 v34, 0x7fffff, v96
	v_lshrrev_b32_e32 v30, 24, v96
	v_cmpx_ne_u64_e32 0x7f800000, v[98:99]
	s_xor_b32 s28, exec_lo, s10
	s_cbranch_execz .LBB2_6349
; %bb.6336:                             ;   in Loop: Header=BB2_6167 Depth=2
	v_and_b32_e32 v98, 0x7fffffff, v96
	v_mov_b32_e32 v99, v35
	v_and_b32_e32 v30, 0x80, v30
                                        ; implicit-def: $vgpr118
	s_mov_b32 s10, exec_lo
	s_delay_alu instid0(VALU_DEP_2)
	v_cmpx_gt_u64_e32 0x47600001, v[98:99]
	s_xor_b32 s29, exec_lo, s10
	s_cbranch_execz .LBB2_6346
; %bb.6337:                             ;   in Loop: Header=BB2_6167 Depth=2
	v_mov_b32_e32 v118, 0
	s_mov_b32 s40, exec_lo
	v_cmpx_ne_u32_e32 0, v96
	s_cbranch_execz .LBB2_6345
; %bb.6338:                             ;   in Loop: Header=BB2_6167 Depth=2
	v_bfe_u32 v118, v96, 23, 8
	v_or_b32_e32 v98, 0x800000, v34
	s_delay_alu instid0(VALU_DEP_2) | instskip(SKIP_1) | instid1(VALU_DEP_2)
	v_sub_nc_u32_e32 v96, 0x71, v118
	v_cmp_gt_u32_e32 vcc_lo, 0x72, v118
	v_cndmask_b32_e32 v96, 0, v96, vcc_lo
	v_cmp_eq_u32_e32 vcc_lo, 0, v118
	s_delay_alu instid0(VALU_DEP_2) | instskip(NEXT) | instid1(VALU_DEP_1)
	v_cndmask_b32_e64 v119, v96, 0x70, vcc_lo
	v_dual_cndmask_b32 v34, v98, v34, vcc_lo :: v_dual_add_nc_u32 v96, 21, v119
	v_add_nc_u32_e32 v99, 20, v119
	s_delay_alu instid0(VALU_DEP_2) | instskip(NEXT) | instid1(VALU_DEP_2)
	v_lshlrev_b64_e64 v[96:97], v96, -1
	v_lshlrev_b64_e64 v[98:99], v99, 1
	s_delay_alu instid0(VALU_DEP_2) | instskip(NEXT) | instid1(VALU_DEP_3)
	v_bfi_b32 v41, v97, 0, 0
	v_bfi_b32 v40, v96, 0, v34
	v_lshrrev_b64 v[96:97], v119, v[34:35]
	s_delay_alu instid0(VALU_DEP_2) | instskip(NEXT) | instid1(VALU_DEP_2)
	v_cmp_eq_u64_e64 s10, v[40:41], v[98:99]
	v_mov_b64_e32 v[98:99], v[96:97]
	s_and_saveexec_b32 s41, s10
; %bb.6339:                             ;   in Loop: Header=BB2_6167 Depth=2
	v_bfe_u32 v34, v96, 21, 1
	s_delay_alu instid0(VALU_DEP_1) | instskip(NEXT) | instid1(VALU_DEP_1)
	v_add_nc_u64_e32 v[98:99], v[96:97], v[34:35]
	v_add_nc_u64_e32 v[98:99], -1, v[98:99]
; %bb.6340:                             ;   in Loop: Header=BB2_6167 Depth=2
	s_or_b32 exec_lo, exec_lo, s41
	v_add_nc_u32_e32 v34, 0xffffff81, v118
	v_lshrrev_b32_e32 v97, 23, v96
	s_mov_b32 s10, exec_lo
	s_delay_alu instid0(VALU_DEP_2) | instskip(NEXT) | instid1(VALU_DEP_1)
	v_cndmask_b32_e64 v34, v34, 0xffffff82, vcc_lo
	v_add3_u32 v99, v119, v34, v97
	v_and_b32_e32 v34, 0x1fffff, v98
                                        ; implicit-def: $vgpr98
	s_delay_alu instid0(VALU_DEP_1) | instskip(NEXT) | instid1(VALU_DEP_1)
	v_dual_add_nc_u32 v118, 14, v99 :: v_dual_add_nc_u32 v34, v34, v96
                                        ; implicit-def: $vgpr96_vgpr97
	v_cmpx_ne_u32_e32 0, v118
	s_xor_b32 s10, exec_lo, s10
; %bb.6341:                             ;   in Loop: Header=BB2_6167 Depth=2
	s_delay_alu instid0(VALU_DEP_2) | instskip(SKIP_1) | instid1(VALU_DEP_1)
	v_cmp_lt_u64_e32 vcc_lo, 0xffffff, v[34:35]
	v_add_nc_u32_e32 v96, 15, v99
	v_cndmask_b32_e32 v98, v118, v96, vcc_lo
	v_cndmask_b32_e64 v96, 0, 1, vcc_lo
	s_delay_alu instid0(VALU_DEP_1)
	v_lshrrev_b64 v[96:97], v96, v[34:35]
; %bb.6342:                             ;   in Loop: Header=BB2_6167 Depth=2
	s_and_not1_saveexec_b32 s10, s10
; %bb.6343:                             ;   in Loop: Header=BB2_6167 Depth=2
	v_mov_b64_e32 v[96:97], v[34:35]
	v_bfe_u32 v98, v34, 23, 1
; %bb.6344:                             ;   in Loop: Header=BB2_6167 Depth=2
	s_or_b32 exec_lo, exec_lo, s10
	s_delay_alu instid0(VALU_DEP_2) | instskip(NEXT) | instid1(VALU_DEP_2)
	v_lshrrev_b64 v[96:97], 21, v[96:97]
	v_cmp_gt_i32_e32 vcc_lo, 32, v98
	v_min_i32_e32 v34, 31, v98
	v_cmp_eq_u32_e64 s10, 0, v98
	s_delay_alu instid0(VALU_DEP_2) | instskip(SKIP_1) | instid1(VALU_DEP_2)
	v_dual_cndmask_b32 v97, 0, v97 :: v_dual_lshlrev_b32 v34, 2, v34
	v_cndmask_b32_e32 v96, 3, v96, vcc_lo
	v_and_b32_e32 v34, 0xfc, v34
	s_delay_alu instid0(VALU_DEP_2) | instskip(NEXT) | instid1(VALU_DEP_2)
	v_cmp_eq_u64_e32 vcc_lo, 0, v[96:97]
	v_and_or_b32 v34, v96, 3, v34
	s_and_b32 s10, s10, vcc_lo
	s_delay_alu instid0(VALU_DEP_1) | instid1(SALU_CYCLE_1)
	v_cndmask_b32_e64 v34, v34, 0, s10
	s_delay_alu instid0(VALU_DEP_1)
	v_or_b32_e32 v118, v34, v30
.LBB2_6345:                             ;   in Loop: Header=BB2_6167 Depth=2
	s_or_b32 exec_lo, exec_lo, s40
                                        ; implicit-def: $vgpr30
.LBB2_6346:                             ;   in Loop: Header=BB2_6167 Depth=2
	s_and_not1_saveexec_b32 s10, s29
; %bb.6347:                             ;   in Loop: Header=BB2_6167 Depth=2
	v_or_b32_e32 v118, 0x7b, v30
; %bb.6348:                             ;   in Loop: Header=BB2_6167 Depth=2
	s_or_b32 exec_lo, exec_lo, s10
                                        ; implicit-def: $vgpr96
                                        ; implicit-def: $vgpr30
.LBB2_6349:                             ;   in Loop: Header=BB2_6167 Depth=2
	s_and_not1_saveexec_b32 s10, s28
	s_cbranch_execz .LBB2_6355
; %bb.6350:                             ;   in Loop: Header=BB2_6167 Depth=2
	s_mov_b32 s28, exec_lo
                                        ; implicit-def: $vgpr118
	v_cmpx_ne_u64_e32 0, v[34:35]
	s_xor_b32 s28, exec_lo, s28
; %bb.6351:                             ;   in Loop: Header=BB2_6167 Depth=2
	v_or_b32_e32 v118, 0x7f, v30
                                        ; implicit-def: $vgpr96
; %bb.6352:                             ;   in Loop: Header=BB2_6167 Depth=2
	s_and_not1_saveexec_b32 s28, s28
; %bb.6353:                             ;   in Loop: Header=BB2_6167 Depth=2
	v_cmp_lt_i32_e32 vcc_lo, -1, v96
	v_cndmask_b32_e32 v118, 0xfc, v112, vcc_lo
; %bb.6354:                             ;   in Loop: Header=BB2_6167 Depth=2
	s_or_b32 exec_lo, exec_lo, s28
.LBB2_6355:                             ;   in Loop: Header=BB2_6167 Depth=2
	s_delay_alu instid0(SALU_CYCLE_1) | instskip(SKIP_2) | instid1(VALU_DEP_1)
	s_or_b32 exec_lo, exec_lo, s10
	v_dual_lshrrev_b32 v30, 16, v11 :: v_dual_mov_b32 v34, 0
	s_mov_b32 s10, exec_lo
	v_and_b32_e32 v96, 0xff, v30
	s_delay_alu instid0(VALU_DEP_1)
	v_cmpx_ne_u16_e32 0, v96
	s_cbranch_execz .LBB2_6365
; %bb.6356:                             ;   in Loop: Header=BB2_6167 Depth=2
	v_bfrev_b32_e32 v34, 1
	s_mov_b32 s28, exec_lo
	v_cmpx_ne_u16_e32 0x80, v96
	s_cbranch_execz .LBB2_6364
; %bb.6357:                             ;   in Loop: Header=BB2_6167 Depth=2
	v_and_b32_e32 v34, 0x7c0000, v11
	v_bfe_u32 v96, v11, 16, 2
	s_delay_alu instid0(VALU_DEP_2) | instskip(SKIP_1) | instid1(SALU_CYCLE_1)
	v_cmp_ne_u32_e32 vcc_lo, 0x7c0000, v34
                                        ; implicit-def: $vgpr34
	s_and_saveexec_b32 s29, vcc_lo
	s_xor_b32 s29, exec_lo, s29
	s_cbranch_execz .LBB2_6361
; %bb.6358:                             ;   in Loop: Header=BB2_6167 Depth=2
	v_bfe_u32 v34, v11, 18, 5
	s_mov_b32 s40, exec_lo
	s_delay_alu instid0(VALU_DEP_1)
	v_cmpx_eq_u32_e32 0, v34
; %bb.6359:                             ;   in Loop: Header=BB2_6167 Depth=2
	v_clz_i32_u32_e32 v34, v96
	s_delay_alu instid0(VALU_DEP_1) | instskip(NEXT) | instid1(VALU_DEP_1)
	v_min_u32_e32 v34, 32, v34
	v_subrev_nc_u32_e32 v96, 29, v34
	s_delay_alu instid0(VALU_DEP_1) | instskip(NEXT) | instid1(VALU_DEP_1)
	v_lshlrev_b64_e32 v[96:97], v96, v[30:31]
	v_dual_sub_nc_u32 v34, 30, v34 :: v_dual_bitop2_b32 v96, 3, v96 bitop3:0x40
; %bb.6360:                             ;   in Loop: Header=BB2_6167 Depth=2
	s_or_b32 exec_lo, exec_lo, s40
	v_lshlrev_b32_e32 v30, 24, v30
	s_delay_alu instid0(VALU_DEP_1) | instskip(NEXT) | instid1(VALU_DEP_1)
	v_and_b32_e32 v30, 0x80000000, v30
	v_lshl_add_u32 v30, v34, 23, v30
	s_delay_alu instid0(VALU_DEP_1) | instskip(NEXT) | instid1(VALU_DEP_1)
	v_lshl_or_b32 v30, v96, 21, v30
                                        ; implicit-def: $vgpr96
	v_add_nc_u32_e32 v34, 0x38000000, v30
                                        ; implicit-def: $vgpr30
.LBB2_6361:                             ;   in Loop: Header=BB2_6167 Depth=2
	s_and_not1_saveexec_b32 s29, s29
; %bb.6362:                             ;   in Loop: Header=BB2_6167 Depth=2
	v_bfe_i32 v30, v30, 0, 8
	s_delay_alu instid0(VALU_DEP_1) | instskip(SKIP_2) | instid1(VALU_DEP_2)
	v_cmp_lt_i16_e32 vcc_lo, -1, v30
	v_cndmask_b32_e32 v30, 0xff800000, v103, vcc_lo
	v_cmp_eq_u32_e32 vcc_lo, 0, v96
	v_cndmask_b32_e32 v34, 0x7f800001, v30, vcc_lo
; %bb.6363:                             ;   in Loop: Header=BB2_6167 Depth=2
	s_or_b32 exec_lo, exec_lo, s29
.LBB2_6364:                             ;   in Loop: Header=BB2_6167 Depth=2
	s_delay_alu instid0(SALU_CYCLE_1)
	s_or_b32 exec_lo, exec_lo, s28
.LBB2_6365:                             ;   in Loop: Header=BB2_6167 Depth=2
	s_delay_alu instid0(SALU_CYCLE_1) | instskip(NEXT) | instid1(VALU_DEP_1)
	s_or_b32 exec_lo, exec_lo, s10
	v_dual_mul_f32 v96, s27, v34 :: v_dual_mov_b32 v99, v35
	s_delay_alu instid0(VALU_DEP_1) | instskip(SKIP_2) | instid1(VALU_DEP_3)
	v_and_b32_e32 v98, 0x7f800000, v96
	v_and_b32_e32 v34, 0x7fffff, v96
	v_lshrrev_b32_e32 v30, 24, v96
	v_cmp_ne_u64_e32 vcc_lo, 0x7f800000, v[98:99]
                                        ; implicit-def: $vgpr98
	s_and_saveexec_b32 s10, vcc_lo
	s_delay_alu instid0(SALU_CYCLE_1)
	s_xor_b32 s28, exec_lo, s10
	s_cbranch_execz .LBB2_6379
; %bb.6366:                             ;   in Loop: Header=BB2_6167 Depth=2
	v_and_b32_e32 v98, 0x7fffffff, v96
	v_mov_b32_e32 v99, v35
	v_and_b32_e32 v30, 0x80, v30
	s_delay_alu instid0(VALU_DEP_2) | instskip(SKIP_1) | instid1(SALU_CYCLE_1)
	v_cmp_gt_u64_e32 vcc_lo, 0x47600001, v[98:99]
                                        ; implicit-def: $vgpr98
	s_and_saveexec_b32 s10, vcc_lo
	s_xor_b32 s29, exec_lo, s10
	s_cbranch_execz .LBB2_6376
; %bb.6367:                             ;   in Loop: Header=BB2_6167 Depth=2
	v_mov_b32_e32 v98, 0
	s_mov_b32 s40, exec_lo
	v_cmpx_ne_u32_e32 0, v96
	s_cbranch_execz .LBB2_6375
; %bb.6368:                             ;   in Loop: Header=BB2_6167 Depth=2
	v_bfe_u32 v119, v96, 23, 8
	v_or_b32_e32 v98, 0x800000, v34
	s_delay_alu instid0(VALU_DEP_2) | instskip(SKIP_1) | instid1(VALU_DEP_2)
	v_sub_nc_u32_e32 v96, 0x71, v119
	v_cmp_gt_u32_e32 vcc_lo, 0x72, v119
	v_cndmask_b32_e32 v96, 0, v96, vcc_lo
	v_cmp_eq_u32_e32 vcc_lo, 0, v119
	v_cndmask_b32_e32 v34, v98, v34, vcc_lo
	s_delay_alu instid0(VALU_DEP_3) | instskip(NEXT) | instid1(VALU_DEP_1)
	v_cndmask_b32_e64 v40, v96, 0x70, vcc_lo
	v_dual_add_nc_u32 v96, 21, v40 :: v_dual_add_nc_u32 v99, 20, v40
	s_delay_alu instid0(VALU_DEP_1) | instskip(NEXT) | instid1(VALU_DEP_2)
	v_lshlrev_b64_e64 v[96:97], v96, -1
	v_lshlrev_b64_e64 v[98:99], v99, 1
	s_delay_alu instid0(VALU_DEP_2) | instskip(NEXT) | instid1(VALU_DEP_3)
	v_bfi_b32 v43, v97, 0, 0
	v_bfi_b32 v42, v96, 0, v34
	v_lshrrev_b64 v[96:97], v40, v[34:35]
	s_delay_alu instid0(VALU_DEP_2) | instskip(NEXT) | instid1(VALU_DEP_2)
	v_cmp_eq_u64_e64 s10, v[42:43], v[98:99]
	v_mov_b64_e32 v[98:99], v[96:97]
	s_and_saveexec_b32 s41, s10
; %bb.6369:                             ;   in Loop: Header=BB2_6167 Depth=2
	v_bfe_u32 v34, v96, 21, 1
	s_delay_alu instid0(VALU_DEP_1) | instskip(NEXT) | instid1(VALU_DEP_1)
	v_add_nc_u64_e32 v[98:99], v[96:97], v[34:35]
	v_add_nc_u64_e32 v[98:99], -1, v[98:99]
; %bb.6370:                             ;   in Loop: Header=BB2_6167 Depth=2
	s_or_b32 exec_lo, exec_lo, s41
	v_add_nc_u32_e32 v34, 0xffffff81, v119
	v_lshrrev_b32_e32 v97, 23, v96
	s_mov_b32 s10, exec_lo
	s_delay_alu instid0(VALU_DEP_2) | instskip(NEXT) | instid1(VALU_DEP_1)
	v_cndmask_b32_e64 v34, v34, 0xffffff82, vcc_lo
	v_add3_u32 v99, v40, v34, v97
	v_and_b32_e32 v34, 0x1fffff, v98
                                        ; implicit-def: $vgpr98
	s_delay_alu instid0(VALU_DEP_1) | instskip(NEXT) | instid1(VALU_DEP_1)
	v_dual_add_nc_u32 v119, 14, v99 :: v_dual_add_nc_u32 v34, v34, v96
                                        ; implicit-def: $vgpr96_vgpr97
	v_cmpx_ne_u32_e32 0, v119
	s_xor_b32 s10, exec_lo, s10
; %bb.6371:                             ;   in Loop: Header=BB2_6167 Depth=2
	s_delay_alu instid0(VALU_DEP_2) | instskip(SKIP_1) | instid1(VALU_DEP_1)
	v_cmp_lt_u64_e32 vcc_lo, 0xffffff, v[34:35]
	v_add_nc_u32_e32 v96, 15, v99
	v_cndmask_b32_e32 v98, v119, v96, vcc_lo
	v_cndmask_b32_e64 v96, 0, 1, vcc_lo
	s_delay_alu instid0(VALU_DEP_1)
	v_lshrrev_b64 v[96:97], v96, v[34:35]
; %bb.6372:                             ;   in Loop: Header=BB2_6167 Depth=2
	s_and_not1_saveexec_b32 s10, s10
; %bb.6373:                             ;   in Loop: Header=BB2_6167 Depth=2
	v_mov_b64_e32 v[96:97], v[34:35]
	v_bfe_u32 v98, v34, 23, 1
; %bb.6374:                             ;   in Loop: Header=BB2_6167 Depth=2
	s_or_b32 exec_lo, exec_lo, s10
	s_delay_alu instid0(VALU_DEP_2) | instskip(NEXT) | instid1(VALU_DEP_2)
	v_lshrrev_b64 v[96:97], 21, v[96:97]
	v_cmp_gt_i32_e32 vcc_lo, 32, v98
	v_min_i32_e32 v34, 31, v98
	v_cmp_eq_u32_e64 s10, 0, v98
	s_delay_alu instid0(VALU_DEP_2) | instskip(SKIP_1) | instid1(VALU_DEP_2)
	v_dual_cndmask_b32 v97, 0, v97 :: v_dual_lshlrev_b32 v34, 2, v34
	v_cndmask_b32_e32 v96, 3, v96, vcc_lo
	v_and_b32_e32 v34, 0xfc, v34
	s_delay_alu instid0(VALU_DEP_2) | instskip(NEXT) | instid1(VALU_DEP_2)
	v_cmp_eq_u64_e32 vcc_lo, 0, v[96:97]
	v_and_or_b32 v34, v96, 3, v34
	s_and_b32 s10, s10, vcc_lo
	s_delay_alu instid0(VALU_DEP_1) | instid1(SALU_CYCLE_1)
	v_cndmask_b32_e64 v34, v34, 0, s10
	s_delay_alu instid0(VALU_DEP_1)
	v_or_b32_e32 v98, v34, v30
.LBB2_6375:                             ;   in Loop: Header=BB2_6167 Depth=2
	s_or_b32 exec_lo, exec_lo, s40
                                        ; implicit-def: $vgpr30
.LBB2_6376:                             ;   in Loop: Header=BB2_6167 Depth=2
	s_and_not1_saveexec_b32 s10, s29
; %bb.6377:                             ;   in Loop: Header=BB2_6167 Depth=2
	v_or_b32_e32 v98, 0x7b, v30
; %bb.6378:                             ;   in Loop: Header=BB2_6167 Depth=2
	s_or_b32 exec_lo, exec_lo, s10
                                        ; implicit-def: $vgpr96
                                        ; implicit-def: $vgpr30
.LBB2_6379:                             ;   in Loop: Header=BB2_6167 Depth=2
	s_and_not1_saveexec_b32 s10, s28
	s_cbranch_execz .LBB2_6385
; %bb.6380:                             ;   in Loop: Header=BB2_6167 Depth=2
	s_mov_b32 s28, exec_lo
                                        ; implicit-def: $vgpr98
	v_cmpx_ne_u64_e32 0, v[34:35]
	s_xor_b32 s28, exec_lo, s28
; %bb.6381:                             ;   in Loop: Header=BB2_6167 Depth=2
	v_or_b32_e32 v98, 0x7f, v30
                                        ; implicit-def: $vgpr96
; %bb.6382:                             ;   in Loop: Header=BB2_6167 Depth=2
	s_and_not1_saveexec_b32 s28, s28
; %bb.6383:                             ;   in Loop: Header=BB2_6167 Depth=2
	v_cmp_lt_i32_e32 vcc_lo, -1, v96
	v_cndmask_b32_e32 v98, 0xfc, v112, vcc_lo
; %bb.6384:                             ;   in Loop: Header=BB2_6167 Depth=2
	s_or_b32 exec_lo, exec_lo, s28
.LBB2_6385:                             ;   in Loop: Header=BB2_6167 Depth=2
	s_delay_alu instid0(SALU_CYCLE_1)
	s_or_b32 exec_lo, exec_lo, s10
	v_mov_b32_e32 v34, 0
	s_mov_b32 s10, exec_lo
	v_cmpx_lt_u64_e64 s[12:13], v[10:11]
	s_cbranch_execz .LBB2_6395
; %bb.6386:                             ;   in Loop: Header=BB2_6167 Depth=2
	v_lshrrev_b32_e32 v30, 24, v11
	v_bfrev_b32_e32 v34, 1
	s_mov_b32 s28, exec_lo
	s_delay_alu instid0(VALU_DEP_2)
	v_cmpx_ne_u32_e32 0x80, v30
	s_cbranch_execz .LBB2_6394
; %bb.6387:                             ;   in Loop: Header=BB2_6167 Depth=2
	v_and_b32_e32 v34, 0x7c000000, v11
	v_bfe_u32 v96, v11, 24, 2
	s_delay_alu instid0(VALU_DEP_2) | instskip(SKIP_1) | instid1(SALU_CYCLE_1)
	v_cmp_ne_u32_e32 vcc_lo, 0x7c000000, v34
                                        ; implicit-def: $vgpr34
	s_and_saveexec_b32 s29, vcc_lo
	s_xor_b32 s29, exec_lo, s29
	s_cbranch_execz .LBB2_6391
; %bb.6388:                             ;   in Loop: Header=BB2_6167 Depth=2
	v_bfe_u32 v34, v11, 26, 5
	s_mov_b32 s40, exec_lo
	s_delay_alu instid0(VALU_DEP_1)
	v_cmpx_eq_u32_e32 0, v34
; %bb.6389:                             ;   in Loop: Header=BB2_6167 Depth=2
	v_clz_i32_u32_e32 v34, v96
	s_delay_alu instid0(VALU_DEP_1) | instskip(NEXT) | instid1(VALU_DEP_1)
	v_min_u32_e32 v34, 32, v34
	v_subrev_nc_u32_e32 v96, 29, v34
	s_delay_alu instid0(VALU_DEP_1) | instskip(NEXT) | instid1(VALU_DEP_1)
	v_lshlrev_b64_e32 v[96:97], v96, v[30:31]
	v_dual_sub_nc_u32 v34, 30, v34 :: v_dual_bitop2_b32 v96, 3, v96 bitop3:0x40
; %bb.6390:                             ;   in Loop: Header=BB2_6167 Depth=2
	s_or_b32 exec_lo, exec_lo, s40
	v_and_b32_e32 v30, 0x80000000, v11
	s_delay_alu instid0(VALU_DEP_1) | instskip(NEXT) | instid1(VALU_DEP_1)
	v_lshl_add_u32 v30, v34, 23, v30
	v_lshl_or_b32 v30, v96, 21, v30
                                        ; implicit-def: $vgpr96
	s_delay_alu instid0(VALU_DEP_1)
	v_add_nc_u32_e32 v34, 0x38000000, v30
.LBB2_6391:                             ;   in Loop: Header=BB2_6167 Depth=2
	s_and_not1_saveexec_b32 s29, s29
; %bb.6392:                             ;   in Loop: Header=BB2_6167 Depth=2
	v_cmp_lt_i64_e32 vcc_lo, -1, v[10:11]
	v_cndmask_b32_e32 v10, 0xff800000, v103, vcc_lo
	v_cmp_eq_u32_e32 vcc_lo, 0, v96
	s_delay_alu instid0(VALU_DEP_2)
	v_cndmask_b32_e32 v34, 0x7f800001, v10, vcc_lo
; %bb.6393:                             ;   in Loop: Header=BB2_6167 Depth=2
	s_or_b32 exec_lo, exec_lo, s29
.LBB2_6394:                             ;   in Loop: Header=BB2_6167 Depth=2
	s_delay_alu instid0(SALU_CYCLE_1)
	s_or_b32 exec_lo, exec_lo, s28
.LBB2_6395:                             ;   in Loop: Header=BB2_6167 Depth=2
	s_delay_alu instid0(SALU_CYCLE_1) | instskip(NEXT) | instid1(VALU_DEP_1)
	s_or_b32 exec_lo, exec_lo, s10
	v_dual_mul_f32 v10, s27, v34 :: v_dual_mov_b32 v97, v35
                                        ; implicit-def: $vgpr99
	s_mov_b32 s10, exec_lo
	s_delay_alu instid0(VALU_DEP_1) | instskip(SKIP_2) | instid1(VALU_DEP_3)
	v_and_b32_e32 v96, 0x7f800000, v10
	v_and_b32_e32 v34, 0x7fffff, v10
	v_lshrrev_b32_e32 v11, 24, v10
	v_cmpx_ne_u64_e32 0x7f800000, v[96:97]
	s_xor_b32 s28, exec_lo, s10
	s_cbranch_execz .LBB2_6409
; %bb.6396:                             ;   in Loop: Header=BB2_6167 Depth=2
	v_and_b32_e32 v96, 0x7fffffff, v10
	v_mov_b32_e32 v97, v35
	v_and_b32_e32 v30, 0x80, v11
                                        ; implicit-def: $vgpr99
	s_mov_b32 s10, exec_lo
	s_delay_alu instid0(VALU_DEP_2)
	v_cmpx_gt_u64_e32 0x47600001, v[96:97]
	s_xor_b32 s29, exec_lo, s10
	s_cbranch_execz .LBB2_6406
; %bb.6397:                             ;   in Loop: Header=BB2_6167 Depth=2
	v_mov_b32_e32 v99, 0
	s_mov_b32 s40, exec_lo
	v_cmpx_ne_u32_e32 0, v10
	s_cbranch_execz .LBB2_6405
; %bb.6398:                             ;   in Loop: Header=BB2_6167 Depth=2
	v_bfe_u32 v99, v10, 23, 8
	v_or_b32_e32 v96, 0x800000, v34
	s_delay_alu instid0(VALU_DEP_2) | instskip(SKIP_1) | instid1(VALU_DEP_2)
	v_sub_nc_u32_e32 v10, 0x71, v99
	v_cmp_gt_u32_e32 vcc_lo, 0x72, v99
	v_cndmask_b32_e32 v10, 0, v10, vcc_lo
	v_cmp_eq_u32_e32 vcc_lo, 0, v99
	s_delay_alu instid0(VALU_DEP_2) | instskip(NEXT) | instid1(VALU_DEP_1)
	v_cndmask_b32_e64 v119, v10, 0x70, vcc_lo
	v_dual_cndmask_b32 v34, v96, v34, vcc_lo :: v_dual_add_nc_u32 v10, 21, v119
	v_add_nc_u32_e32 v97, 20, v119
	s_delay_alu instid0(VALU_DEP_2) | instskip(NEXT) | instid1(VALU_DEP_2)
	v_lshlrev_b64_e64 v[10:11], v10, -1
	v_lshlrev_b64_e64 v[96:97], v97, 1
	s_delay_alu instid0(VALU_DEP_2) | instskip(NEXT) | instid1(VALU_DEP_3)
	v_bfi_b32 v41, v11, 0, 0
	v_bfi_b32 v40, v10, 0, v34
	v_lshrrev_b64 v[10:11], v119, v[34:35]
	s_delay_alu instid0(VALU_DEP_2) | instskip(NEXT) | instid1(VALU_DEP_2)
	v_cmp_eq_u64_e64 s10, v[40:41], v[96:97]
	v_mov_b64_e32 v[96:97], v[10:11]
	s_and_saveexec_b32 s41, s10
; %bb.6399:                             ;   in Loop: Header=BB2_6167 Depth=2
	v_bfe_u32 v34, v10, 21, 1
	s_delay_alu instid0(VALU_DEP_1) | instskip(NEXT) | instid1(VALU_DEP_1)
	v_add_nc_u64_e32 v[96:97], v[10:11], v[34:35]
	v_add_nc_u64_e32 v[96:97], -1, v[96:97]
; %bb.6400:                             ;   in Loop: Header=BB2_6167 Depth=2
	s_or_b32 exec_lo, exec_lo, s41
	v_add_nc_u32_e32 v11, 0xffffff81, v99
	v_lshrrev_b32_e32 v34, 23, v10
	s_mov_b32 s10, exec_lo
	s_delay_alu instid0(VALU_DEP_2) | instskip(NEXT) | instid1(VALU_DEP_1)
	v_cndmask_b32_e64 v11, v11, 0xffffff82, vcc_lo
	v_add3_u32 v97, v119, v11, v34
	v_and_b32_e32 v11, 0x1fffff, v96
                                        ; implicit-def: $vgpr96
	s_delay_alu instid0(VALU_DEP_1) | instskip(NEXT) | instid1(VALU_DEP_1)
	v_dual_add_nc_u32 v99, 14, v97 :: v_dual_add_nc_u32 v34, v11, v10
                                        ; implicit-def: $vgpr10_vgpr11
	v_cmpx_ne_u32_e32 0, v99
	s_xor_b32 s10, exec_lo, s10
; %bb.6401:                             ;   in Loop: Header=BB2_6167 Depth=2
	s_delay_alu instid0(VALU_DEP_2) | instskip(SKIP_1) | instid1(VALU_DEP_1)
	v_cmp_lt_u64_e32 vcc_lo, 0xffffff, v[34:35]
	v_add_nc_u32_e32 v10, 15, v97
	v_cndmask_b32_e32 v96, v99, v10, vcc_lo
	v_cndmask_b32_e64 v10, 0, 1, vcc_lo
	s_delay_alu instid0(VALU_DEP_1)
	v_lshrrev_b64 v[10:11], v10, v[34:35]
; %bb.6402:                             ;   in Loop: Header=BB2_6167 Depth=2
	s_and_not1_saveexec_b32 s10, s10
; %bb.6403:                             ;   in Loop: Header=BB2_6167 Depth=2
	v_mov_b64_e32 v[10:11], v[34:35]
	v_bfe_u32 v96, v34, 23, 1
; %bb.6404:                             ;   in Loop: Header=BB2_6167 Depth=2
	s_or_b32 exec_lo, exec_lo, s10
	s_delay_alu instid0(VALU_DEP_2) | instskip(NEXT) | instid1(VALU_DEP_2)
	v_lshrrev_b64 v[10:11], 21, v[10:11]
	v_cmp_gt_i32_e32 vcc_lo, 32, v96
	v_min_i32_e32 v34, 31, v96
	v_cmp_eq_u32_e64 s10, 0, v96
	s_delay_alu instid0(VALU_DEP_2) | instskip(SKIP_1) | instid1(VALU_DEP_2)
	v_dual_cndmask_b32 v11, 0, v11 :: v_dual_lshlrev_b32 v34, 2, v34
	v_cndmask_b32_e32 v10, 3, v10, vcc_lo
	v_and_b32_e32 v34, 0xfc, v34
	s_delay_alu instid0(VALU_DEP_2) | instskip(NEXT) | instid1(VALU_DEP_2)
	v_cmp_eq_u64_e32 vcc_lo, 0, v[10:11]
	v_and_or_b32 v10, v10, 3, v34
	s_and_b32 s10, s10, vcc_lo
	s_delay_alu instid0(VALU_DEP_1) | instid1(SALU_CYCLE_1)
	v_cndmask_b32_e64 v10, v10, 0, s10
	s_delay_alu instid0(VALU_DEP_1)
	v_or_b32_e32 v99, v10, v30
.LBB2_6405:                             ;   in Loop: Header=BB2_6167 Depth=2
	s_or_b32 exec_lo, exec_lo, s40
                                        ; implicit-def: $vgpr30
.LBB2_6406:                             ;   in Loop: Header=BB2_6167 Depth=2
	s_and_not1_saveexec_b32 s10, s29
; %bb.6407:                             ;   in Loop: Header=BB2_6167 Depth=2
	v_or_b32_e32 v99, 0x7b, v30
; %bb.6408:                             ;   in Loop: Header=BB2_6167 Depth=2
	s_or_b32 exec_lo, exec_lo, s10
                                        ; implicit-def: $vgpr10
                                        ; implicit-def: $vgpr11
.LBB2_6409:                             ;   in Loop: Header=BB2_6167 Depth=2
	s_and_not1_saveexec_b32 s10, s28
	s_cbranch_execz .LBB2_6415
; %bb.6410:                             ;   in Loop: Header=BB2_6167 Depth=2
	s_mov_b32 s28, exec_lo
                                        ; implicit-def: $vgpr99
	v_cmpx_ne_u64_e32 0, v[34:35]
	s_xor_b32 s28, exec_lo, s28
; %bb.6411:                             ;   in Loop: Header=BB2_6167 Depth=2
	v_or_b32_e32 v99, 0x7f, v11
                                        ; implicit-def: $vgpr10
; %bb.6412:                             ;   in Loop: Header=BB2_6167 Depth=2
	s_and_not1_saveexec_b32 s28, s28
; %bb.6413:                             ;   in Loop: Header=BB2_6167 Depth=2
	v_cmp_lt_i32_e32 vcc_lo, -1, v10
	v_cndmask_b32_e32 v99, 0xfc, v112, vcc_lo
; %bb.6414:                             ;   in Loop: Header=BB2_6167 Depth=2
	s_or_b32 exec_lo, exec_lo, s28
.LBB2_6415:                             ;   in Loop: Header=BB2_6167 Depth=2
	s_delay_alu instid0(SALU_CYCLE_1) | instskip(SKIP_1) | instid1(VALU_DEP_1)
	s_or_b32 exec_lo, exec_lo, s10
	v_and_b32_e32 v10, 0xff, v12
	v_cmp_ne_u16_e32 vcc_lo, 0, v10
	v_mov_b32_e32 v10, 0
	s_and_saveexec_b32 s10, vcc_lo
	s_cbranch_execz .LBB2_6425
; %bb.6416:                             ;   in Loop: Header=BB2_6167 Depth=2
	v_bfe_i32 v30, v12, 0, 8
	v_bfrev_b32_e32 v10, 1
	s_mov_b32 s28, exec_lo
	s_delay_alu instid0(VALU_DEP_2)
	v_cmpx_ne_u16_e32 0xff80, v30
	s_cbranch_execz .LBB2_6424
; %bb.6417:                             ;   in Loop: Header=BB2_6167 Depth=2
	v_and_b32_e32 v10, 0x7c, v12
	v_and_b32_e32 v11, 3, v12
	s_delay_alu instid0(VALU_DEP_2) | instskip(SKIP_1) | instid1(SALU_CYCLE_1)
	v_cmp_ne_u32_e32 vcc_lo, 0x7c, v10
                                        ; implicit-def: $vgpr10
	s_and_saveexec_b32 s29, vcc_lo
	s_xor_b32 s29, exec_lo, s29
	s_cbranch_execz .LBB2_6421
; %bb.6418:                             ;   in Loop: Header=BB2_6167 Depth=2
	v_bfe_u32 v10, v12, 2, 5
	s_mov_b32 s40, exec_lo
	s_delay_alu instid0(VALU_DEP_1)
	v_cmpx_eq_u32_e32 0, v10
; %bb.6419:                             ;   in Loop: Header=BB2_6167 Depth=2
	v_clz_i32_u32_e32 v10, v11
	s_delay_alu instid0(VALU_DEP_1) | instskip(NEXT) | instid1(VALU_DEP_1)
	v_min_u32_e32 v10, 32, v10
	v_subrev_nc_u32_e32 v11, 29, v10
	s_delay_alu instid0(VALU_DEP_1) | instskip(NEXT) | instid1(VALU_DEP_1)
	v_lshlrev_b64_e32 v[96:97], v11, v[12:13]
	v_dual_sub_nc_u32 v10, 30, v10 :: v_dual_bitop2_b32 v11, 3, v96 bitop3:0x40
; %bb.6420:                             ;   in Loop: Header=BB2_6167 Depth=2
	s_or_b32 exec_lo, exec_lo, s40
	v_lshlrev_b32_e32 v30, 24, v12
	s_delay_alu instid0(VALU_DEP_1) | instskip(NEXT) | instid1(VALU_DEP_1)
	v_and_b32_e32 v30, 0x80000000, v30
	v_lshl_add_u32 v10, v10, 23, v30
                                        ; implicit-def: $vgpr30
	s_delay_alu instid0(VALU_DEP_1) | instskip(NEXT) | instid1(VALU_DEP_1)
	v_lshl_or_b32 v10, v11, 21, v10
                                        ; implicit-def: $vgpr11
	v_add_nc_u32_e32 v10, 0x38000000, v10
.LBB2_6421:                             ;   in Loop: Header=BB2_6167 Depth=2
	s_and_not1_saveexec_b32 s29, s29
; %bb.6422:                             ;   in Loop: Header=BB2_6167 Depth=2
	v_cmp_lt_i16_e32 vcc_lo, -1, v30
	v_cndmask_b32_e32 v10, 0xff800000, v103, vcc_lo
	v_cmp_eq_u32_e32 vcc_lo, 0, v11
	s_delay_alu instid0(VALU_DEP_2)
	v_cndmask_b32_e32 v10, 0x7f800001, v10, vcc_lo
; %bb.6423:                             ;   in Loop: Header=BB2_6167 Depth=2
	s_or_b32 exec_lo, exec_lo, s29
.LBB2_6424:                             ;   in Loop: Header=BB2_6167 Depth=2
	s_delay_alu instid0(SALU_CYCLE_1)
	s_or_b32 exec_lo, exec_lo, s28
.LBB2_6425:                             ;   in Loop: Header=BB2_6167 Depth=2
	s_delay_alu instid0(SALU_CYCLE_1) | instskip(NEXT) | instid1(VALU_DEP_1)
	s_or_b32 exec_lo, exec_lo, s10
	v_dual_mul_f32 v10, s27, v10 :: v_dual_mov_b32 v97, v35
                                        ; implicit-def: $vgpr119
	s_mov_b32 s10, exec_lo
	s_delay_alu instid0(VALU_DEP_1) | instskip(SKIP_2) | instid1(VALU_DEP_3)
	v_and_b32_e32 v96, 0x7f800000, v10
	v_and_b32_e32 v34, 0x7fffff, v10
	v_lshrrev_b32_e32 v11, 24, v10
	v_cmpx_ne_u64_e32 0x7f800000, v[96:97]
	s_xor_b32 s28, exec_lo, s10
	s_cbranch_execz .LBB2_6439
; %bb.6426:                             ;   in Loop: Header=BB2_6167 Depth=2
	v_and_b32_e32 v96, 0x7fffffff, v10
	v_mov_b32_e32 v97, v35
	v_and_b32_e32 v30, 0x80, v11
                                        ; implicit-def: $vgpr119
	s_mov_b32 s10, exec_lo
	s_delay_alu instid0(VALU_DEP_2)
	v_cmpx_gt_u64_e32 0x47600001, v[96:97]
	s_xor_b32 s29, exec_lo, s10
	s_cbranch_execz .LBB2_6436
; %bb.6427:                             ;   in Loop: Header=BB2_6167 Depth=2
	v_mov_b32_e32 v119, 0
	s_mov_b32 s40, exec_lo
	v_cmpx_ne_u32_e32 0, v10
	s_cbranch_execz .LBB2_6435
; %bb.6428:                             ;   in Loop: Header=BB2_6167 Depth=2
	v_bfe_u32 v119, v10, 23, 8
	v_or_b32_e32 v96, 0x800000, v34
	s_delay_alu instid0(VALU_DEP_2) | instskip(SKIP_1) | instid1(VALU_DEP_2)
	v_sub_nc_u32_e32 v10, 0x71, v119
	v_cmp_gt_u32_e32 vcc_lo, 0x72, v119
	v_cndmask_b32_e32 v10, 0, v10, vcc_lo
	v_cmp_eq_u32_e32 vcc_lo, 0, v119
	s_delay_alu instid0(VALU_DEP_2) | instskip(NEXT) | instid1(VALU_DEP_1)
	v_cndmask_b32_e64 v40, v10, 0x70, vcc_lo
	v_dual_cndmask_b32 v34, v96, v34, vcc_lo :: v_dual_add_nc_u32 v10, 21, v40
	v_add_nc_u32_e32 v97, 20, v40
	s_delay_alu instid0(VALU_DEP_2) | instskip(NEXT) | instid1(VALU_DEP_2)
	v_lshlrev_b64_e64 v[10:11], v10, -1
	v_lshlrev_b64_e64 v[96:97], v97, 1
	s_delay_alu instid0(VALU_DEP_2) | instskip(NEXT) | instid1(VALU_DEP_3)
	v_bfi_b32 v43, v11, 0, 0
	v_bfi_b32 v42, v10, 0, v34
	v_lshrrev_b64 v[10:11], v40, v[34:35]
	s_delay_alu instid0(VALU_DEP_2) | instskip(NEXT) | instid1(VALU_DEP_2)
	v_cmp_eq_u64_e64 s10, v[42:43], v[96:97]
	v_mov_b64_e32 v[96:97], v[10:11]
	s_and_saveexec_b32 s41, s10
; %bb.6429:                             ;   in Loop: Header=BB2_6167 Depth=2
	v_bfe_u32 v34, v10, 21, 1
	s_delay_alu instid0(VALU_DEP_1) | instskip(NEXT) | instid1(VALU_DEP_1)
	v_add_nc_u64_e32 v[96:97], v[10:11], v[34:35]
	v_add_nc_u64_e32 v[96:97], -1, v[96:97]
; %bb.6430:                             ;   in Loop: Header=BB2_6167 Depth=2
	s_or_b32 exec_lo, exec_lo, s41
	v_add_nc_u32_e32 v11, 0xffffff81, v119
	v_lshrrev_b32_e32 v34, 23, v10
	s_mov_b32 s10, exec_lo
	s_delay_alu instid0(VALU_DEP_2) | instskip(NEXT) | instid1(VALU_DEP_1)
	v_cndmask_b32_e64 v11, v11, 0xffffff82, vcc_lo
	v_add3_u32 v97, v40, v11, v34
	v_and_b32_e32 v11, 0x1fffff, v96
                                        ; implicit-def: $vgpr96
	s_delay_alu instid0(VALU_DEP_1) | instskip(NEXT) | instid1(VALU_DEP_1)
	v_dual_add_nc_u32 v119, 14, v97 :: v_dual_add_nc_u32 v34, v11, v10
                                        ; implicit-def: $vgpr10_vgpr11
	v_cmpx_ne_u32_e32 0, v119
	s_xor_b32 s10, exec_lo, s10
; %bb.6431:                             ;   in Loop: Header=BB2_6167 Depth=2
	s_delay_alu instid0(VALU_DEP_2) | instskip(SKIP_1) | instid1(VALU_DEP_1)
	v_cmp_lt_u64_e32 vcc_lo, 0xffffff, v[34:35]
	v_add_nc_u32_e32 v10, 15, v97
	v_cndmask_b32_e32 v96, v119, v10, vcc_lo
	v_cndmask_b32_e64 v10, 0, 1, vcc_lo
	s_delay_alu instid0(VALU_DEP_1)
	v_lshrrev_b64 v[10:11], v10, v[34:35]
; %bb.6432:                             ;   in Loop: Header=BB2_6167 Depth=2
	s_and_not1_saveexec_b32 s10, s10
; %bb.6433:                             ;   in Loop: Header=BB2_6167 Depth=2
	v_mov_b64_e32 v[10:11], v[34:35]
	v_bfe_u32 v96, v34, 23, 1
; %bb.6434:                             ;   in Loop: Header=BB2_6167 Depth=2
	s_or_b32 exec_lo, exec_lo, s10
	s_delay_alu instid0(VALU_DEP_2) | instskip(NEXT) | instid1(VALU_DEP_2)
	v_lshrrev_b64 v[10:11], 21, v[10:11]
	v_cmp_gt_i32_e32 vcc_lo, 32, v96
	v_min_i32_e32 v34, 31, v96
	v_cmp_eq_u32_e64 s10, 0, v96
	s_delay_alu instid0(VALU_DEP_2) | instskip(SKIP_1) | instid1(VALU_DEP_2)
	v_dual_cndmask_b32 v11, 0, v11 :: v_dual_lshlrev_b32 v34, 2, v34
	v_cndmask_b32_e32 v10, 3, v10, vcc_lo
	v_and_b32_e32 v34, 0xfc, v34
	s_delay_alu instid0(VALU_DEP_2) | instskip(NEXT) | instid1(VALU_DEP_2)
	v_cmp_eq_u64_e32 vcc_lo, 0, v[10:11]
	v_and_or_b32 v10, v10, 3, v34
	s_and_b32 s10, s10, vcc_lo
	s_delay_alu instid0(VALU_DEP_1) | instid1(SALU_CYCLE_1)
	v_cndmask_b32_e64 v10, v10, 0, s10
	s_delay_alu instid0(VALU_DEP_1)
	v_or_b32_e32 v119, v10, v30
.LBB2_6435:                             ;   in Loop: Header=BB2_6167 Depth=2
	s_or_b32 exec_lo, exec_lo, s40
                                        ; implicit-def: $vgpr30
.LBB2_6436:                             ;   in Loop: Header=BB2_6167 Depth=2
	s_and_not1_saveexec_b32 s10, s29
; %bb.6437:                             ;   in Loop: Header=BB2_6167 Depth=2
	v_or_b32_e32 v119, 0x7b, v30
; %bb.6438:                             ;   in Loop: Header=BB2_6167 Depth=2
	s_or_b32 exec_lo, exec_lo, s10
                                        ; implicit-def: $vgpr10
                                        ; implicit-def: $vgpr11
.LBB2_6439:                             ;   in Loop: Header=BB2_6167 Depth=2
	s_and_not1_saveexec_b32 s10, s28
	s_cbranch_execz .LBB2_6445
; %bb.6440:                             ;   in Loop: Header=BB2_6167 Depth=2
	s_mov_b32 s28, exec_lo
                                        ; implicit-def: $vgpr119
	v_cmpx_ne_u64_e32 0, v[34:35]
	s_xor_b32 s28, exec_lo, s28
; %bb.6441:                             ;   in Loop: Header=BB2_6167 Depth=2
	v_or_b32_e32 v119, 0x7f, v11
                                        ; implicit-def: $vgpr10
; %bb.6442:                             ;   in Loop: Header=BB2_6167 Depth=2
	s_and_not1_saveexec_b32 s28, s28
; %bb.6443:                             ;   in Loop: Header=BB2_6167 Depth=2
	v_cmp_lt_i32_e32 vcc_lo, -1, v10
	v_cndmask_b32_e32 v119, 0xfc, v112, vcc_lo
; %bb.6444:                             ;   in Loop: Header=BB2_6167 Depth=2
	s_or_b32 exec_lo, exec_lo, s28
.LBB2_6445:                             ;   in Loop: Header=BB2_6167 Depth=2
	s_delay_alu instid0(SALU_CYCLE_1) | instskip(SKIP_3) | instid1(VALU_DEP_2)
	s_or_b32 exec_lo, exec_lo, s10
	v_lshrrev_b16 v34, 8, v12
	v_mov_b32_e32 v11, 0
	s_mov_b32 s10, exec_lo
	v_cmpx_ne_u16_e32 0, v34
	s_cbranch_execz .LBB2_6455
; %bb.6446:                             ;   in Loop: Header=BB2_6167 Depth=2
	v_bfrev_b32_e32 v11, 1
	s_mov_b32 s28, exec_lo
	v_cmpx_ne_u16_e32 0x80, v34
	s_cbranch_execz .LBB2_6454
; %bb.6447:                             ;   in Loop: Header=BB2_6167 Depth=2
	v_and_b32_e32 v30, 0xffff, v34
	s_delay_alu instid0(VALU_DEP_1) | instskip(SKIP_1) | instid1(VALU_DEP_2)
	v_and_b32_e32 v11, 0x7c, v30
	v_and_b32_e32 v10, 3, v30
	v_cmp_ne_u32_e32 vcc_lo, 0x7c, v11
                                        ; implicit-def: $vgpr11
	s_and_saveexec_b32 s29, vcc_lo
	s_delay_alu instid0(SALU_CYCLE_1)
	s_xor_b32 s29, exec_lo, s29
	s_cbranch_execz .LBB2_6451
; %bb.6448:                             ;   in Loop: Header=BB2_6167 Depth=2
	v_bfe_u32 v11, v30, 2, 5
	s_mov_b32 s40, exec_lo
	s_delay_alu instid0(VALU_DEP_1)
	v_cmpx_eq_u32_e32 0, v11
; %bb.6449:                             ;   in Loop: Header=BB2_6167 Depth=2
	v_clz_i32_u32_e32 v10, v10
	s_delay_alu instid0(VALU_DEP_1) | instskip(NEXT) | instid1(VALU_DEP_1)
	v_min_u32_e32 v30, 32, v10
	v_subrev_nc_u32_e32 v10, 29, v30
	s_delay_alu instid0(VALU_DEP_1) | instskip(SKIP_1) | instid1(VALU_DEP_2)
	v_lshlrev_b64_e32 v[10:11], v10, v[34:35]
	v_sub_nc_u32_e32 v11, 30, v30
	v_and_b32_e32 v10, 3, v10
; %bb.6450:                             ;   in Loop: Header=BB2_6167 Depth=2
	s_or_b32 exec_lo, exec_lo, s40
	v_lshlrev_b32_e32 v30, 16, v12
	s_delay_alu instid0(VALU_DEP_1) | instskip(NEXT) | instid1(VALU_DEP_1)
	v_and_b32_e32 v30, 0x80000000, v30
	v_lshl_add_u32 v11, v11, 23, v30
	s_delay_alu instid0(VALU_DEP_1) | instskip(NEXT) | instid1(VALU_DEP_1)
	v_lshl_or_b32 v10, v10, 21, v11
	v_add_nc_u32_e32 v11, 0x38000000, v10
                                        ; implicit-def: $vgpr10
.LBB2_6451:                             ;   in Loop: Header=BB2_6167 Depth=2
	s_and_not1_saveexec_b32 s29, s29
; %bb.6452:                             ;   in Loop: Header=BB2_6167 Depth=2
	v_cmp_lt_i16_e32 vcc_lo, -1, v12
	v_cndmask_b32_e32 v11, 0xff800000, v103, vcc_lo
	v_cmp_eq_u32_e32 vcc_lo, 0, v10
	s_delay_alu instid0(VALU_DEP_2)
	v_cndmask_b32_e32 v11, 0x7f800001, v11, vcc_lo
; %bb.6453:                             ;   in Loop: Header=BB2_6167 Depth=2
	s_or_b32 exec_lo, exec_lo, s29
.LBB2_6454:                             ;   in Loop: Header=BB2_6167 Depth=2
	s_delay_alu instid0(SALU_CYCLE_1)
	s_or_b32 exec_lo, exec_lo, s28
.LBB2_6455:                             ;   in Loop: Header=BB2_6167 Depth=2
	s_delay_alu instid0(SALU_CYCLE_1) | instskip(NEXT) | instid1(VALU_DEP_1)
	s_or_b32 exec_lo, exec_lo, s10
	v_dual_mul_f32 v10, s27, v11 :: v_dual_mov_b32 v97, v35
                                        ; implicit-def: $vgpr40
	s_mov_b32 s10, exec_lo
	s_delay_alu instid0(VALU_DEP_1) | instskip(SKIP_2) | instid1(VALU_DEP_3)
	v_and_b32_e32 v96, 0x7f800000, v10
	v_and_b32_e32 v34, 0x7fffff, v10
	v_lshrrev_b32_e32 v11, 24, v10
	v_cmpx_ne_u64_e32 0x7f800000, v[96:97]
	s_xor_b32 s28, exec_lo, s10
	s_cbranch_execz .LBB2_6469
; %bb.6456:                             ;   in Loop: Header=BB2_6167 Depth=2
	v_and_b32_e32 v96, 0x7fffffff, v10
	v_mov_b32_e32 v97, v35
	v_and_b32_e32 v30, 0x80, v11
                                        ; implicit-def: $vgpr40
	s_mov_b32 s10, exec_lo
	s_delay_alu instid0(VALU_DEP_2)
	v_cmpx_gt_u64_e32 0x47600001, v[96:97]
	s_xor_b32 s29, exec_lo, s10
	s_cbranch_execz .LBB2_6466
; %bb.6457:                             ;   in Loop: Header=BB2_6167 Depth=2
	v_mov_b32_e32 v40, 0
	s_mov_b32 s40, exec_lo
	v_cmpx_ne_u32_e32 0, v10
	s_cbranch_execz .LBB2_6465
; %bb.6458:                             ;   in Loop: Header=BB2_6167 Depth=2
	v_bfe_u32 v40, v10, 23, 8
	v_or_b32_e32 v96, 0x800000, v34
	s_delay_alu instid0(VALU_DEP_2) | instskip(SKIP_1) | instid1(VALU_DEP_2)
	v_sub_nc_u32_e32 v10, 0x71, v40
	v_cmp_gt_u32_e32 vcc_lo, 0x72, v40
	v_cndmask_b32_e32 v10, 0, v10, vcc_lo
	v_cmp_eq_u32_e32 vcc_lo, 0, v40
	s_delay_alu instid0(VALU_DEP_2) | instskip(NEXT) | instid1(VALU_DEP_1)
	v_cndmask_b32_e64 v41, v10, 0x70, vcc_lo
	v_dual_cndmask_b32 v34, v96, v34, vcc_lo :: v_dual_add_nc_u32 v10, 21, v41
	v_add_nc_u32_e32 v97, 20, v41
	s_delay_alu instid0(VALU_DEP_2) | instskip(NEXT) | instid1(VALU_DEP_2)
	v_lshlrev_b64_e64 v[10:11], v10, -1
	v_lshlrev_b64_e64 v[96:97], v97, 1
	s_delay_alu instid0(VALU_DEP_2) | instskip(NEXT) | instid1(VALU_DEP_3)
	v_bfi_b32 v43, v11, 0, 0
	v_bfi_b32 v42, v10, 0, v34
	v_lshrrev_b64 v[10:11], v41, v[34:35]
	s_delay_alu instid0(VALU_DEP_2) | instskip(NEXT) | instid1(VALU_DEP_2)
	v_cmp_eq_u64_e64 s10, v[42:43], v[96:97]
	v_mov_b64_e32 v[96:97], v[10:11]
	s_and_saveexec_b32 s41, s10
; %bb.6459:                             ;   in Loop: Header=BB2_6167 Depth=2
	v_bfe_u32 v34, v10, 21, 1
	s_delay_alu instid0(VALU_DEP_1) | instskip(NEXT) | instid1(VALU_DEP_1)
	v_add_nc_u64_e32 v[96:97], v[10:11], v[34:35]
	v_add_nc_u64_e32 v[96:97], -1, v[96:97]
; %bb.6460:                             ;   in Loop: Header=BB2_6167 Depth=2
	s_or_b32 exec_lo, exec_lo, s41
	v_add_nc_u32_e32 v11, 0xffffff81, v40
	v_lshrrev_b32_e32 v34, 23, v10
	s_mov_b32 s10, exec_lo
	s_delay_alu instid0(VALU_DEP_2) | instskip(NEXT) | instid1(VALU_DEP_1)
	v_cndmask_b32_e64 v11, v11, 0xffffff82, vcc_lo
	v_add3_u32 v97, v41, v11, v34
	v_and_b32_e32 v11, 0x1fffff, v96
                                        ; implicit-def: $vgpr96
	s_delay_alu instid0(VALU_DEP_1) | instskip(NEXT) | instid1(VALU_DEP_1)
	v_dual_add_nc_u32 v40, 14, v97 :: v_dual_add_nc_u32 v34, v11, v10
                                        ; implicit-def: $vgpr10_vgpr11
	v_cmpx_ne_u32_e32 0, v40
	s_xor_b32 s10, exec_lo, s10
; %bb.6461:                             ;   in Loop: Header=BB2_6167 Depth=2
	s_delay_alu instid0(VALU_DEP_2) | instskip(SKIP_1) | instid1(VALU_DEP_1)
	v_cmp_lt_u64_e32 vcc_lo, 0xffffff, v[34:35]
	v_add_nc_u32_e32 v10, 15, v97
	v_cndmask_b32_e32 v96, v40, v10, vcc_lo
	v_cndmask_b32_e64 v10, 0, 1, vcc_lo
	s_delay_alu instid0(VALU_DEP_1)
	v_lshrrev_b64 v[10:11], v10, v[34:35]
; %bb.6462:                             ;   in Loop: Header=BB2_6167 Depth=2
	s_and_not1_saveexec_b32 s10, s10
; %bb.6463:                             ;   in Loop: Header=BB2_6167 Depth=2
	v_mov_b64_e32 v[10:11], v[34:35]
	v_bfe_u32 v96, v34, 23, 1
; %bb.6464:                             ;   in Loop: Header=BB2_6167 Depth=2
	s_or_b32 exec_lo, exec_lo, s10
	s_delay_alu instid0(VALU_DEP_2) | instskip(NEXT) | instid1(VALU_DEP_2)
	v_lshrrev_b64 v[10:11], 21, v[10:11]
	v_cmp_gt_i32_e32 vcc_lo, 32, v96
	v_min_i32_e32 v34, 31, v96
	v_cmp_eq_u32_e64 s10, 0, v96
	s_delay_alu instid0(VALU_DEP_2) | instskip(SKIP_1) | instid1(VALU_DEP_2)
	v_dual_cndmask_b32 v11, 0, v11 :: v_dual_lshlrev_b32 v34, 2, v34
	v_cndmask_b32_e32 v10, 3, v10, vcc_lo
	v_and_b32_e32 v34, 0xfc, v34
	s_delay_alu instid0(VALU_DEP_2) | instskip(NEXT) | instid1(VALU_DEP_2)
	v_cmp_eq_u64_e32 vcc_lo, 0, v[10:11]
	v_and_or_b32 v10, v10, 3, v34
	s_and_b32 s10, s10, vcc_lo
	s_delay_alu instid0(VALU_DEP_1) | instid1(SALU_CYCLE_1)
	v_cndmask_b32_e64 v10, v10, 0, s10
	s_delay_alu instid0(VALU_DEP_1)
	v_or_b32_e32 v40, v10, v30
.LBB2_6465:                             ;   in Loop: Header=BB2_6167 Depth=2
	s_or_b32 exec_lo, exec_lo, s40
                                        ; implicit-def: $vgpr30
.LBB2_6466:                             ;   in Loop: Header=BB2_6167 Depth=2
	s_and_not1_saveexec_b32 s10, s29
; %bb.6467:                             ;   in Loop: Header=BB2_6167 Depth=2
	v_or_b32_e32 v40, 0x7b, v30
; %bb.6468:                             ;   in Loop: Header=BB2_6167 Depth=2
	s_or_b32 exec_lo, exec_lo, s10
                                        ; implicit-def: $vgpr10
                                        ; implicit-def: $vgpr11
.LBB2_6469:                             ;   in Loop: Header=BB2_6167 Depth=2
	s_and_not1_saveexec_b32 s10, s28
	s_cbranch_execz .LBB2_6475
; %bb.6470:                             ;   in Loop: Header=BB2_6167 Depth=2
	s_mov_b32 s28, exec_lo
                                        ; implicit-def: $vgpr40
	v_cmpx_ne_u64_e32 0, v[34:35]
	s_xor_b32 s28, exec_lo, s28
; %bb.6471:                             ;   in Loop: Header=BB2_6167 Depth=2
	v_or_b32_e32 v40, 0x7f, v11
                                        ; implicit-def: $vgpr10
; %bb.6472:                             ;   in Loop: Header=BB2_6167 Depth=2
	s_and_not1_saveexec_b32 s28, s28
; %bb.6473:                             ;   in Loop: Header=BB2_6167 Depth=2
	v_cmp_lt_i32_e32 vcc_lo, -1, v10
	v_cndmask_b32_e32 v40, 0xfc, v112, vcc_lo
; %bb.6474:                             ;   in Loop: Header=BB2_6167 Depth=2
	s_or_b32 exec_lo, exec_lo, s28
.LBB2_6475:                             ;   in Loop: Header=BB2_6167 Depth=2
	s_delay_alu instid0(SALU_CYCLE_1) | instskip(SKIP_2) | instid1(VALU_DEP_1)
	s_or_b32 exec_lo, exec_lo, s10
	v_dual_mov_b32 v11, 0 :: v_dual_lshrrev_b32 v10, 16, v12
	s_mov_b32 s10, exec_lo
	v_and_b32_e32 v30, 0xff, v10
	s_delay_alu instid0(VALU_DEP_1)
	v_cmpx_ne_u16_e32 0, v30
	s_cbranch_execz .LBB2_6485
; %bb.6476:                             ;   in Loop: Header=BB2_6167 Depth=2
	v_bfrev_b32_e32 v11, 1
	s_mov_b32 s28, exec_lo
	v_cmpx_ne_u16_e32 0x80, v30
	s_cbranch_execz .LBB2_6484
; %bb.6477:                             ;   in Loop: Header=BB2_6167 Depth=2
	v_and_b32_e32 v11, 0x7c0000, v12
	v_bfe_u32 v30, v12, 16, 2
	s_delay_alu instid0(VALU_DEP_2) | instskip(SKIP_1) | instid1(SALU_CYCLE_1)
	v_cmp_ne_u32_e32 vcc_lo, 0x7c0000, v11
                                        ; implicit-def: $vgpr11
	s_and_saveexec_b32 s29, vcc_lo
	s_xor_b32 s29, exec_lo, s29
	s_cbranch_execz .LBB2_6481
; %bb.6478:                             ;   in Loop: Header=BB2_6167 Depth=2
	v_bfe_u32 v11, v12, 18, 5
	s_mov_b32 s40, exec_lo
	s_delay_alu instid0(VALU_DEP_1)
	v_cmpx_eq_u32_e32 0, v11
; %bb.6479:                             ;   in Loop: Header=BB2_6167 Depth=2
	v_clz_i32_u32_e32 v11, v30
	s_delay_alu instid0(VALU_DEP_1) | instskip(NEXT) | instid1(VALU_DEP_1)
	v_min_u32_e32 v11, 32, v11
	v_subrev_nc_u32_e32 v30, 29, v11
	s_delay_alu instid0(VALU_DEP_1) | instskip(NEXT) | instid1(VALU_DEP_1)
	v_lshlrev_b64_e32 v[96:97], v30, v[10:11]
	v_dual_sub_nc_u32 v11, 30, v11 :: v_dual_bitop2_b32 v30, 3, v96 bitop3:0x40
; %bb.6480:                             ;   in Loop: Header=BB2_6167 Depth=2
	s_or_b32 exec_lo, exec_lo, s40
	v_lshlrev_b32_e32 v10, 24, v10
	s_delay_alu instid0(VALU_DEP_1) | instskip(NEXT) | instid1(VALU_DEP_1)
	v_and_b32_e32 v10, 0x80000000, v10
	v_lshl_add_u32 v10, v11, 23, v10
	s_delay_alu instid0(VALU_DEP_1) | instskip(NEXT) | instid1(VALU_DEP_1)
	v_lshl_or_b32 v10, v30, 21, v10
                                        ; implicit-def: $vgpr30
	v_add_nc_u32_e32 v11, 0x38000000, v10
                                        ; implicit-def: $vgpr10
.LBB2_6481:                             ;   in Loop: Header=BB2_6167 Depth=2
	s_and_not1_saveexec_b32 s29, s29
; %bb.6482:                             ;   in Loop: Header=BB2_6167 Depth=2
	v_bfe_i32 v10, v10, 0, 8
	s_delay_alu instid0(VALU_DEP_1) | instskip(SKIP_2) | instid1(VALU_DEP_2)
	v_cmp_lt_i16_e32 vcc_lo, -1, v10
	v_cndmask_b32_e32 v10, 0xff800000, v103, vcc_lo
	v_cmp_eq_u32_e32 vcc_lo, 0, v30
	v_cndmask_b32_e32 v11, 0x7f800001, v10, vcc_lo
; %bb.6483:                             ;   in Loop: Header=BB2_6167 Depth=2
	s_or_b32 exec_lo, exec_lo, s29
.LBB2_6484:                             ;   in Loop: Header=BB2_6167 Depth=2
	s_delay_alu instid0(SALU_CYCLE_1)
	s_or_b32 exec_lo, exec_lo, s28
.LBB2_6485:                             ;   in Loop: Header=BB2_6167 Depth=2
	s_delay_alu instid0(SALU_CYCLE_1) | instskip(NEXT) | instid1(VALU_DEP_1)
	s_or_b32 exec_lo, exec_lo, s10
	v_dual_mul_f32 v10, s27, v11 :: v_dual_mov_b32 v97, v35
                                        ; implicit-def: $vgpr41
	s_mov_b32 s10, exec_lo
	s_delay_alu instid0(VALU_DEP_1) | instskip(SKIP_2) | instid1(VALU_DEP_3)
	v_and_b32_e32 v96, 0x7f800000, v10
	v_and_b32_e32 v34, 0x7fffff, v10
	v_lshrrev_b32_e32 v11, 24, v10
	v_cmpx_ne_u64_e32 0x7f800000, v[96:97]
	s_xor_b32 s28, exec_lo, s10
	s_cbranch_execz .LBB2_6499
; %bb.6486:                             ;   in Loop: Header=BB2_6167 Depth=2
	v_and_b32_e32 v96, 0x7fffffff, v10
	v_mov_b32_e32 v97, v35
	v_and_b32_e32 v30, 0x80, v11
                                        ; implicit-def: $vgpr41
	s_mov_b32 s10, exec_lo
	s_delay_alu instid0(VALU_DEP_2)
	v_cmpx_gt_u64_e32 0x47600001, v[96:97]
	s_xor_b32 s29, exec_lo, s10
	s_cbranch_execz .LBB2_6496
; %bb.6487:                             ;   in Loop: Header=BB2_6167 Depth=2
	v_mov_b32_e32 v41, 0
	s_mov_b32 s40, exec_lo
	v_cmpx_ne_u32_e32 0, v10
	s_cbranch_execz .LBB2_6495
; %bb.6488:                             ;   in Loop: Header=BB2_6167 Depth=2
	v_bfe_u32 v41, v10, 23, 8
	v_or_b32_e32 v96, 0x800000, v34
	s_delay_alu instid0(VALU_DEP_2) | instskip(SKIP_1) | instid1(VALU_DEP_2)
	v_sub_nc_u32_e32 v10, 0x71, v41
	v_cmp_gt_u32_e32 vcc_lo, 0x72, v41
	v_cndmask_b32_e32 v10, 0, v10, vcc_lo
	v_cmp_eq_u32_e32 vcc_lo, 0, v41
	s_delay_alu instid0(VALU_DEP_2) | instskip(SKIP_1) | instid1(VALU_DEP_2)
	v_cndmask_b32_e64 v42, v10, 0x70, vcc_lo
	v_cndmask_b32_e32 v34, v96, v34, vcc_lo
	v_dual_add_nc_u32 v10, 21, v42 :: v_dual_add_nc_u32 v97, 20, v42
	s_delay_alu instid0(VALU_DEP_1) | instskip(NEXT) | instid1(VALU_DEP_2)
	v_lshlrev_b64_e64 v[10:11], v10, -1
	v_lshlrev_b64_e64 v[96:97], v97, 1
	s_delay_alu instid0(VALU_DEP_2) | instskip(NEXT) | instid1(VALU_DEP_3)
	v_bfi_b32 v45, v11, 0, 0
	v_bfi_b32 v44, v10, 0, v34
	v_lshrrev_b64 v[10:11], v42, v[34:35]
	s_delay_alu instid0(VALU_DEP_2) | instskip(NEXT) | instid1(VALU_DEP_2)
	v_cmp_eq_u64_e64 s10, v[44:45], v[96:97]
	v_mov_b64_e32 v[96:97], v[10:11]
	s_and_saveexec_b32 s41, s10
; %bb.6489:                             ;   in Loop: Header=BB2_6167 Depth=2
	v_bfe_u32 v34, v10, 21, 1
	s_delay_alu instid0(VALU_DEP_1) | instskip(NEXT) | instid1(VALU_DEP_1)
	v_add_nc_u64_e32 v[96:97], v[10:11], v[34:35]
	v_add_nc_u64_e32 v[96:97], -1, v[96:97]
; %bb.6490:                             ;   in Loop: Header=BB2_6167 Depth=2
	s_or_b32 exec_lo, exec_lo, s41
	v_add_nc_u32_e32 v11, 0xffffff81, v41
	v_lshrrev_b32_e32 v34, 23, v10
	s_mov_b32 s10, exec_lo
	s_delay_alu instid0(VALU_DEP_2) | instskip(NEXT) | instid1(VALU_DEP_1)
	v_cndmask_b32_e64 v11, v11, 0xffffff82, vcc_lo
	v_add3_u32 v97, v42, v11, v34
	v_and_b32_e32 v11, 0x1fffff, v96
                                        ; implicit-def: $vgpr96
	s_delay_alu instid0(VALU_DEP_1) | instskip(NEXT) | instid1(VALU_DEP_1)
	v_dual_add_nc_u32 v41, 14, v97 :: v_dual_add_nc_u32 v34, v11, v10
                                        ; implicit-def: $vgpr10_vgpr11
	v_cmpx_ne_u32_e32 0, v41
	s_xor_b32 s10, exec_lo, s10
; %bb.6491:                             ;   in Loop: Header=BB2_6167 Depth=2
	s_delay_alu instid0(VALU_DEP_2) | instskip(SKIP_1) | instid1(VALU_DEP_1)
	v_cmp_lt_u64_e32 vcc_lo, 0xffffff, v[34:35]
	v_add_nc_u32_e32 v10, 15, v97
	v_cndmask_b32_e32 v96, v41, v10, vcc_lo
	v_cndmask_b32_e64 v10, 0, 1, vcc_lo
	s_delay_alu instid0(VALU_DEP_1)
	v_lshrrev_b64 v[10:11], v10, v[34:35]
; %bb.6492:                             ;   in Loop: Header=BB2_6167 Depth=2
	s_and_not1_saveexec_b32 s10, s10
; %bb.6493:                             ;   in Loop: Header=BB2_6167 Depth=2
	v_mov_b64_e32 v[10:11], v[34:35]
	v_bfe_u32 v96, v34, 23, 1
; %bb.6494:                             ;   in Loop: Header=BB2_6167 Depth=2
	s_or_b32 exec_lo, exec_lo, s10
	s_delay_alu instid0(VALU_DEP_2) | instskip(NEXT) | instid1(VALU_DEP_2)
	v_lshrrev_b64 v[10:11], 21, v[10:11]
	v_cmp_gt_i32_e32 vcc_lo, 32, v96
	v_min_i32_e32 v34, 31, v96
	v_cmp_eq_u32_e64 s10, 0, v96
	s_delay_alu instid0(VALU_DEP_2) | instskip(SKIP_1) | instid1(VALU_DEP_2)
	v_dual_cndmask_b32 v11, 0, v11 :: v_dual_lshlrev_b32 v34, 2, v34
	v_cndmask_b32_e32 v10, 3, v10, vcc_lo
	v_and_b32_e32 v34, 0xfc, v34
	s_delay_alu instid0(VALU_DEP_2) | instskip(NEXT) | instid1(VALU_DEP_2)
	v_cmp_eq_u64_e32 vcc_lo, 0, v[10:11]
	v_and_or_b32 v10, v10, 3, v34
	s_and_b32 s10, s10, vcc_lo
	s_delay_alu instid0(VALU_DEP_1) | instid1(SALU_CYCLE_1)
	v_cndmask_b32_e64 v10, v10, 0, s10
	s_delay_alu instid0(VALU_DEP_1)
	v_or_b32_e32 v41, v10, v30
.LBB2_6495:                             ;   in Loop: Header=BB2_6167 Depth=2
	s_or_b32 exec_lo, exec_lo, s40
                                        ; implicit-def: $vgpr30
.LBB2_6496:                             ;   in Loop: Header=BB2_6167 Depth=2
	s_and_not1_saveexec_b32 s10, s29
; %bb.6497:                             ;   in Loop: Header=BB2_6167 Depth=2
	v_or_b32_e32 v41, 0x7b, v30
; %bb.6498:                             ;   in Loop: Header=BB2_6167 Depth=2
	s_or_b32 exec_lo, exec_lo, s10
                                        ; implicit-def: $vgpr10
                                        ; implicit-def: $vgpr11
.LBB2_6499:                             ;   in Loop: Header=BB2_6167 Depth=2
	s_and_not1_saveexec_b32 s10, s28
	s_cbranch_execz .LBB2_6505
; %bb.6500:                             ;   in Loop: Header=BB2_6167 Depth=2
	s_mov_b32 s28, exec_lo
                                        ; implicit-def: $vgpr41
	v_cmpx_ne_u64_e32 0, v[34:35]
	s_xor_b32 s28, exec_lo, s28
; %bb.6501:                             ;   in Loop: Header=BB2_6167 Depth=2
	v_or_b32_e32 v41, 0x7f, v11
                                        ; implicit-def: $vgpr10
; %bb.6502:                             ;   in Loop: Header=BB2_6167 Depth=2
	s_and_not1_saveexec_b32 s28, s28
; %bb.6503:                             ;   in Loop: Header=BB2_6167 Depth=2
	v_cmp_lt_i32_e32 vcc_lo, -1, v10
	v_cndmask_b32_e32 v41, 0xfc, v112, vcc_lo
; %bb.6504:                             ;   in Loop: Header=BB2_6167 Depth=2
	s_or_b32 exec_lo, exec_lo, s28
.LBB2_6505:                             ;   in Loop: Header=BB2_6167 Depth=2
	s_delay_alu instid0(SALU_CYCLE_1)
	s_or_b32 exec_lo, exec_lo, s10
	v_mov_b32_e32 v11, 0
	s_mov_b32 s10, exec_lo
	v_cmpx_lt_u32_e32 0xffffff, v12
	s_cbranch_execz .LBB2_6515
; %bb.6506:                             ;   in Loop: Header=BB2_6167 Depth=2
	v_lshrrev_b32_e32 v10, 24, v12
	v_bfrev_b32_e32 v11, 1
	s_mov_b32 s28, exec_lo
	s_delay_alu instid0(VALU_DEP_2)
	v_cmpx_ne_u32_e32 0x80, v10
	s_cbranch_execz .LBB2_6514
; %bb.6507:                             ;   in Loop: Header=BB2_6167 Depth=2
	v_and_b32_e32 v11, 0x7c000000, v12
	v_bfe_u32 v30, v12, 24, 2
	s_delay_alu instid0(VALU_DEP_2) | instskip(SKIP_1) | instid1(SALU_CYCLE_1)
	v_cmp_ne_u32_e32 vcc_lo, 0x7c000000, v11
                                        ; implicit-def: $vgpr11
	s_and_saveexec_b32 s29, vcc_lo
	s_xor_b32 s29, exec_lo, s29
	s_cbranch_execz .LBB2_6511
; %bb.6508:                             ;   in Loop: Header=BB2_6167 Depth=2
	v_bfe_u32 v11, v12, 26, 5
	s_mov_b32 s40, exec_lo
	s_delay_alu instid0(VALU_DEP_1)
	v_cmpx_eq_u32_e32 0, v11
; %bb.6509:                             ;   in Loop: Header=BB2_6167 Depth=2
	v_clz_i32_u32_e32 v11, v30
	s_delay_alu instid0(VALU_DEP_1) | instskip(NEXT) | instid1(VALU_DEP_1)
	v_min_u32_e32 v30, 32, v11
	v_subrev_nc_u32_e32 v11, 29, v30
	s_delay_alu instid0(VALU_DEP_1) | instskip(SKIP_1) | instid1(VALU_DEP_2)
	v_lshlrev_b64_e32 v[10:11], v11, v[10:11]
	v_sub_nc_u32_e32 v11, 30, v30
	v_and_b32_e32 v30, 3, v10
; %bb.6510:                             ;   in Loop: Header=BB2_6167 Depth=2
	s_or_b32 exec_lo, exec_lo, s40
	v_and_b32_e32 v10, 0x80000000, v12
	s_delay_alu instid0(VALU_DEP_1) | instskip(NEXT) | instid1(VALU_DEP_1)
	v_lshl_add_u32 v10, v11, 23, v10
	v_lshl_or_b32 v10, v30, 21, v10
                                        ; implicit-def: $vgpr30
	s_delay_alu instid0(VALU_DEP_1)
	v_add_nc_u32_e32 v11, 0x38000000, v10
.LBB2_6511:                             ;   in Loop: Header=BB2_6167 Depth=2
	s_and_not1_saveexec_b32 s29, s29
; %bb.6512:                             ;   in Loop: Header=BB2_6167 Depth=2
	v_cmp_lt_i32_e32 vcc_lo, -1, v12
	v_cndmask_b32_e32 v10, 0xff800000, v103, vcc_lo
	v_cmp_eq_u32_e32 vcc_lo, 0, v30
	s_delay_alu instid0(VALU_DEP_2)
	v_cndmask_b32_e32 v11, 0x7f800001, v10, vcc_lo
; %bb.6513:                             ;   in Loop: Header=BB2_6167 Depth=2
	s_or_b32 exec_lo, exec_lo, s29
.LBB2_6514:                             ;   in Loop: Header=BB2_6167 Depth=2
	s_delay_alu instid0(SALU_CYCLE_1)
	s_or_b32 exec_lo, exec_lo, s28
.LBB2_6515:                             ;   in Loop: Header=BB2_6167 Depth=2
	s_delay_alu instid0(SALU_CYCLE_1) | instskip(NEXT) | instid1(VALU_DEP_1)
	s_or_b32 exec_lo, exec_lo, s10
	v_dual_mul_f32 v10, s27, v11 :: v_dual_mov_b32 v97, v35
                                        ; implicit-def: $vgpr42
	s_mov_b32 s10, exec_lo
	s_delay_alu instid0(VALU_DEP_1) | instskip(SKIP_2) | instid1(VALU_DEP_3)
	v_and_b32_e32 v96, 0x7f800000, v10
	v_and_b32_e32 v34, 0x7fffff, v10
	v_lshrrev_b32_e32 v11, 24, v10
	v_cmpx_ne_u64_e32 0x7f800000, v[96:97]
	s_xor_b32 s28, exec_lo, s10
	s_cbranch_execz .LBB2_6529
; %bb.6516:                             ;   in Loop: Header=BB2_6167 Depth=2
	v_and_b32_e32 v96, 0x7fffffff, v10
	v_mov_b32_e32 v97, v35
	v_and_b32_e32 v30, 0x80, v11
                                        ; implicit-def: $vgpr42
	s_mov_b32 s10, exec_lo
	s_delay_alu instid0(VALU_DEP_2)
	v_cmpx_gt_u64_e32 0x47600001, v[96:97]
	s_xor_b32 s29, exec_lo, s10
	s_cbranch_execz .LBB2_6526
; %bb.6517:                             ;   in Loop: Header=BB2_6167 Depth=2
	v_mov_b32_e32 v42, 0
	s_mov_b32 s40, exec_lo
	v_cmpx_ne_u32_e32 0, v10
	s_cbranch_execz .LBB2_6525
; %bb.6518:                             ;   in Loop: Header=BB2_6167 Depth=2
	v_bfe_u32 v42, v10, 23, 8
	v_or_b32_e32 v96, 0x800000, v34
	s_delay_alu instid0(VALU_DEP_2) | instskip(SKIP_1) | instid1(VALU_DEP_2)
	v_sub_nc_u32_e32 v10, 0x71, v42
	v_cmp_gt_u32_e32 vcc_lo, 0x72, v42
	v_cndmask_b32_e32 v10, 0, v10, vcc_lo
	v_cmp_eq_u32_e32 vcc_lo, 0, v42
	s_delay_alu instid0(VALU_DEP_2) | instskip(NEXT) | instid1(VALU_DEP_1)
	v_cndmask_b32_e64 v43, v10, 0x70, vcc_lo
	v_dual_cndmask_b32 v34, v96, v34, vcc_lo :: v_dual_add_nc_u32 v10, 21, v43
	v_add_nc_u32_e32 v97, 20, v43
	s_delay_alu instid0(VALU_DEP_2) | instskip(NEXT) | instid1(VALU_DEP_2)
	v_lshlrev_b64_e64 v[10:11], v10, -1
	v_lshlrev_b64_e64 v[96:97], v97, 1
	s_delay_alu instid0(VALU_DEP_2) | instskip(NEXT) | instid1(VALU_DEP_3)
	v_bfi_b32 v45, v11, 0, 0
	v_bfi_b32 v44, v10, 0, v34
	v_lshrrev_b64 v[10:11], v43, v[34:35]
	s_delay_alu instid0(VALU_DEP_2) | instskip(NEXT) | instid1(VALU_DEP_2)
	v_cmp_eq_u64_e64 s10, v[44:45], v[96:97]
	v_mov_b64_e32 v[96:97], v[10:11]
	s_and_saveexec_b32 s41, s10
; %bb.6519:                             ;   in Loop: Header=BB2_6167 Depth=2
	v_bfe_u32 v34, v10, 21, 1
	s_delay_alu instid0(VALU_DEP_1) | instskip(NEXT) | instid1(VALU_DEP_1)
	v_add_nc_u64_e32 v[96:97], v[10:11], v[34:35]
	v_add_nc_u64_e32 v[96:97], -1, v[96:97]
; %bb.6520:                             ;   in Loop: Header=BB2_6167 Depth=2
	s_or_b32 exec_lo, exec_lo, s41
	v_add_nc_u32_e32 v11, 0xffffff81, v42
	v_lshrrev_b32_e32 v34, 23, v10
	s_mov_b32 s10, exec_lo
	s_delay_alu instid0(VALU_DEP_2) | instskip(NEXT) | instid1(VALU_DEP_1)
	v_cndmask_b32_e64 v11, v11, 0xffffff82, vcc_lo
	v_add3_u32 v97, v43, v11, v34
	v_and_b32_e32 v11, 0x1fffff, v96
                                        ; implicit-def: $vgpr96
	s_delay_alu instid0(VALU_DEP_1) | instskip(NEXT) | instid1(VALU_DEP_1)
	v_dual_add_nc_u32 v42, 14, v97 :: v_dual_add_nc_u32 v34, v11, v10
                                        ; implicit-def: $vgpr10_vgpr11
	v_cmpx_ne_u32_e32 0, v42
	s_xor_b32 s10, exec_lo, s10
; %bb.6521:                             ;   in Loop: Header=BB2_6167 Depth=2
	s_delay_alu instid0(VALU_DEP_2) | instskip(SKIP_1) | instid1(VALU_DEP_1)
	v_cmp_lt_u64_e32 vcc_lo, 0xffffff, v[34:35]
	v_add_nc_u32_e32 v10, 15, v97
	v_cndmask_b32_e32 v96, v42, v10, vcc_lo
	v_cndmask_b32_e64 v10, 0, 1, vcc_lo
	s_delay_alu instid0(VALU_DEP_1)
	v_lshrrev_b64 v[10:11], v10, v[34:35]
; %bb.6522:                             ;   in Loop: Header=BB2_6167 Depth=2
	s_and_not1_saveexec_b32 s10, s10
; %bb.6523:                             ;   in Loop: Header=BB2_6167 Depth=2
	v_mov_b64_e32 v[10:11], v[34:35]
	v_bfe_u32 v96, v34, 23, 1
; %bb.6524:                             ;   in Loop: Header=BB2_6167 Depth=2
	s_or_b32 exec_lo, exec_lo, s10
	s_delay_alu instid0(VALU_DEP_2) | instskip(NEXT) | instid1(VALU_DEP_2)
	v_lshrrev_b64 v[10:11], 21, v[10:11]
	v_cmp_gt_i32_e32 vcc_lo, 32, v96
	v_min_i32_e32 v34, 31, v96
	v_cmp_eq_u32_e64 s10, 0, v96
	s_delay_alu instid0(VALU_DEP_2) | instskip(SKIP_1) | instid1(VALU_DEP_2)
	v_dual_cndmask_b32 v11, 0, v11 :: v_dual_lshlrev_b32 v34, 2, v34
	v_cndmask_b32_e32 v10, 3, v10, vcc_lo
	v_and_b32_e32 v34, 0xfc, v34
	s_delay_alu instid0(VALU_DEP_2) | instskip(NEXT) | instid1(VALU_DEP_2)
	v_cmp_eq_u64_e32 vcc_lo, 0, v[10:11]
	v_and_or_b32 v10, v10, 3, v34
	s_and_b32 s10, s10, vcc_lo
	s_delay_alu instid0(VALU_DEP_1) | instid1(SALU_CYCLE_1)
	v_cndmask_b32_e64 v10, v10, 0, s10
	s_delay_alu instid0(VALU_DEP_1)
	v_or_b32_e32 v42, v10, v30
.LBB2_6525:                             ;   in Loop: Header=BB2_6167 Depth=2
	s_or_b32 exec_lo, exec_lo, s40
                                        ; implicit-def: $vgpr30
.LBB2_6526:                             ;   in Loop: Header=BB2_6167 Depth=2
	s_and_not1_saveexec_b32 s10, s29
; %bb.6527:                             ;   in Loop: Header=BB2_6167 Depth=2
	v_or_b32_e32 v42, 0x7b, v30
; %bb.6528:                             ;   in Loop: Header=BB2_6167 Depth=2
	s_or_b32 exec_lo, exec_lo, s10
                                        ; implicit-def: $vgpr10
                                        ; implicit-def: $vgpr11
.LBB2_6529:                             ;   in Loop: Header=BB2_6167 Depth=2
	s_and_not1_saveexec_b32 s10, s28
	s_cbranch_execz .LBB2_6535
; %bb.6530:                             ;   in Loop: Header=BB2_6167 Depth=2
	s_mov_b32 s28, exec_lo
                                        ; implicit-def: $vgpr42
	v_cmpx_ne_u64_e32 0, v[34:35]
	s_xor_b32 s28, exec_lo, s28
; %bb.6531:                             ;   in Loop: Header=BB2_6167 Depth=2
	v_or_b32_e32 v42, 0x7f, v11
                                        ; implicit-def: $vgpr10
; %bb.6532:                             ;   in Loop: Header=BB2_6167 Depth=2
	s_and_not1_saveexec_b32 s28, s28
; %bb.6533:                             ;   in Loop: Header=BB2_6167 Depth=2
	v_cmp_lt_i32_e32 vcc_lo, -1, v10
	v_cndmask_b32_e32 v42, 0xfc, v112, vcc_lo
; %bb.6534:                             ;   in Loop: Header=BB2_6167 Depth=2
	s_or_b32 exec_lo, exec_lo, s28
.LBB2_6535:                             ;   in Loop: Header=BB2_6167 Depth=2
	s_delay_alu instid0(SALU_CYCLE_1) | instskip(SKIP_3) | instid1(VALU_DEP_2)
	s_or_b32 exec_lo, exec_lo, s10
	v_and_b32_e32 v11, 0xff, v13
	v_dual_mov_b32 v34, v13 :: v_dual_mov_b32 v10, 0
	s_mov_b32 s10, exec_lo
	v_cmpx_ne_u16_e32 0, v11
	s_cbranch_execz .LBB2_6545
; %bb.6536:                             ;   in Loop: Header=BB2_6167 Depth=2
	v_bfrev_b32_e32 v10, 1
	s_mov_b32 s28, exec_lo
	v_cmpx_ne_u16_e32 0x80, v11
	s_cbranch_execz .LBB2_6544
; %bb.6537:                             ;   in Loop: Header=BB2_6167 Depth=2
	v_and_b32_e32 v10, 0x7c, v13
	v_and_b32_e32 v11, 3, v13
	s_delay_alu instid0(VALU_DEP_2) | instskip(SKIP_1) | instid1(SALU_CYCLE_1)
	v_cmp_ne_u32_e32 vcc_lo, 0x7c, v10
                                        ; implicit-def: $vgpr10
	s_and_saveexec_b32 s29, vcc_lo
	s_xor_b32 s29, exec_lo, s29
	s_cbranch_execz .LBB2_6541
; %bb.6538:                             ;   in Loop: Header=BB2_6167 Depth=2
	v_bfe_u32 v10, v13, 2, 5
	s_mov_b32 s40, exec_lo
	s_delay_alu instid0(VALU_DEP_1)
	v_cmpx_eq_u32_e32 0, v10
; %bb.6539:                             ;   in Loop: Header=BB2_6167 Depth=2
	v_clz_i32_u32_e32 v10, v11
	s_delay_alu instid0(VALU_DEP_1) | instskip(NEXT) | instid1(VALU_DEP_1)
	v_min_u32_e32 v10, 32, v10
	v_subrev_nc_u32_e32 v11, 29, v10
	s_delay_alu instid0(VALU_DEP_1) | instskip(NEXT) | instid1(VALU_DEP_1)
	v_lshlrev_b64_e32 v[96:97], v11, v[34:35]
	v_dual_sub_nc_u32 v10, 30, v10 :: v_dual_bitop2_b32 v11, 3, v96 bitop3:0x40
; %bb.6540:                             ;   in Loop: Header=BB2_6167 Depth=2
	s_or_b32 exec_lo, exec_lo, s40
	v_lshlrev_b32_e32 v30, 24, v13
	s_delay_alu instid0(VALU_DEP_1) | instskip(NEXT) | instid1(VALU_DEP_1)
	v_and_b32_e32 v30, 0x80000000, v30
	v_lshl_add_u32 v10, v10, 23, v30
	s_delay_alu instid0(VALU_DEP_1) | instskip(NEXT) | instid1(VALU_DEP_1)
	v_lshl_or_b32 v10, v11, 21, v10
                                        ; implicit-def: $vgpr11
	v_add_nc_u32_e32 v10, 0x38000000, v10
.LBB2_6541:                             ;   in Loop: Header=BB2_6167 Depth=2
	s_and_not1_saveexec_b32 s29, s29
; %bb.6542:                             ;   in Loop: Header=BB2_6167 Depth=2
	v_bfe_i32 v10, v13, 0, 8
	s_delay_alu instid0(VALU_DEP_1) | instskip(SKIP_2) | instid1(VALU_DEP_2)
	v_cmp_lt_i16_e32 vcc_lo, -1, v10
	v_cndmask_b32_e32 v10, 0xff800000, v103, vcc_lo
	v_cmp_eq_u32_e32 vcc_lo, 0, v11
	v_cndmask_b32_e32 v10, 0x7f800001, v10, vcc_lo
; %bb.6543:                             ;   in Loop: Header=BB2_6167 Depth=2
	s_or_b32 exec_lo, exec_lo, s29
.LBB2_6544:                             ;   in Loop: Header=BB2_6167 Depth=2
	s_delay_alu instid0(SALU_CYCLE_1)
	s_or_b32 exec_lo, exec_lo, s28
.LBB2_6545:                             ;   in Loop: Header=BB2_6167 Depth=2
	s_delay_alu instid0(SALU_CYCLE_1) | instskip(NEXT) | instid1(VALU_DEP_1)
	s_or_b32 exec_lo, exec_lo, s10
	v_dual_mul_f32 v96, s27, v10 :: v_dual_mov_b32 v45, v35
	v_mov_b32_e32 v11, v35
                                        ; implicit-def: $vgpr43
	s_mov_b32 s10, exec_lo
	s_delay_alu instid0(VALU_DEP_2) | instskip(SKIP_2) | instid1(VALU_DEP_3)
	v_and_b32_e32 v44, 0x7f800000, v96
	v_and_b32_e32 v10, 0x7fffff, v96
	v_lshrrev_b32_e32 v30, 24, v96
	v_cmpx_ne_u64_e32 0x7f800000, v[44:45]
	s_xor_b32 s28, exec_lo, s10
	s_cbranch_execz .LBB2_6559
; %bb.6546:                             ;   in Loop: Header=BB2_6167 Depth=2
	v_and_b32_e32 v44, 0x7fffffff, v96
	v_mov_b32_e32 v45, v35
	v_and_b32_e32 v30, 0x80, v30
                                        ; implicit-def: $vgpr43
	s_mov_b32 s10, exec_lo
	s_delay_alu instid0(VALU_DEP_2)
	v_cmpx_gt_u64_e32 0x47600001, v[44:45]
	s_xor_b32 s29, exec_lo, s10
	s_cbranch_execz .LBB2_6556
; %bb.6547:                             ;   in Loop: Header=BB2_6167 Depth=2
	v_mov_b32_e32 v43, 0
	s_mov_b32 s40, exec_lo
	v_cmpx_ne_u32_e32 0, v96
	s_cbranch_execz .LBB2_6555
; %bb.6548:                             ;   in Loop: Header=BB2_6167 Depth=2
	v_bfe_u32 v43, v96, 23, 8
	v_or_b32_e32 v45, 0x800000, v10
	s_delay_alu instid0(VALU_DEP_2) | instskip(SKIP_1) | instid1(VALU_DEP_2)
	v_sub_nc_u32_e32 v96, 0x71, v43
	v_cmp_gt_u32_e32 vcc_lo, 0x72, v43
	v_cndmask_b32_e32 v96, 0, v96, vcc_lo
	v_cmp_eq_u32_e32 vcc_lo, 0, v43
	v_cndmask_b32_e32 v10, v45, v10, vcc_lo
	s_delay_alu instid0(VALU_DEP_3) | instskip(NEXT) | instid1(VALU_DEP_1)
	v_cndmask_b32_e64 v44, v96, 0x70, vcc_lo
	v_dual_add_nc_u32 v96, 21, v44 :: v_dual_add_nc_u32 v46, 20, v44
	s_delay_alu instid0(VALU_DEP_1) | instskip(NEXT) | instid1(VALU_DEP_2)
	v_lshlrev_b64_e64 v[96:97], v96, -1
	v_lshlrev_b64_e64 v[46:47], v46, 1
	s_delay_alu instid0(VALU_DEP_2) | instskip(SKIP_1) | instid1(VALU_DEP_4)
	v_bfi_b32 v96, v96, 0, v10
	v_lshrrev_b64 v[10:11], v44, v[10:11]
	v_bfi_b32 v97, v97, 0, 0
	s_delay_alu instid0(VALU_DEP_1) | instskip(NEXT) | instid1(VALU_DEP_3)
	v_cmp_eq_u64_e64 s10, v[96:97], v[46:47]
	v_mov_b64_e32 v[96:97], v[10:11]
	s_and_saveexec_b32 s41, s10
; %bb.6549:                             ;   in Loop: Header=BB2_6167 Depth=2
	v_bfe_u32 v96, v10, 21, 1
	v_mov_b32_e32 v97, v35
	s_delay_alu instid0(VALU_DEP_1) | instskip(NEXT) | instid1(VALU_DEP_1)
	v_add_nc_u64_e32 v[96:97], v[10:11], v[96:97]
	v_add_nc_u64_e32 v[96:97], -1, v[96:97]
; %bb.6550:                             ;   in Loop: Header=BB2_6167 Depth=2
	s_or_b32 exec_lo, exec_lo, s41
	v_add_nc_u32_e32 v11, 0xffffff81, v43
	v_lshrrev_b32_e32 v97, 23, v10
	s_mov_b32 s10, exec_lo
	s_delay_alu instid0(VALU_DEP_2) | instskip(NEXT) | instid1(VALU_DEP_1)
	v_cndmask_b32_e64 v11, v11, 0xffffff82, vcc_lo
	v_add3_u32 v97, v44, v11, v97
	v_and_b32_e32 v11, 0x1fffff, v96
                                        ; implicit-def: $vgpr96
	s_delay_alu instid0(VALU_DEP_1) | instskip(SKIP_1) | instid1(VALU_DEP_2)
	v_dual_add_nc_u32 v43, 14, v97 :: v_dual_add_nc_u32 v10, v11, v10
	v_mov_b32_e32 v11, v35
	v_cmpx_ne_u32_e32 0, v43
	s_xor_b32 s10, exec_lo, s10
; %bb.6551:                             ;   in Loop: Header=BB2_6167 Depth=2
	s_delay_alu instid0(VALU_DEP_2) | instskip(SKIP_2) | instid1(VALU_DEP_2)
	v_cmp_lt_u64_e32 vcc_lo, 0xffffff, v[10:11]
	v_add_nc_u32_e32 v96, 15, v97
	v_cndmask_b32_e64 v97, 0, 1, vcc_lo
	v_cndmask_b32_e32 v96, v43, v96, vcc_lo
	s_delay_alu instid0(VALU_DEP_2)
	v_lshrrev_b64 v[10:11], v97, v[10:11]
; %bb.6552:                             ;   in Loop: Header=BB2_6167 Depth=2
	s_and_not1_saveexec_b32 s10, s10
; %bb.6553:                             ;   in Loop: Header=BB2_6167 Depth=2
	s_delay_alu instid0(VALU_DEP_1)
	v_bfe_u32 v96, v10, 23, 1
; %bb.6554:                             ;   in Loop: Header=BB2_6167 Depth=2
	s_or_b32 exec_lo, exec_lo, s10
	s_delay_alu instid0(VALU_DEP_2) | instskip(NEXT) | instid1(VALU_DEP_2)
	v_lshrrev_b64 v[10:11], 21, v[10:11]
	v_cmp_gt_i32_e32 vcc_lo, 32, v96
	v_min_i32_e32 v97, 31, v96
	v_cmp_eq_u32_e64 s10, 0, v96
	s_delay_alu instid0(VALU_DEP_2) | instskip(SKIP_1) | instid1(VALU_DEP_2)
	v_dual_cndmask_b32 v11, 0, v11, vcc_lo :: v_dual_lshlrev_b32 v97, 2, v97
	v_cndmask_b32_e32 v10, 3, v10, vcc_lo
	v_and_b32_e32 v97, 0xfc, v97
	s_delay_alu instid0(VALU_DEP_2) | instskip(NEXT) | instid1(VALU_DEP_2)
	v_cmp_eq_u64_e32 vcc_lo, 0, v[10:11]
	v_and_or_b32 v10, v10, 3, v97
	s_and_b32 s10, s10, vcc_lo
	s_delay_alu instid0(VALU_DEP_1) | instid1(SALU_CYCLE_1)
	v_cndmask_b32_e64 v10, v10, 0, s10
	s_delay_alu instid0(VALU_DEP_1)
	v_or_b32_e32 v43, v10, v30
.LBB2_6555:                             ;   in Loop: Header=BB2_6167 Depth=2
	s_or_b32 exec_lo, exec_lo, s40
                                        ; implicit-def: $vgpr30
.LBB2_6556:                             ;   in Loop: Header=BB2_6167 Depth=2
	s_and_not1_saveexec_b32 s10, s29
; %bb.6557:                             ;   in Loop: Header=BB2_6167 Depth=2
	v_or_b32_e32 v43, 0x7b, v30
; %bb.6558:                             ;   in Loop: Header=BB2_6167 Depth=2
	s_or_b32 exec_lo, exec_lo, s10
                                        ; implicit-def: $vgpr96
                                        ; implicit-def: $vgpr10_vgpr11
                                        ; implicit-def: $vgpr30
.LBB2_6559:                             ;   in Loop: Header=BB2_6167 Depth=2
	s_and_not1_saveexec_b32 s10, s28
	s_cbranch_execz .LBB2_6565
; %bb.6560:                             ;   in Loop: Header=BB2_6167 Depth=2
	s_mov_b32 s28, exec_lo
                                        ; implicit-def: $vgpr43
	v_cmpx_ne_u64_e32 0, v[10:11]
	s_xor_b32 s28, exec_lo, s28
; %bb.6561:                             ;   in Loop: Header=BB2_6167 Depth=2
	v_or_b32_e32 v43, 0x7f, v30
                                        ; implicit-def: $vgpr96
; %bb.6562:                             ;   in Loop: Header=BB2_6167 Depth=2
	s_and_not1_saveexec_b32 s28, s28
; %bb.6563:                             ;   in Loop: Header=BB2_6167 Depth=2
	v_cmp_lt_i32_e32 vcc_lo, -1, v96
	v_cndmask_b32_e32 v43, 0xfc, v112, vcc_lo
; %bb.6564:                             ;   in Loop: Header=BB2_6167 Depth=2
	s_or_b32 exec_lo, exec_lo, s28
.LBB2_6565:                             ;   in Loop: Header=BB2_6167 Depth=2
	s_delay_alu instid0(SALU_CYCLE_1) | instskip(SKIP_3) | instid1(VALU_DEP_2)
	s_or_b32 exec_lo, exec_lo, s10
	v_lshrrev_b16 v10, 8, v34
	v_mov_b32_e32 v30, 0
	s_mov_b32 s10, exec_lo
	v_cmpx_ne_u16_e32 0, v10
	s_cbranch_execz .LBB2_6575
; %bb.6566:                             ;   in Loop: Header=BB2_6167 Depth=2
	v_bfrev_b32_e32 v30, 1
	s_mov_b32 s28, exec_lo
	v_cmpx_ne_u16_e32 0x80, v10
	s_cbranch_execz .LBB2_6574
; %bb.6567:                             ;   in Loop: Header=BB2_6167 Depth=2
	v_and_b32_e32 v96, 0xffff, v10
	s_delay_alu instid0(VALU_DEP_1) | instskip(SKIP_1) | instid1(VALU_DEP_2)
	v_and_b32_e32 v30, 0x7c, v96
	v_and_b32_e32 v11, 3, v96
	v_cmp_ne_u32_e32 vcc_lo, 0x7c, v30
                                        ; implicit-def: $vgpr30
	s_and_saveexec_b32 s29, vcc_lo
	s_delay_alu instid0(SALU_CYCLE_1)
	s_xor_b32 s29, exec_lo, s29
	s_cbranch_execz .LBB2_6571
; %bb.6568:                             ;   in Loop: Header=BB2_6167 Depth=2
	v_bfe_u32 v30, v96, 2, 5
	s_mov_b32 s40, exec_lo
	s_delay_alu instid0(VALU_DEP_1)
	v_cmpx_eq_u32_e32 0, v30
	s_cbranch_execz .LBB2_6570
; %bb.6569:                             ;   in Loop: Header=BB2_6167 Depth=2
	v_clz_i32_u32_e32 v11, v11
	s_delay_alu instid0(VALU_DEP_1) | instskip(SKIP_1) | instid1(VALU_DEP_2)
	v_min_u32_e32 v30, 32, v11
	v_mov_b32_e32 v11, v35
	v_subrev_nc_u32_e32 v96, 29, v30
	v_sub_nc_u32_e32 v30, 30, v30
	s_delay_alu instid0(VALU_DEP_2) | instskip(NEXT) | instid1(VALU_DEP_1)
	v_lshlrev_b64_e32 v[10:11], v96, v[10:11]
	v_and_b32_e32 v11, 3, v10
.LBB2_6570:                             ;   in Loop: Header=BB2_6167 Depth=2
	s_or_b32 exec_lo, exec_lo, s40
	v_lshlrev_b32_e32 v10, 16, v34
	s_delay_alu instid0(VALU_DEP_1) | instskip(NEXT) | instid1(VALU_DEP_1)
	v_and_b32_e32 v10, 0x80000000, v10
	v_lshl_add_u32 v10, v30, 23, v10
	s_delay_alu instid0(VALU_DEP_1) | instskip(NEXT) | instid1(VALU_DEP_1)
	v_lshl_or_b32 v10, v11, 21, v10
                                        ; implicit-def: $vgpr11
	v_add_nc_u32_e32 v30, 0x38000000, v10
.LBB2_6571:                             ;   in Loop: Header=BB2_6167 Depth=2
	s_and_not1_saveexec_b32 s29, s29
; %bb.6572:                             ;   in Loop: Header=BB2_6167 Depth=2
	v_cmp_lt_i16_e32 vcc_lo, -1, v34
	v_cndmask_b32_e32 v10, 0xff800000, v103, vcc_lo
	v_cmp_eq_u32_e32 vcc_lo, 0, v11
	s_delay_alu instid0(VALU_DEP_2)
	v_cndmask_b32_e32 v30, 0x7f800001, v10, vcc_lo
; %bb.6573:                             ;   in Loop: Header=BB2_6167 Depth=2
	s_or_b32 exec_lo, exec_lo, s29
.LBB2_6574:                             ;   in Loop: Header=BB2_6167 Depth=2
	s_delay_alu instid0(SALU_CYCLE_1)
	s_or_b32 exec_lo, exec_lo, s28
.LBB2_6575:                             ;   in Loop: Header=BB2_6167 Depth=2
	s_delay_alu instid0(SALU_CYCLE_1) | instskip(NEXT) | instid1(VALU_DEP_1)
	s_or_b32 exec_lo, exec_lo, s10
	v_dual_mul_f32 v10, s27, v30 :: v_dual_mov_b32 v97, v35
                                        ; implicit-def: $vgpr44
	s_mov_b32 s10, exec_lo
	s_delay_alu instid0(VALU_DEP_1) | instskip(SKIP_2) | instid1(VALU_DEP_3)
	v_and_b32_e32 v96, 0x7f800000, v10
	v_and_b32_e32 v34, 0x7fffff, v10
	v_lshrrev_b32_e32 v11, 24, v10
	v_cmpx_ne_u64_e32 0x7f800000, v[96:97]
	s_xor_b32 s28, exec_lo, s10
	s_cbranch_execz .LBB2_6589
; %bb.6576:                             ;   in Loop: Header=BB2_6167 Depth=2
	v_and_b32_e32 v96, 0x7fffffff, v10
	v_mov_b32_e32 v97, v35
	v_and_b32_e32 v30, 0x80, v11
                                        ; implicit-def: $vgpr44
	s_mov_b32 s10, exec_lo
	s_delay_alu instid0(VALU_DEP_2)
	v_cmpx_gt_u64_e32 0x47600001, v[96:97]
	s_xor_b32 s29, exec_lo, s10
	s_cbranch_execz .LBB2_6586
; %bb.6577:                             ;   in Loop: Header=BB2_6167 Depth=2
	v_mov_b32_e32 v44, 0
	s_mov_b32 s40, exec_lo
	v_cmpx_ne_u32_e32 0, v10
	s_cbranch_execz .LBB2_6585
; %bb.6578:                             ;   in Loop: Header=BB2_6167 Depth=2
	v_bfe_u32 v44, v10, 23, 8
	v_or_b32_e32 v96, 0x800000, v34
	s_delay_alu instid0(VALU_DEP_2) | instskip(SKIP_1) | instid1(VALU_DEP_2)
	v_sub_nc_u32_e32 v10, 0x71, v44
	v_cmp_gt_u32_e32 vcc_lo, 0x72, v44
	v_cndmask_b32_e32 v10, 0, v10, vcc_lo
	v_cmp_eq_u32_e32 vcc_lo, 0, v44
	s_delay_alu instid0(VALU_DEP_2) | instskip(NEXT) | instid1(VALU_DEP_1)
	v_cndmask_b32_e64 v45, v10, 0x70, vcc_lo
	v_dual_cndmask_b32 v34, v96, v34, vcc_lo :: v_dual_add_nc_u32 v10, 21, v45
	v_add_nc_u32_e32 v97, 20, v45
	s_delay_alu instid0(VALU_DEP_2) | instskip(NEXT) | instid1(VALU_DEP_2)
	v_lshlrev_b64_e64 v[10:11], v10, -1
	v_lshlrev_b64_e64 v[96:97], v97, 1
	s_delay_alu instid0(VALU_DEP_2) | instskip(NEXT) | instid1(VALU_DEP_3)
	v_bfi_b32 v47, v11, 0, 0
	v_bfi_b32 v46, v10, 0, v34
	v_lshrrev_b64 v[10:11], v45, v[34:35]
	s_delay_alu instid0(VALU_DEP_2) | instskip(NEXT) | instid1(VALU_DEP_2)
	v_cmp_eq_u64_e64 s10, v[46:47], v[96:97]
	v_mov_b64_e32 v[96:97], v[10:11]
	s_and_saveexec_b32 s41, s10
; %bb.6579:                             ;   in Loop: Header=BB2_6167 Depth=2
	v_bfe_u32 v34, v10, 21, 1
	s_delay_alu instid0(VALU_DEP_1) | instskip(NEXT) | instid1(VALU_DEP_1)
	v_add_nc_u64_e32 v[96:97], v[10:11], v[34:35]
	v_add_nc_u64_e32 v[96:97], -1, v[96:97]
; %bb.6580:                             ;   in Loop: Header=BB2_6167 Depth=2
	s_or_b32 exec_lo, exec_lo, s41
	v_add_nc_u32_e32 v11, 0xffffff81, v44
	v_lshrrev_b32_e32 v34, 23, v10
	s_mov_b32 s10, exec_lo
	s_delay_alu instid0(VALU_DEP_2) | instskip(NEXT) | instid1(VALU_DEP_1)
	v_cndmask_b32_e64 v11, v11, 0xffffff82, vcc_lo
	v_add3_u32 v97, v45, v11, v34
	v_and_b32_e32 v11, 0x1fffff, v96
                                        ; implicit-def: $vgpr96
	s_delay_alu instid0(VALU_DEP_1) | instskip(NEXT) | instid1(VALU_DEP_1)
	v_dual_add_nc_u32 v44, 14, v97 :: v_dual_add_nc_u32 v34, v11, v10
                                        ; implicit-def: $vgpr10_vgpr11
	v_cmpx_ne_u32_e32 0, v44
	s_xor_b32 s10, exec_lo, s10
; %bb.6581:                             ;   in Loop: Header=BB2_6167 Depth=2
	s_delay_alu instid0(VALU_DEP_2) | instskip(SKIP_1) | instid1(VALU_DEP_1)
	v_cmp_lt_u64_e32 vcc_lo, 0xffffff, v[34:35]
	v_add_nc_u32_e32 v10, 15, v97
	v_cndmask_b32_e32 v96, v44, v10, vcc_lo
	v_cndmask_b32_e64 v10, 0, 1, vcc_lo
	s_delay_alu instid0(VALU_DEP_1)
	v_lshrrev_b64 v[10:11], v10, v[34:35]
; %bb.6582:                             ;   in Loop: Header=BB2_6167 Depth=2
	s_and_not1_saveexec_b32 s10, s10
; %bb.6583:                             ;   in Loop: Header=BB2_6167 Depth=2
	v_mov_b64_e32 v[10:11], v[34:35]
	v_bfe_u32 v96, v34, 23, 1
; %bb.6584:                             ;   in Loop: Header=BB2_6167 Depth=2
	s_or_b32 exec_lo, exec_lo, s10
	s_delay_alu instid0(VALU_DEP_2) | instskip(NEXT) | instid1(VALU_DEP_2)
	v_lshrrev_b64 v[10:11], 21, v[10:11]
	v_cmp_gt_i32_e32 vcc_lo, 32, v96
	v_min_i32_e32 v34, 31, v96
	v_cmp_eq_u32_e64 s10, 0, v96
	s_delay_alu instid0(VALU_DEP_2) | instskip(SKIP_1) | instid1(VALU_DEP_2)
	v_dual_cndmask_b32 v11, 0, v11 :: v_dual_lshlrev_b32 v34, 2, v34
	v_cndmask_b32_e32 v10, 3, v10, vcc_lo
	v_and_b32_e32 v34, 0xfc, v34
	s_delay_alu instid0(VALU_DEP_2) | instskip(NEXT) | instid1(VALU_DEP_2)
	v_cmp_eq_u64_e32 vcc_lo, 0, v[10:11]
	v_and_or_b32 v10, v10, 3, v34
	s_and_b32 s10, s10, vcc_lo
	s_delay_alu instid0(VALU_DEP_1) | instid1(SALU_CYCLE_1)
	v_cndmask_b32_e64 v10, v10, 0, s10
	s_delay_alu instid0(VALU_DEP_1)
	v_or_b32_e32 v44, v10, v30
.LBB2_6585:                             ;   in Loop: Header=BB2_6167 Depth=2
	s_or_b32 exec_lo, exec_lo, s40
                                        ; implicit-def: $vgpr30
.LBB2_6586:                             ;   in Loop: Header=BB2_6167 Depth=2
	s_and_not1_saveexec_b32 s10, s29
; %bb.6587:                             ;   in Loop: Header=BB2_6167 Depth=2
	v_or_b32_e32 v44, 0x7b, v30
; %bb.6588:                             ;   in Loop: Header=BB2_6167 Depth=2
	s_or_b32 exec_lo, exec_lo, s10
                                        ; implicit-def: $vgpr10
                                        ; implicit-def: $vgpr11
.LBB2_6589:                             ;   in Loop: Header=BB2_6167 Depth=2
	s_and_not1_saveexec_b32 s10, s28
	s_cbranch_execz .LBB2_6595
; %bb.6590:                             ;   in Loop: Header=BB2_6167 Depth=2
	s_mov_b32 s28, exec_lo
                                        ; implicit-def: $vgpr44
	v_cmpx_ne_u64_e32 0, v[34:35]
	s_xor_b32 s28, exec_lo, s28
; %bb.6591:                             ;   in Loop: Header=BB2_6167 Depth=2
	v_or_b32_e32 v44, 0x7f, v11
                                        ; implicit-def: $vgpr10
; %bb.6592:                             ;   in Loop: Header=BB2_6167 Depth=2
	s_and_not1_saveexec_b32 s28, s28
; %bb.6593:                             ;   in Loop: Header=BB2_6167 Depth=2
	v_cmp_lt_i32_e32 vcc_lo, -1, v10
	v_cndmask_b32_e32 v44, 0xfc, v112, vcc_lo
; %bb.6594:                             ;   in Loop: Header=BB2_6167 Depth=2
	s_or_b32 exec_lo, exec_lo, s28
.LBB2_6595:                             ;   in Loop: Header=BB2_6167 Depth=2
	s_delay_alu instid0(SALU_CYCLE_1) | instskip(SKIP_2) | instid1(VALU_DEP_1)
	s_or_b32 exec_lo, exec_lo, s10
	v_dual_mov_b32 v11, 0 :: v_dual_lshrrev_b32 v10, 16, v13
	s_mov_b32 s10, exec_lo
	v_and_b32_e32 v30, 0xff, v10
	s_delay_alu instid0(VALU_DEP_1)
	v_cmpx_ne_u16_e32 0, v30
	s_cbranch_execz .LBB2_6605
; %bb.6596:                             ;   in Loop: Header=BB2_6167 Depth=2
	v_bfrev_b32_e32 v11, 1
	s_mov_b32 s28, exec_lo
	v_cmpx_ne_u16_e32 0x80, v30
	s_cbranch_execz .LBB2_6604
; %bb.6597:                             ;   in Loop: Header=BB2_6167 Depth=2
	v_and_b32_e32 v11, 0x7c0000, v13
	v_bfe_u32 v30, v13, 16, 2
	s_delay_alu instid0(VALU_DEP_2) | instskip(SKIP_1) | instid1(SALU_CYCLE_1)
	v_cmp_ne_u32_e32 vcc_lo, 0x7c0000, v11
                                        ; implicit-def: $vgpr11
	s_and_saveexec_b32 s29, vcc_lo
	s_xor_b32 s29, exec_lo, s29
	s_cbranch_execz .LBB2_6601
; %bb.6598:                             ;   in Loop: Header=BB2_6167 Depth=2
	v_bfe_u32 v11, v13, 18, 5
	s_mov_b32 s40, exec_lo
	s_delay_alu instid0(VALU_DEP_1)
	v_cmpx_eq_u32_e32 0, v11
; %bb.6599:                             ;   in Loop: Header=BB2_6167 Depth=2
	v_clz_i32_u32_e32 v11, v30
	s_delay_alu instid0(VALU_DEP_1) | instskip(NEXT) | instid1(VALU_DEP_1)
	v_min_u32_e32 v11, 32, v11
	v_subrev_nc_u32_e32 v30, 29, v11
	s_delay_alu instid0(VALU_DEP_1) | instskip(NEXT) | instid1(VALU_DEP_1)
	v_lshlrev_b64_e32 v[96:97], v30, v[10:11]
	v_dual_sub_nc_u32 v11, 30, v11 :: v_dual_bitop2_b32 v30, 3, v96 bitop3:0x40
; %bb.6600:                             ;   in Loop: Header=BB2_6167 Depth=2
	s_or_b32 exec_lo, exec_lo, s40
	v_lshlrev_b32_e32 v10, 24, v10
	s_delay_alu instid0(VALU_DEP_1) | instskip(NEXT) | instid1(VALU_DEP_1)
	v_and_b32_e32 v10, 0x80000000, v10
	v_lshl_add_u32 v10, v11, 23, v10
	s_delay_alu instid0(VALU_DEP_1) | instskip(NEXT) | instid1(VALU_DEP_1)
	v_lshl_or_b32 v10, v30, 21, v10
                                        ; implicit-def: $vgpr30
	v_add_nc_u32_e32 v11, 0x38000000, v10
                                        ; implicit-def: $vgpr10
.LBB2_6601:                             ;   in Loop: Header=BB2_6167 Depth=2
	s_and_not1_saveexec_b32 s29, s29
; %bb.6602:                             ;   in Loop: Header=BB2_6167 Depth=2
	v_bfe_i32 v10, v10, 0, 8
	s_delay_alu instid0(VALU_DEP_1) | instskip(SKIP_2) | instid1(VALU_DEP_2)
	v_cmp_lt_i16_e32 vcc_lo, -1, v10
	v_cndmask_b32_e32 v10, 0xff800000, v103, vcc_lo
	v_cmp_eq_u32_e32 vcc_lo, 0, v30
	v_cndmask_b32_e32 v11, 0x7f800001, v10, vcc_lo
; %bb.6603:                             ;   in Loop: Header=BB2_6167 Depth=2
	s_or_b32 exec_lo, exec_lo, s29
.LBB2_6604:                             ;   in Loop: Header=BB2_6167 Depth=2
	s_delay_alu instid0(SALU_CYCLE_1)
	s_or_b32 exec_lo, exec_lo, s28
.LBB2_6605:                             ;   in Loop: Header=BB2_6167 Depth=2
	s_delay_alu instid0(SALU_CYCLE_1) | instskip(NEXT) | instid1(VALU_DEP_1)
	s_or_b32 exec_lo, exec_lo, s10
	v_dual_mul_f32 v10, s27, v11 :: v_dual_mov_b32 v97, v35
                                        ; implicit-def: $vgpr45
	s_mov_b32 s10, exec_lo
	s_delay_alu instid0(VALU_DEP_1) | instskip(SKIP_2) | instid1(VALU_DEP_3)
	v_and_b32_e32 v96, 0x7f800000, v10
	v_and_b32_e32 v34, 0x7fffff, v10
	v_lshrrev_b32_e32 v11, 24, v10
	v_cmpx_ne_u64_e32 0x7f800000, v[96:97]
	s_xor_b32 s28, exec_lo, s10
	s_cbranch_execz .LBB2_6619
; %bb.6606:                             ;   in Loop: Header=BB2_6167 Depth=2
	v_and_b32_e32 v96, 0x7fffffff, v10
	v_mov_b32_e32 v97, v35
	v_and_b32_e32 v30, 0x80, v11
                                        ; implicit-def: $vgpr45
	s_mov_b32 s10, exec_lo
	s_delay_alu instid0(VALU_DEP_2)
	v_cmpx_gt_u64_e32 0x47600001, v[96:97]
	s_xor_b32 s29, exec_lo, s10
	s_cbranch_execz .LBB2_6616
; %bb.6607:                             ;   in Loop: Header=BB2_6167 Depth=2
	v_mov_b32_e32 v45, 0
	s_mov_b32 s40, exec_lo
	v_cmpx_ne_u32_e32 0, v10
	s_cbranch_execz .LBB2_6615
; %bb.6608:                             ;   in Loop: Header=BB2_6167 Depth=2
	v_bfe_u32 v45, v10, 23, 8
	v_or_b32_e32 v96, 0x800000, v34
	s_delay_alu instid0(VALU_DEP_2) | instskip(SKIP_1) | instid1(VALU_DEP_2)
	v_sub_nc_u32_e32 v10, 0x71, v45
	v_cmp_gt_u32_e32 vcc_lo, 0x72, v45
	v_cndmask_b32_e32 v10, 0, v10, vcc_lo
	v_cmp_eq_u32_e32 vcc_lo, 0, v45
	s_delay_alu instid0(VALU_DEP_2) | instskip(SKIP_1) | instid1(VALU_DEP_2)
	v_cndmask_b32_e64 v46, v10, 0x70, vcc_lo
	v_cndmask_b32_e32 v34, v96, v34, vcc_lo
	v_dual_add_nc_u32 v10, 21, v46 :: v_dual_add_nc_u32 v97, 20, v46
	s_delay_alu instid0(VALU_DEP_1) | instskip(NEXT) | instid1(VALU_DEP_2)
	v_lshlrev_b64_e64 v[10:11], v10, -1
	v_lshlrev_b64_e64 v[96:97], v97, 1
	s_delay_alu instid0(VALU_DEP_2) | instskip(NEXT) | instid1(VALU_DEP_3)
	v_bfi_b32 v59, v11, 0, 0
	v_bfi_b32 v58, v10, 0, v34
	v_lshrrev_b64 v[10:11], v46, v[34:35]
	s_delay_alu instid0(VALU_DEP_2) | instskip(NEXT) | instid1(VALU_DEP_2)
	v_cmp_eq_u64_e64 s10, v[58:59], v[96:97]
	v_mov_b64_e32 v[96:97], v[10:11]
	s_and_saveexec_b32 s41, s10
; %bb.6609:                             ;   in Loop: Header=BB2_6167 Depth=2
	v_bfe_u32 v34, v10, 21, 1
	s_delay_alu instid0(VALU_DEP_1) | instskip(NEXT) | instid1(VALU_DEP_1)
	v_add_nc_u64_e32 v[96:97], v[10:11], v[34:35]
	v_add_nc_u64_e32 v[96:97], -1, v[96:97]
; %bb.6610:                             ;   in Loop: Header=BB2_6167 Depth=2
	s_or_b32 exec_lo, exec_lo, s41
	v_add_nc_u32_e32 v11, 0xffffff81, v45
	v_lshrrev_b32_e32 v34, 23, v10
	s_mov_b32 s10, exec_lo
	s_delay_alu instid0(VALU_DEP_2) | instskip(NEXT) | instid1(VALU_DEP_1)
	v_cndmask_b32_e64 v11, v11, 0xffffff82, vcc_lo
	v_add3_u32 v97, v46, v11, v34
	v_and_b32_e32 v11, 0x1fffff, v96
                                        ; implicit-def: $vgpr96
	s_delay_alu instid0(VALU_DEP_1) | instskip(NEXT) | instid1(VALU_DEP_1)
	v_dual_add_nc_u32 v45, 14, v97 :: v_dual_add_nc_u32 v34, v11, v10
                                        ; implicit-def: $vgpr10_vgpr11
	v_cmpx_ne_u32_e32 0, v45
	s_xor_b32 s10, exec_lo, s10
; %bb.6611:                             ;   in Loop: Header=BB2_6167 Depth=2
	s_delay_alu instid0(VALU_DEP_2) | instskip(SKIP_1) | instid1(VALU_DEP_1)
	v_cmp_lt_u64_e32 vcc_lo, 0xffffff, v[34:35]
	v_add_nc_u32_e32 v10, 15, v97
	v_cndmask_b32_e32 v96, v45, v10, vcc_lo
	v_cndmask_b32_e64 v10, 0, 1, vcc_lo
	s_delay_alu instid0(VALU_DEP_1)
	v_lshrrev_b64 v[10:11], v10, v[34:35]
; %bb.6612:                             ;   in Loop: Header=BB2_6167 Depth=2
	s_and_not1_saveexec_b32 s10, s10
; %bb.6613:                             ;   in Loop: Header=BB2_6167 Depth=2
	v_mov_b64_e32 v[10:11], v[34:35]
	v_bfe_u32 v96, v34, 23, 1
; %bb.6614:                             ;   in Loop: Header=BB2_6167 Depth=2
	s_or_b32 exec_lo, exec_lo, s10
	s_delay_alu instid0(VALU_DEP_2) | instskip(NEXT) | instid1(VALU_DEP_2)
	v_lshrrev_b64 v[10:11], 21, v[10:11]
	v_cmp_gt_i32_e32 vcc_lo, 32, v96
	v_min_i32_e32 v34, 31, v96
	v_cmp_eq_u32_e64 s10, 0, v96
	s_delay_alu instid0(VALU_DEP_2) | instskip(SKIP_1) | instid1(VALU_DEP_2)
	v_dual_cndmask_b32 v11, 0, v11 :: v_dual_lshlrev_b32 v34, 2, v34
	v_cndmask_b32_e32 v10, 3, v10, vcc_lo
	v_and_b32_e32 v34, 0xfc, v34
	s_delay_alu instid0(VALU_DEP_2) | instskip(NEXT) | instid1(VALU_DEP_2)
	v_cmp_eq_u64_e32 vcc_lo, 0, v[10:11]
	v_and_or_b32 v10, v10, 3, v34
	s_and_b32 s10, s10, vcc_lo
	s_delay_alu instid0(VALU_DEP_1) | instid1(SALU_CYCLE_1)
	v_cndmask_b32_e64 v10, v10, 0, s10
	s_delay_alu instid0(VALU_DEP_1)
	v_or_b32_e32 v45, v10, v30
.LBB2_6615:                             ;   in Loop: Header=BB2_6167 Depth=2
	s_or_b32 exec_lo, exec_lo, s40
                                        ; implicit-def: $vgpr30
.LBB2_6616:                             ;   in Loop: Header=BB2_6167 Depth=2
	s_and_not1_saveexec_b32 s10, s29
; %bb.6617:                             ;   in Loop: Header=BB2_6167 Depth=2
	v_or_b32_e32 v45, 0x7b, v30
; %bb.6618:                             ;   in Loop: Header=BB2_6167 Depth=2
	s_or_b32 exec_lo, exec_lo, s10
                                        ; implicit-def: $vgpr10
                                        ; implicit-def: $vgpr11
.LBB2_6619:                             ;   in Loop: Header=BB2_6167 Depth=2
	s_and_not1_saveexec_b32 s10, s28
	s_cbranch_execz .LBB2_6625
; %bb.6620:                             ;   in Loop: Header=BB2_6167 Depth=2
	s_mov_b32 s28, exec_lo
                                        ; implicit-def: $vgpr45
	v_cmpx_ne_u64_e32 0, v[34:35]
	s_xor_b32 s28, exec_lo, s28
; %bb.6621:                             ;   in Loop: Header=BB2_6167 Depth=2
	v_or_b32_e32 v45, 0x7f, v11
                                        ; implicit-def: $vgpr10
; %bb.6622:                             ;   in Loop: Header=BB2_6167 Depth=2
	s_and_not1_saveexec_b32 s28, s28
; %bb.6623:                             ;   in Loop: Header=BB2_6167 Depth=2
	v_cmp_lt_i32_e32 vcc_lo, -1, v10
	v_cndmask_b32_e32 v45, 0xfc, v112, vcc_lo
; %bb.6624:                             ;   in Loop: Header=BB2_6167 Depth=2
	s_or_b32 exec_lo, exec_lo, s28
.LBB2_6625:                             ;   in Loop: Header=BB2_6167 Depth=2
	s_delay_alu instid0(SALU_CYCLE_1)
	s_or_b32 exec_lo, exec_lo, s10
	v_mov_b32_e32 v11, 0
	s_mov_b32 s10, exec_lo
	v_cmpx_lt_u64_e64 s[12:13], v[12:13]
	s_cbranch_execz .LBB2_6635
; %bb.6626:                             ;   in Loop: Header=BB2_6167 Depth=2
	v_lshrrev_b32_e32 v10, 24, v13
	v_bfrev_b32_e32 v11, 1
	s_mov_b32 s28, exec_lo
	s_delay_alu instid0(VALU_DEP_2)
	v_cmpx_ne_u32_e32 0x80, v10
	s_cbranch_execz .LBB2_6634
; %bb.6627:                             ;   in Loop: Header=BB2_6167 Depth=2
	v_and_b32_e32 v11, 0x7c000000, v13
	v_bfe_u32 v30, v13, 24, 2
	s_delay_alu instid0(VALU_DEP_2) | instskip(SKIP_1) | instid1(SALU_CYCLE_1)
	v_cmp_ne_u32_e32 vcc_lo, 0x7c000000, v11
                                        ; implicit-def: $vgpr11
	s_and_saveexec_b32 s29, vcc_lo
	s_xor_b32 s29, exec_lo, s29
	s_cbranch_execz .LBB2_6631
; %bb.6628:                             ;   in Loop: Header=BB2_6167 Depth=2
	v_bfe_u32 v11, v13, 26, 5
	s_mov_b32 s40, exec_lo
	s_delay_alu instid0(VALU_DEP_1)
	v_cmpx_eq_u32_e32 0, v11
; %bb.6629:                             ;   in Loop: Header=BB2_6167 Depth=2
	v_clz_i32_u32_e32 v11, v30
	s_delay_alu instid0(VALU_DEP_1) | instskip(NEXT) | instid1(VALU_DEP_1)
	v_min_u32_e32 v12, 32, v11
	v_subrev_nc_u32_e32 v11, 29, v12
	s_delay_alu instid0(VALU_DEP_1) | instskip(NEXT) | instid1(VALU_DEP_1)
	v_lshlrev_b64_e32 v[10:11], v11, v[10:11]
	v_dual_sub_nc_u32 v11, 30, v12 :: v_dual_bitop2_b32 v30, 3, v10 bitop3:0x40
; %bb.6630:                             ;   in Loop: Header=BB2_6167 Depth=2
	s_or_b32 exec_lo, exec_lo, s40
	v_and_b32_e32 v10, 0x80000000, v13
                                        ; implicit-def: $vgpr12_vgpr13
	s_delay_alu instid0(VALU_DEP_1) | instskip(NEXT) | instid1(VALU_DEP_1)
	v_lshl_add_u32 v10, v11, 23, v10
	v_lshl_or_b32 v10, v30, 21, v10
                                        ; implicit-def: $vgpr30
	s_delay_alu instid0(VALU_DEP_1)
	v_add_nc_u32_e32 v11, 0x38000000, v10
.LBB2_6631:                             ;   in Loop: Header=BB2_6167 Depth=2
	s_and_not1_saveexec_b32 s29, s29
; %bb.6632:                             ;   in Loop: Header=BB2_6167 Depth=2
	v_cmp_lt_i64_e32 vcc_lo, -1, v[12:13]
	v_cndmask_b32_e32 v10, 0xff800000, v103, vcc_lo
	v_cmp_eq_u32_e32 vcc_lo, 0, v30
	s_delay_alu instid0(VALU_DEP_2)
	v_cndmask_b32_e32 v11, 0x7f800001, v10, vcc_lo
; %bb.6633:                             ;   in Loop: Header=BB2_6167 Depth=2
	s_or_b32 exec_lo, exec_lo, s29
.LBB2_6634:                             ;   in Loop: Header=BB2_6167 Depth=2
	s_delay_alu instid0(SALU_CYCLE_1)
	s_or_b32 exec_lo, exec_lo, s28
.LBB2_6635:                             ;   in Loop: Header=BB2_6167 Depth=2
	s_delay_alu instid0(SALU_CYCLE_1) | instskip(NEXT) | instid1(VALU_DEP_1)
	s_or_b32 exec_lo, exec_lo, s10
	v_dual_mul_f32 v10, s27, v11 :: v_dual_mov_b32 v13, v35
                                        ; implicit-def: $vgpr46
	s_mov_b32 s10, exec_lo
	s_delay_alu instid0(VALU_DEP_1) | instskip(SKIP_2) | instid1(VALU_DEP_3)
	v_and_b32_e32 v12, 0x7f800000, v10
	v_and_b32_e32 v34, 0x7fffff, v10
	v_lshrrev_b32_e32 v11, 24, v10
	v_cmpx_ne_u64_e32 0x7f800000, v[12:13]
	s_xor_b32 s28, exec_lo, s10
	s_cbranch_execz .LBB2_6649
; %bb.6636:                             ;   in Loop: Header=BB2_6167 Depth=2
	v_and_b32_e32 v12, 0x7fffffff, v10
	v_mov_b32_e32 v13, v35
	v_and_b32_e32 v30, 0x80, v11
                                        ; implicit-def: $vgpr46
	s_mov_b32 s10, exec_lo
	s_delay_alu instid0(VALU_DEP_2)
	v_cmpx_gt_u64_e32 0x47600001, v[12:13]
	s_xor_b32 s29, exec_lo, s10
	s_cbranch_execz .LBB2_6646
; %bb.6637:                             ;   in Loop: Header=BB2_6167 Depth=2
	v_mov_b32_e32 v46, 0
	s_mov_b32 s40, exec_lo
	v_cmpx_ne_u32_e32 0, v10
	s_cbranch_execz .LBB2_6645
; %bb.6638:                             ;   in Loop: Header=BB2_6167 Depth=2
	v_bfe_u32 v96, v10, 23, 8
	v_or_b32_e32 v12, 0x800000, v34
	s_delay_alu instid0(VALU_DEP_2) | instskip(SKIP_1) | instid1(VALU_DEP_2)
	v_sub_nc_u32_e32 v10, 0x71, v96
	v_cmp_gt_u32_e32 vcc_lo, 0x72, v96
	v_cndmask_b32_e32 v10, 0, v10, vcc_lo
	v_cmp_eq_u32_e32 vcc_lo, 0, v96
	s_delay_alu instid0(VALU_DEP_2) | instskip(NEXT) | instid1(VALU_DEP_1)
	v_cndmask_b32_e64 v97, v10, 0x70, vcc_lo
	v_dual_cndmask_b32 v34, v12, v34, vcc_lo :: v_dual_add_nc_u32 v10, 21, v97
	v_add_nc_u32_e32 v13, 20, v97
	s_delay_alu instid0(VALU_DEP_2) | instskip(NEXT) | instid1(VALU_DEP_2)
	v_lshlrev_b64_e64 v[10:11], v10, -1
	v_lshlrev_b64_e64 v[12:13], v13, 1
	s_delay_alu instid0(VALU_DEP_2) | instskip(NEXT) | instid1(VALU_DEP_3)
	v_bfi_b32 v47, v11, 0, 0
	v_bfi_b32 v46, v10, 0, v34
	v_lshrrev_b64 v[10:11], v97, v[34:35]
	s_delay_alu instid0(VALU_DEP_2) | instskip(NEXT) | instid1(VALU_DEP_2)
	v_cmp_eq_u64_e64 s10, v[46:47], v[12:13]
	v_mov_b64_e32 v[12:13], v[10:11]
	s_and_saveexec_b32 s41, s10
; %bb.6639:                             ;   in Loop: Header=BB2_6167 Depth=2
	v_bfe_u32 v34, v10, 21, 1
	s_delay_alu instid0(VALU_DEP_1) | instskip(NEXT) | instid1(VALU_DEP_1)
	v_add_nc_u64_e32 v[12:13], v[10:11], v[34:35]
	v_add_nc_u64_e32 v[12:13], -1, v[12:13]
; %bb.6640:                             ;   in Loop: Header=BB2_6167 Depth=2
	s_or_b32 exec_lo, exec_lo, s41
	v_add_nc_u32_e32 v11, 0xffffff81, v96
	v_lshrrev_b32_e32 v13, 23, v10
	s_mov_b32 s10, exec_lo
	s_delay_alu instid0(VALU_DEP_2) | instskip(NEXT) | instid1(VALU_DEP_1)
	v_cndmask_b32_e64 v11, v11, 0xffffff82, vcc_lo
	v_add3_u32 v13, v97, v11, v13
	v_and_b32_e32 v11, 0x1fffff, v12
                                        ; implicit-def: $vgpr12
	s_delay_alu instid0(VALU_DEP_1) | instskip(NEXT) | instid1(VALU_DEP_1)
	v_dual_add_nc_u32 v96, 14, v13 :: v_dual_add_nc_u32 v34, v11, v10
                                        ; implicit-def: $vgpr10_vgpr11
	v_cmpx_ne_u32_e32 0, v96
	s_xor_b32 s10, exec_lo, s10
; %bb.6641:                             ;   in Loop: Header=BB2_6167 Depth=2
	s_delay_alu instid0(VALU_DEP_2) | instskip(SKIP_1) | instid1(VALU_DEP_1)
	v_cmp_lt_u64_e32 vcc_lo, 0xffffff, v[34:35]
	v_add_nc_u32_e32 v10, 15, v13
	v_cndmask_b32_e32 v12, v96, v10, vcc_lo
	v_cndmask_b32_e64 v10, 0, 1, vcc_lo
	s_delay_alu instid0(VALU_DEP_1)
	v_lshrrev_b64 v[10:11], v10, v[34:35]
; %bb.6642:                             ;   in Loop: Header=BB2_6167 Depth=2
	s_and_not1_saveexec_b32 s10, s10
; %bb.6643:                             ;   in Loop: Header=BB2_6167 Depth=2
	v_mov_b64_e32 v[10:11], v[34:35]
	v_bfe_u32 v12, v34, 23, 1
; %bb.6644:                             ;   in Loop: Header=BB2_6167 Depth=2
	s_or_b32 exec_lo, exec_lo, s10
	s_delay_alu instid0(VALU_DEP_2) | instskip(NEXT) | instid1(VALU_DEP_2)
	v_lshrrev_b64 v[10:11], 21, v[10:11]
	v_cmp_gt_i32_e32 vcc_lo, 32, v12
	v_min_i32_e32 v13, 31, v12
	v_cmp_eq_u32_e64 s10, 0, v12
	s_delay_alu instid0(VALU_DEP_2) | instskip(SKIP_1) | instid1(VALU_DEP_2)
	v_dual_cndmask_b32 v11, 0, v11, vcc_lo :: v_dual_lshlrev_b32 v13, 2, v13
	v_cndmask_b32_e32 v10, 3, v10, vcc_lo
	v_and_b32_e32 v13, 0xfc, v13
	s_delay_alu instid0(VALU_DEP_2) | instskip(NEXT) | instid1(VALU_DEP_2)
	v_cmp_eq_u64_e32 vcc_lo, 0, v[10:11]
	v_and_or_b32 v10, v10, 3, v13
	s_and_b32 s10, s10, vcc_lo
	s_delay_alu instid0(VALU_DEP_1) | instid1(SALU_CYCLE_1)
	v_cndmask_b32_e64 v10, v10, 0, s10
	s_delay_alu instid0(VALU_DEP_1)
	v_or_b32_e32 v46, v10, v30
.LBB2_6645:                             ;   in Loop: Header=BB2_6167 Depth=2
	s_or_b32 exec_lo, exec_lo, s40
                                        ; implicit-def: $vgpr30
.LBB2_6646:                             ;   in Loop: Header=BB2_6167 Depth=2
	s_and_not1_saveexec_b32 s10, s29
; %bb.6647:                             ;   in Loop: Header=BB2_6167 Depth=2
	v_or_b32_e32 v46, 0x7b, v30
; %bb.6648:                             ;   in Loop: Header=BB2_6167 Depth=2
	s_or_b32 exec_lo, exec_lo, s10
                                        ; implicit-def: $vgpr10
                                        ; implicit-def: $vgpr11
.LBB2_6649:                             ;   in Loop: Header=BB2_6167 Depth=2
	s_and_not1_saveexec_b32 s10, s28
	s_cbranch_execz .LBB2_6655
; %bb.6650:                             ;   in Loop: Header=BB2_6167 Depth=2
	s_mov_b32 s28, exec_lo
                                        ; implicit-def: $vgpr46
	v_cmpx_ne_u64_e32 0, v[34:35]
	s_xor_b32 s28, exec_lo, s28
; %bb.6651:                             ;   in Loop: Header=BB2_6167 Depth=2
	v_or_b32_e32 v46, 0x7f, v11
                                        ; implicit-def: $vgpr10
; %bb.6652:                             ;   in Loop: Header=BB2_6167 Depth=2
	s_and_not1_saveexec_b32 s28, s28
; %bb.6653:                             ;   in Loop: Header=BB2_6167 Depth=2
	v_cmp_lt_i32_e32 vcc_lo, -1, v10
	v_cndmask_b32_e32 v46, 0xfc, v112, vcc_lo
; %bb.6654:                             ;   in Loop: Header=BB2_6167 Depth=2
	s_or_b32 exec_lo, exec_lo, s28
.LBB2_6655:                             ;   in Loop: Header=BB2_6167 Depth=2
	s_delay_alu instid0(SALU_CYCLE_1) | instskip(SKIP_3) | instid1(VALU_DEP_1)
	s_or_b32 exec_lo, exec_lo, s10
	global_load_b128 v[10:13], v[86:87], off offset:512 th:TH_LOAD_NT
	s_wait_loadcnt 0x0
	v_and_b32_e32 v30, 0xff, v10
	v_cmp_ne_u16_e32 vcc_lo, 0, v30
	v_mov_b32_e32 v30, 0
	s_wait_xcnt 0x0
	s_and_saveexec_b32 s10, vcc_lo
	s_cbranch_execz .LBB2_6665
; %bb.6656:                             ;   in Loop: Header=BB2_6167 Depth=2
	v_bfe_i32 v86, v10, 0, 8
	v_bfrev_b32_e32 v30, 1
	s_mov_b32 s28, exec_lo
	s_delay_alu instid0(VALU_DEP_2)
	v_cmpx_ne_u16_e32 0xff80, v86
	s_cbranch_execz .LBB2_6664
; %bb.6657:                             ;   in Loop: Header=BB2_6167 Depth=2
	v_and_b32_e32 v30, 0x7c, v10
	v_and_b32_e32 v34, 3, v10
	s_delay_alu instid0(VALU_DEP_2) | instskip(SKIP_1) | instid1(SALU_CYCLE_1)
	v_cmp_ne_u32_e32 vcc_lo, 0x7c, v30
                                        ; implicit-def: $vgpr30
	s_and_saveexec_b32 s29, vcc_lo
	s_xor_b32 s29, exec_lo, s29
	s_cbranch_execz .LBB2_6661
; %bb.6658:                             ;   in Loop: Header=BB2_6167 Depth=2
	v_bfe_u32 v30, v10, 2, 5
	s_mov_b32 s40, exec_lo
	s_delay_alu instid0(VALU_DEP_1)
	v_cmpx_eq_u32_e32 0, v30
; %bb.6659:                             ;   in Loop: Header=BB2_6167 Depth=2
	v_clz_i32_u32_e32 v30, v34
	s_delay_alu instid0(VALU_DEP_1) | instskip(NEXT) | instid1(VALU_DEP_1)
	v_min_u32_e32 v30, 32, v30
	v_subrev_nc_u32_e32 v34, 29, v30
	v_sub_nc_u32_e32 v30, 30, v30
	s_delay_alu instid0(VALU_DEP_2) | instskip(NEXT) | instid1(VALU_DEP_1)
	v_lshlrev_b64_e32 v[86:87], v34, v[10:11]
	v_and_b32_e32 v34, 3, v86
; %bb.6660:                             ;   in Loop: Header=BB2_6167 Depth=2
	s_or_b32 exec_lo, exec_lo, s40
	v_lshlrev_b32_e32 v86, 24, v10
	s_delay_alu instid0(VALU_DEP_1) | instskip(NEXT) | instid1(VALU_DEP_1)
	v_and_b32_e32 v86, 0x80000000, v86
	v_lshl_add_u32 v30, v30, 23, v86
                                        ; implicit-def: $vgpr86
	s_delay_alu instid0(VALU_DEP_1) | instskip(NEXT) | instid1(VALU_DEP_1)
	v_lshl_or_b32 v30, v34, 21, v30
                                        ; implicit-def: $vgpr34
	v_add_nc_u32_e32 v30, 0x38000000, v30
.LBB2_6661:                             ;   in Loop: Header=BB2_6167 Depth=2
	s_and_not1_saveexec_b32 s29, s29
; %bb.6662:                             ;   in Loop: Header=BB2_6167 Depth=2
	v_cmp_lt_i16_e32 vcc_lo, -1, v86
	v_cndmask_b32_e32 v30, 0xff800000, v103, vcc_lo
	v_cmp_eq_u32_e32 vcc_lo, 0, v34
	s_delay_alu instid0(VALU_DEP_2)
	v_cndmask_b32_e32 v30, 0x7f800001, v30, vcc_lo
; %bb.6663:                             ;   in Loop: Header=BB2_6167 Depth=2
	s_or_b32 exec_lo, exec_lo, s29
.LBB2_6664:                             ;   in Loop: Header=BB2_6167 Depth=2
	s_delay_alu instid0(SALU_CYCLE_1)
	s_or_b32 exec_lo, exec_lo, s28
.LBB2_6665:                             ;   in Loop: Header=BB2_6167 Depth=2
	s_delay_alu instid0(SALU_CYCLE_1) | instskip(NEXT) | instid1(VALU_DEP_1)
	s_or_b32 exec_lo, exec_lo, s10
	v_dual_mul_f32 v86, s27, v30 :: v_dual_mov_b32 v97, v35
                                        ; implicit-def: $vgpr47
	s_mov_b32 s10, exec_lo
	s_delay_alu instid0(VALU_DEP_1) | instskip(SKIP_2) | instid1(VALU_DEP_3)
	v_and_b32_e32 v96, 0x7f800000, v86
	v_and_b32_e32 v34, 0x7fffff, v86
	v_lshrrev_b32_e32 v30, 24, v86
	v_cmpx_ne_u64_e32 0x7f800000, v[96:97]
	s_xor_b32 s28, exec_lo, s10
	s_cbranch_execz .LBB2_6679
; %bb.6666:                             ;   in Loop: Header=BB2_6167 Depth=2
	v_and_b32_e32 v96, 0x7fffffff, v86
	v_mov_b32_e32 v97, v35
	v_and_b32_e32 v30, 0x80, v30
                                        ; implicit-def: $vgpr47
	s_mov_b32 s10, exec_lo
	s_delay_alu instid0(VALU_DEP_2)
	v_cmpx_gt_u64_e32 0x47600001, v[96:97]
	s_xor_b32 s29, exec_lo, s10
	s_cbranch_execz .LBB2_6676
; %bb.6667:                             ;   in Loop: Header=BB2_6167 Depth=2
	v_mov_b32_e32 v47, 0
	s_mov_b32 s40, exec_lo
	v_cmpx_ne_u32_e32 0, v86
	s_cbranch_execz .LBB2_6675
; %bb.6668:                             ;   in Loop: Header=BB2_6167 Depth=2
	v_bfe_u32 v47, v86, 23, 8
	v_or_b32_e32 v96, 0x800000, v34
	s_delay_alu instid0(VALU_DEP_2) | instskip(SKIP_1) | instid1(VALU_DEP_2)
	v_sub_nc_u32_e32 v86, 0x71, v47
	v_cmp_gt_u32_e32 vcc_lo, 0x72, v47
	v_cndmask_b32_e32 v86, 0, v86, vcc_lo
	v_cmp_eq_u32_e32 vcc_lo, 0, v47
	s_delay_alu instid0(VALU_DEP_2) | instskip(SKIP_1) | instid1(VALU_DEP_2)
	v_cndmask_b32_e64 v58, v86, 0x70, vcc_lo
	v_cndmask_b32_e32 v34, v96, v34, vcc_lo
	v_dual_add_nc_u32 v86, 21, v58 :: v_dual_add_nc_u32 v97, 20, v58
	s_delay_alu instid0(VALU_DEP_1) | instskip(NEXT) | instid1(VALU_DEP_2)
	v_lshlrev_b64_e64 v[86:87], v86, -1
	v_lshlrev_b64_e64 v[96:97], v97, 1
	s_delay_alu instid0(VALU_DEP_2) | instskip(NEXT) | instid1(VALU_DEP_3)
	v_bfi_b32 v61, v87, 0, 0
	v_bfi_b32 v60, v86, 0, v34
	v_lshrrev_b64 v[86:87], v58, v[34:35]
	s_delay_alu instid0(VALU_DEP_2) | instskip(NEXT) | instid1(VALU_DEP_2)
	v_cmp_eq_u64_e64 s10, v[60:61], v[96:97]
	v_mov_b64_e32 v[96:97], v[86:87]
	s_and_saveexec_b32 s41, s10
; %bb.6669:                             ;   in Loop: Header=BB2_6167 Depth=2
	v_bfe_u32 v34, v86, 21, 1
	s_delay_alu instid0(VALU_DEP_1) | instskip(NEXT) | instid1(VALU_DEP_1)
	v_add_nc_u64_e32 v[96:97], v[86:87], v[34:35]
	v_add_nc_u64_e32 v[96:97], -1, v[96:97]
; %bb.6670:                             ;   in Loop: Header=BB2_6167 Depth=2
	s_or_b32 exec_lo, exec_lo, s41
	v_add_nc_u32_e32 v34, 0xffffff81, v47
	v_lshrrev_b32_e32 v87, 23, v86
	s_mov_b32 s10, exec_lo
	s_delay_alu instid0(VALU_DEP_2) | instskip(NEXT) | instid1(VALU_DEP_1)
	v_cndmask_b32_e64 v34, v34, 0xffffff82, vcc_lo
	v_add3_u32 v97, v58, v34, v87
	v_and_b32_e32 v34, 0x1fffff, v96
                                        ; implicit-def: $vgpr96
	s_delay_alu instid0(VALU_DEP_1) | instskip(NEXT) | instid1(VALU_DEP_1)
	v_dual_add_nc_u32 v47, 14, v97 :: v_dual_add_nc_u32 v34, v34, v86
                                        ; implicit-def: $vgpr86_vgpr87
	v_cmpx_ne_u32_e32 0, v47
	s_xor_b32 s10, exec_lo, s10
; %bb.6671:                             ;   in Loop: Header=BB2_6167 Depth=2
	s_delay_alu instid0(VALU_DEP_2) | instskip(SKIP_1) | instid1(VALU_DEP_1)
	v_cmp_lt_u64_e32 vcc_lo, 0xffffff, v[34:35]
	v_add_nc_u32_e32 v86, 15, v97
	v_cndmask_b32_e32 v96, v47, v86, vcc_lo
	v_cndmask_b32_e64 v86, 0, 1, vcc_lo
	s_delay_alu instid0(VALU_DEP_1)
	v_lshrrev_b64 v[86:87], v86, v[34:35]
; %bb.6672:                             ;   in Loop: Header=BB2_6167 Depth=2
	s_and_not1_saveexec_b32 s10, s10
; %bb.6673:                             ;   in Loop: Header=BB2_6167 Depth=2
	v_mov_b64_e32 v[86:87], v[34:35]
	v_bfe_u32 v96, v34, 23, 1
; %bb.6674:                             ;   in Loop: Header=BB2_6167 Depth=2
	s_or_b32 exec_lo, exec_lo, s10
	s_delay_alu instid0(VALU_DEP_2) | instskip(NEXT) | instid1(VALU_DEP_2)
	v_lshrrev_b64 v[86:87], 21, v[86:87]
	v_cmp_gt_i32_e32 vcc_lo, 32, v96
	v_min_i32_e32 v34, 31, v96
	v_cmp_eq_u32_e64 s10, 0, v96
	s_delay_alu instid0(VALU_DEP_2) | instskip(SKIP_1) | instid1(VALU_DEP_2)
	v_dual_cndmask_b32 v87, 0, v87 :: v_dual_lshlrev_b32 v34, 2, v34
	v_cndmask_b32_e32 v86, 3, v86, vcc_lo
	v_and_b32_e32 v34, 0xfc, v34
	s_delay_alu instid0(VALU_DEP_2) | instskip(NEXT) | instid1(VALU_DEP_2)
	v_cmp_eq_u64_e32 vcc_lo, 0, v[86:87]
	v_and_or_b32 v34, v86, 3, v34
	s_and_b32 s10, s10, vcc_lo
	s_delay_alu instid0(VALU_DEP_1) | instid1(SALU_CYCLE_1)
	v_cndmask_b32_e64 v34, v34, 0, s10
	s_delay_alu instid0(VALU_DEP_1)
	v_or_b32_e32 v47, v34, v30
.LBB2_6675:                             ;   in Loop: Header=BB2_6167 Depth=2
	s_or_b32 exec_lo, exec_lo, s40
                                        ; implicit-def: $vgpr30
.LBB2_6676:                             ;   in Loop: Header=BB2_6167 Depth=2
	s_and_not1_saveexec_b32 s10, s29
; %bb.6677:                             ;   in Loop: Header=BB2_6167 Depth=2
	v_or_b32_e32 v47, 0x7b, v30
; %bb.6678:                             ;   in Loop: Header=BB2_6167 Depth=2
	s_or_b32 exec_lo, exec_lo, s10
                                        ; implicit-def: $vgpr86
                                        ; implicit-def: $vgpr30
.LBB2_6679:                             ;   in Loop: Header=BB2_6167 Depth=2
	s_and_not1_saveexec_b32 s10, s28
	s_cbranch_execz .LBB2_6685
; %bb.6680:                             ;   in Loop: Header=BB2_6167 Depth=2
	s_mov_b32 s28, exec_lo
                                        ; implicit-def: $vgpr47
	v_cmpx_ne_u64_e32 0, v[34:35]
	s_xor_b32 s28, exec_lo, s28
; %bb.6681:                             ;   in Loop: Header=BB2_6167 Depth=2
	v_or_b32_e32 v47, 0x7f, v30
                                        ; implicit-def: $vgpr86
; %bb.6682:                             ;   in Loop: Header=BB2_6167 Depth=2
	s_and_not1_saveexec_b32 s28, s28
; %bb.6683:                             ;   in Loop: Header=BB2_6167 Depth=2
	v_cmp_lt_i32_e32 vcc_lo, -1, v86
	v_cndmask_b32_e32 v47, 0xfc, v112, vcc_lo
; %bb.6684:                             ;   in Loop: Header=BB2_6167 Depth=2
	s_or_b32 exec_lo, exec_lo, s28
.LBB2_6685:                             ;   in Loop: Header=BB2_6167 Depth=2
	s_delay_alu instid0(SALU_CYCLE_1) | instskip(SKIP_3) | instid1(VALU_DEP_2)
	s_or_b32 exec_lo, exec_lo, s10
	v_lshrrev_b16 v34, 8, v10
	v_mov_b32_e32 v86, 0
	s_mov_b32 s10, exec_lo
	v_cmpx_ne_u16_e32 0, v34
	s_cbranch_execz .LBB2_6695
; %bb.6686:                             ;   in Loop: Header=BB2_6167 Depth=2
	v_bfrev_b32_e32 v86, 1
	s_mov_b32 s28, exec_lo
	v_cmpx_ne_u16_e32 0x80, v34
	s_cbranch_execz .LBB2_6694
; %bb.6687:                             ;   in Loop: Header=BB2_6167 Depth=2
	v_and_b32_e32 v87, 0xffff, v34
	s_delay_alu instid0(VALU_DEP_1) | instskip(SKIP_1) | instid1(VALU_DEP_2)
	v_and_b32_e32 v86, 0x7c, v87
	v_and_b32_e32 v30, 3, v87
	v_cmp_ne_u32_e32 vcc_lo, 0x7c, v86
                                        ; implicit-def: $vgpr86
	s_and_saveexec_b32 s29, vcc_lo
	s_delay_alu instid0(SALU_CYCLE_1)
	s_xor_b32 s29, exec_lo, s29
	s_cbranch_execz .LBB2_6691
; %bb.6688:                             ;   in Loop: Header=BB2_6167 Depth=2
	v_bfe_u32 v86, v87, 2, 5
	s_mov_b32 s40, exec_lo
	s_delay_alu instid0(VALU_DEP_1)
	v_cmpx_eq_u32_e32 0, v86
; %bb.6689:                             ;   in Loop: Header=BB2_6167 Depth=2
	v_clz_i32_u32_e32 v30, v30
	s_delay_alu instid0(VALU_DEP_1) | instskip(NEXT) | instid1(VALU_DEP_1)
	v_min_u32_e32 v30, 32, v30
	v_subrev_nc_u32_e32 v86, 29, v30
	s_delay_alu instid0(VALU_DEP_1) | instskip(NEXT) | instid1(VALU_DEP_1)
	v_lshlrev_b64_e32 v[96:97], v86, v[34:35]
	v_dual_sub_nc_u32 v86, 30, v30 :: v_dual_bitop2_b32 v30, 3, v96 bitop3:0x40
; %bb.6690:                             ;   in Loop: Header=BB2_6167 Depth=2
	s_or_b32 exec_lo, exec_lo, s40
	v_lshlrev_b32_e32 v34, 16, v10
	s_delay_alu instid0(VALU_DEP_1) | instskip(NEXT) | instid1(VALU_DEP_1)
	v_and_b32_e32 v34, 0x80000000, v34
	v_lshl_add_u32 v34, v86, 23, v34
	s_delay_alu instid0(VALU_DEP_1) | instskip(NEXT) | instid1(VALU_DEP_1)
	v_lshl_or_b32 v30, v30, 21, v34
	v_add_nc_u32_e32 v86, 0x38000000, v30
                                        ; implicit-def: $vgpr30
.LBB2_6691:                             ;   in Loop: Header=BB2_6167 Depth=2
	s_and_not1_saveexec_b32 s29, s29
; %bb.6692:                             ;   in Loop: Header=BB2_6167 Depth=2
	v_cmp_lt_i16_e32 vcc_lo, -1, v10
	v_cndmask_b32_e32 v34, 0xff800000, v103, vcc_lo
	v_cmp_eq_u32_e32 vcc_lo, 0, v30
	s_delay_alu instid0(VALU_DEP_2)
	v_cndmask_b32_e32 v86, 0x7f800001, v34, vcc_lo
; %bb.6693:                             ;   in Loop: Header=BB2_6167 Depth=2
	s_or_b32 exec_lo, exec_lo, s29
.LBB2_6694:                             ;   in Loop: Header=BB2_6167 Depth=2
	s_delay_alu instid0(SALU_CYCLE_1)
	s_or_b32 exec_lo, exec_lo, s28
.LBB2_6695:                             ;   in Loop: Header=BB2_6167 Depth=2
	s_delay_alu instid0(SALU_CYCLE_1) | instskip(NEXT) | instid1(VALU_DEP_1)
	s_or_b32 exec_lo, exec_lo, s10
	v_dual_mul_f32 v86, s27, v86 :: v_dual_mov_b32 v97, v35
                                        ; implicit-def: $vgpr58
	s_mov_b32 s10, exec_lo
	s_delay_alu instid0(VALU_DEP_1) | instskip(SKIP_2) | instid1(VALU_DEP_3)
	v_and_b32_e32 v96, 0x7f800000, v86
	v_and_b32_e32 v34, 0x7fffff, v86
	v_lshrrev_b32_e32 v30, 24, v86
	v_cmpx_ne_u64_e32 0x7f800000, v[96:97]
	s_xor_b32 s28, exec_lo, s10
	s_cbranch_execz .LBB2_6709
; %bb.6696:                             ;   in Loop: Header=BB2_6167 Depth=2
	v_and_b32_e32 v96, 0x7fffffff, v86
	v_mov_b32_e32 v97, v35
	v_and_b32_e32 v30, 0x80, v30
                                        ; implicit-def: $vgpr58
	s_mov_b32 s10, exec_lo
	s_delay_alu instid0(VALU_DEP_2)
	v_cmpx_gt_u64_e32 0x47600001, v[96:97]
	s_xor_b32 s29, exec_lo, s10
	s_cbranch_execz .LBB2_6706
; %bb.6697:                             ;   in Loop: Header=BB2_6167 Depth=2
	v_mov_b32_e32 v58, 0
	s_mov_b32 s40, exec_lo
	v_cmpx_ne_u32_e32 0, v86
	s_cbranch_execz .LBB2_6705
; %bb.6698:                             ;   in Loop: Header=BB2_6167 Depth=2
	v_bfe_u32 v58, v86, 23, 8
	v_or_b32_e32 v96, 0x800000, v34
	s_delay_alu instid0(VALU_DEP_2) | instskip(SKIP_1) | instid1(VALU_DEP_2)
	v_sub_nc_u32_e32 v86, 0x71, v58
	v_cmp_gt_u32_e32 vcc_lo, 0x72, v58
	v_cndmask_b32_e32 v86, 0, v86, vcc_lo
	v_cmp_eq_u32_e32 vcc_lo, 0, v58
	s_delay_alu instid0(VALU_DEP_2) | instskip(NEXT) | instid1(VALU_DEP_1)
	v_cndmask_b32_e64 v59, v86, 0x70, vcc_lo
	v_dual_cndmask_b32 v34, v96, v34, vcc_lo :: v_dual_add_nc_u32 v86, 21, v59
	v_add_nc_u32_e32 v97, 20, v59
	s_delay_alu instid0(VALU_DEP_2) | instskip(NEXT) | instid1(VALU_DEP_2)
	v_lshlrev_b64_e64 v[86:87], v86, -1
	v_lshlrev_b64_e64 v[96:97], v97, 1
	s_delay_alu instid0(VALU_DEP_2) | instskip(NEXT) | instid1(VALU_DEP_3)
	v_bfi_b32 v61, v87, 0, 0
	v_bfi_b32 v60, v86, 0, v34
	v_lshrrev_b64 v[86:87], v59, v[34:35]
	s_delay_alu instid0(VALU_DEP_2) | instskip(NEXT) | instid1(VALU_DEP_2)
	v_cmp_eq_u64_e64 s10, v[60:61], v[96:97]
	v_mov_b64_e32 v[96:97], v[86:87]
	s_and_saveexec_b32 s41, s10
; %bb.6699:                             ;   in Loop: Header=BB2_6167 Depth=2
	v_bfe_u32 v34, v86, 21, 1
	s_delay_alu instid0(VALU_DEP_1) | instskip(NEXT) | instid1(VALU_DEP_1)
	v_add_nc_u64_e32 v[96:97], v[86:87], v[34:35]
	v_add_nc_u64_e32 v[96:97], -1, v[96:97]
; %bb.6700:                             ;   in Loop: Header=BB2_6167 Depth=2
	s_or_b32 exec_lo, exec_lo, s41
	v_add_nc_u32_e32 v34, 0xffffff81, v58
	v_lshrrev_b32_e32 v87, 23, v86
	s_mov_b32 s10, exec_lo
	s_delay_alu instid0(VALU_DEP_2) | instskip(NEXT) | instid1(VALU_DEP_1)
	v_cndmask_b32_e64 v34, v34, 0xffffff82, vcc_lo
	v_add3_u32 v97, v59, v34, v87
	v_and_b32_e32 v34, 0x1fffff, v96
                                        ; implicit-def: $vgpr96
	s_delay_alu instid0(VALU_DEP_1) | instskip(NEXT) | instid1(VALU_DEP_1)
	v_dual_add_nc_u32 v58, 14, v97 :: v_dual_add_nc_u32 v34, v34, v86
                                        ; implicit-def: $vgpr86_vgpr87
	v_cmpx_ne_u32_e32 0, v58
	s_xor_b32 s10, exec_lo, s10
; %bb.6701:                             ;   in Loop: Header=BB2_6167 Depth=2
	s_delay_alu instid0(VALU_DEP_2) | instskip(SKIP_1) | instid1(VALU_DEP_1)
	v_cmp_lt_u64_e32 vcc_lo, 0xffffff, v[34:35]
	v_add_nc_u32_e32 v86, 15, v97
	v_cndmask_b32_e32 v96, v58, v86, vcc_lo
	v_cndmask_b32_e64 v86, 0, 1, vcc_lo
	s_delay_alu instid0(VALU_DEP_1)
	v_lshrrev_b64 v[86:87], v86, v[34:35]
; %bb.6702:                             ;   in Loop: Header=BB2_6167 Depth=2
	s_and_not1_saveexec_b32 s10, s10
; %bb.6703:                             ;   in Loop: Header=BB2_6167 Depth=2
	v_mov_b64_e32 v[86:87], v[34:35]
	v_bfe_u32 v96, v34, 23, 1
; %bb.6704:                             ;   in Loop: Header=BB2_6167 Depth=2
	s_or_b32 exec_lo, exec_lo, s10
	s_delay_alu instid0(VALU_DEP_2) | instskip(NEXT) | instid1(VALU_DEP_2)
	v_lshrrev_b64 v[86:87], 21, v[86:87]
	v_cmp_gt_i32_e32 vcc_lo, 32, v96
	v_min_i32_e32 v34, 31, v96
	v_cmp_eq_u32_e64 s10, 0, v96
	s_delay_alu instid0(VALU_DEP_2) | instskip(SKIP_1) | instid1(VALU_DEP_2)
	v_dual_cndmask_b32 v87, 0, v87 :: v_dual_lshlrev_b32 v34, 2, v34
	v_cndmask_b32_e32 v86, 3, v86, vcc_lo
	v_and_b32_e32 v34, 0xfc, v34
	s_delay_alu instid0(VALU_DEP_2) | instskip(NEXT) | instid1(VALU_DEP_2)
	v_cmp_eq_u64_e32 vcc_lo, 0, v[86:87]
	v_and_or_b32 v34, v86, 3, v34
	s_and_b32 s10, s10, vcc_lo
	s_delay_alu instid0(VALU_DEP_1) | instid1(SALU_CYCLE_1)
	v_cndmask_b32_e64 v34, v34, 0, s10
	s_delay_alu instid0(VALU_DEP_1)
	v_or_b32_e32 v58, v34, v30
.LBB2_6705:                             ;   in Loop: Header=BB2_6167 Depth=2
	s_or_b32 exec_lo, exec_lo, s40
                                        ; implicit-def: $vgpr30
.LBB2_6706:                             ;   in Loop: Header=BB2_6167 Depth=2
	s_and_not1_saveexec_b32 s10, s29
; %bb.6707:                             ;   in Loop: Header=BB2_6167 Depth=2
	v_or_b32_e32 v58, 0x7b, v30
; %bb.6708:                             ;   in Loop: Header=BB2_6167 Depth=2
	s_or_b32 exec_lo, exec_lo, s10
                                        ; implicit-def: $vgpr86
                                        ; implicit-def: $vgpr30
.LBB2_6709:                             ;   in Loop: Header=BB2_6167 Depth=2
	s_and_not1_saveexec_b32 s10, s28
	s_cbranch_execz .LBB2_6715
; %bb.6710:                             ;   in Loop: Header=BB2_6167 Depth=2
	s_mov_b32 s28, exec_lo
                                        ; implicit-def: $vgpr58
	v_cmpx_ne_u64_e32 0, v[34:35]
	s_xor_b32 s28, exec_lo, s28
; %bb.6711:                             ;   in Loop: Header=BB2_6167 Depth=2
	v_or_b32_e32 v58, 0x7f, v30
                                        ; implicit-def: $vgpr86
; %bb.6712:                             ;   in Loop: Header=BB2_6167 Depth=2
	s_and_not1_saveexec_b32 s28, s28
; %bb.6713:                             ;   in Loop: Header=BB2_6167 Depth=2
	v_cmp_lt_i32_e32 vcc_lo, -1, v86
	v_cndmask_b32_e32 v58, 0xfc, v112, vcc_lo
; %bb.6714:                             ;   in Loop: Header=BB2_6167 Depth=2
	s_or_b32 exec_lo, exec_lo, s28
.LBB2_6715:                             ;   in Loop: Header=BB2_6167 Depth=2
	s_delay_alu instid0(SALU_CYCLE_1) | instskip(SKIP_2) | instid1(VALU_DEP_1)
	s_or_b32 exec_lo, exec_lo, s10
	v_dual_lshrrev_b32 v30, 16, v10 :: v_dual_mov_b32 v86, 0
	s_mov_b32 s10, exec_lo
	v_and_b32_e32 v34, 0xff, v30
	s_delay_alu instid0(VALU_DEP_1)
	v_cmpx_ne_u16_e32 0, v34
	s_cbranch_execz .LBB2_6725
; %bb.6716:                             ;   in Loop: Header=BB2_6167 Depth=2
	v_bfrev_b32_e32 v86, 1
	s_mov_b32 s28, exec_lo
	v_cmpx_ne_u16_e32 0x80, v34
	s_cbranch_execz .LBB2_6724
; %bb.6717:                             ;   in Loop: Header=BB2_6167 Depth=2
	v_and_b32_e32 v86, 0x7c0000, v10
	v_bfe_u32 v34, v10, 16, 2
	s_delay_alu instid0(VALU_DEP_2) | instskip(SKIP_1) | instid1(SALU_CYCLE_1)
	v_cmp_ne_u32_e32 vcc_lo, 0x7c0000, v86
                                        ; implicit-def: $vgpr86
	s_and_saveexec_b32 s29, vcc_lo
	s_xor_b32 s29, exec_lo, s29
	s_cbranch_execz .LBB2_6721
; %bb.6718:                             ;   in Loop: Header=BB2_6167 Depth=2
	v_bfe_u32 v86, v10, 18, 5
	s_mov_b32 s40, exec_lo
	s_delay_alu instid0(VALU_DEP_1)
	v_cmpx_eq_u32_e32 0, v86
; %bb.6719:                             ;   in Loop: Header=BB2_6167 Depth=2
	v_clz_i32_u32_e32 v34, v34
	s_delay_alu instid0(VALU_DEP_1) | instskip(NEXT) | instid1(VALU_DEP_1)
	v_min_u32_e32 v34, 32, v34
	v_subrev_nc_u32_e32 v86, 29, v34
	s_delay_alu instid0(VALU_DEP_1) | instskip(NEXT) | instid1(VALU_DEP_1)
	v_lshlrev_b64_e32 v[96:97], v86, v[30:31]
	v_dual_sub_nc_u32 v86, 30, v34 :: v_dual_bitop2_b32 v34, 3, v96 bitop3:0x40
; %bb.6720:                             ;   in Loop: Header=BB2_6167 Depth=2
	s_or_b32 exec_lo, exec_lo, s40
	v_lshlrev_b32_e32 v30, 24, v30
	s_delay_alu instid0(VALU_DEP_1) | instskip(NEXT) | instid1(VALU_DEP_1)
	v_and_b32_e32 v30, 0x80000000, v30
	v_lshl_add_u32 v30, v86, 23, v30
	s_delay_alu instid0(VALU_DEP_1) | instskip(NEXT) | instid1(VALU_DEP_1)
	v_lshl_or_b32 v30, v34, 21, v30
                                        ; implicit-def: $vgpr34
	v_add_nc_u32_e32 v86, 0x38000000, v30
                                        ; implicit-def: $vgpr30
.LBB2_6721:                             ;   in Loop: Header=BB2_6167 Depth=2
	s_and_not1_saveexec_b32 s29, s29
; %bb.6722:                             ;   in Loop: Header=BB2_6167 Depth=2
	v_bfe_i32 v30, v30, 0, 8
	s_delay_alu instid0(VALU_DEP_1) | instskip(SKIP_2) | instid1(VALU_DEP_2)
	v_cmp_lt_i16_e32 vcc_lo, -1, v30
	v_cndmask_b32_e32 v30, 0xff800000, v103, vcc_lo
	v_cmp_eq_u32_e32 vcc_lo, 0, v34
	v_cndmask_b32_e32 v86, 0x7f800001, v30, vcc_lo
; %bb.6723:                             ;   in Loop: Header=BB2_6167 Depth=2
	s_or_b32 exec_lo, exec_lo, s29
.LBB2_6724:                             ;   in Loop: Header=BB2_6167 Depth=2
	s_delay_alu instid0(SALU_CYCLE_1)
	s_or_b32 exec_lo, exec_lo, s28
.LBB2_6725:                             ;   in Loop: Header=BB2_6167 Depth=2
	s_delay_alu instid0(SALU_CYCLE_1) | instskip(NEXT) | instid1(VALU_DEP_1)
	s_or_b32 exec_lo, exec_lo, s10
	v_dual_mul_f32 v86, s27, v86 :: v_dual_mov_b32 v97, v35
                                        ; implicit-def: $vgpr59
	s_mov_b32 s10, exec_lo
	s_delay_alu instid0(VALU_DEP_1) | instskip(SKIP_2) | instid1(VALU_DEP_3)
	v_and_b32_e32 v96, 0x7f800000, v86
	v_and_b32_e32 v34, 0x7fffff, v86
	v_lshrrev_b32_e32 v30, 24, v86
	v_cmpx_ne_u64_e32 0x7f800000, v[96:97]
	s_xor_b32 s28, exec_lo, s10
	s_cbranch_execz .LBB2_6739
; %bb.6726:                             ;   in Loop: Header=BB2_6167 Depth=2
	v_and_b32_e32 v96, 0x7fffffff, v86
	v_mov_b32_e32 v97, v35
	v_and_b32_e32 v30, 0x80, v30
                                        ; implicit-def: $vgpr59
	s_mov_b32 s10, exec_lo
	s_delay_alu instid0(VALU_DEP_2)
	v_cmpx_gt_u64_e32 0x47600001, v[96:97]
	s_xor_b32 s29, exec_lo, s10
	s_cbranch_execz .LBB2_6736
; %bb.6727:                             ;   in Loop: Header=BB2_6167 Depth=2
	v_mov_b32_e32 v59, 0
	s_mov_b32 s40, exec_lo
	v_cmpx_ne_u32_e32 0, v86
	s_cbranch_execz .LBB2_6735
; %bb.6728:                             ;   in Loop: Header=BB2_6167 Depth=2
	v_bfe_u32 v59, v86, 23, 8
	v_or_b32_e32 v96, 0x800000, v34
	s_delay_alu instid0(VALU_DEP_2) | instskip(SKIP_1) | instid1(VALU_DEP_2)
	v_sub_nc_u32_e32 v86, 0x71, v59
	v_cmp_gt_u32_e32 vcc_lo, 0x72, v59
	v_cndmask_b32_e32 v86, 0, v86, vcc_lo
	v_cmp_eq_u32_e32 vcc_lo, 0, v59
	s_delay_alu instid0(VALU_DEP_2) | instskip(NEXT) | instid1(VALU_DEP_1)
	v_cndmask_b32_e64 v60, v86, 0x70, vcc_lo
	v_dual_cndmask_b32 v34, v96, v34, vcc_lo :: v_dual_add_nc_u32 v86, 21, v60
	v_add_nc_u32_e32 v97, 20, v60
	s_delay_alu instid0(VALU_DEP_2) | instskip(NEXT) | instid1(VALU_DEP_2)
	v_lshlrev_b64_e64 v[86:87], v86, -1
	v_lshlrev_b64_e64 v[96:97], v97, 1
	s_delay_alu instid0(VALU_DEP_2) | instskip(NEXT) | instid1(VALU_DEP_3)
	v_bfi_b32 v63, v87, 0, 0
	v_bfi_b32 v62, v86, 0, v34
	v_lshrrev_b64 v[86:87], v60, v[34:35]
	s_delay_alu instid0(VALU_DEP_2) | instskip(NEXT) | instid1(VALU_DEP_2)
	v_cmp_eq_u64_e64 s10, v[62:63], v[96:97]
	v_mov_b64_e32 v[96:97], v[86:87]
	s_and_saveexec_b32 s41, s10
; %bb.6729:                             ;   in Loop: Header=BB2_6167 Depth=2
	v_bfe_u32 v34, v86, 21, 1
	s_delay_alu instid0(VALU_DEP_1) | instskip(NEXT) | instid1(VALU_DEP_1)
	v_add_nc_u64_e32 v[96:97], v[86:87], v[34:35]
	v_add_nc_u64_e32 v[96:97], -1, v[96:97]
; %bb.6730:                             ;   in Loop: Header=BB2_6167 Depth=2
	s_or_b32 exec_lo, exec_lo, s41
	v_add_nc_u32_e32 v34, 0xffffff81, v59
	v_lshrrev_b32_e32 v87, 23, v86
	s_mov_b32 s10, exec_lo
	s_delay_alu instid0(VALU_DEP_2) | instskip(NEXT) | instid1(VALU_DEP_1)
	v_cndmask_b32_e64 v34, v34, 0xffffff82, vcc_lo
	v_add3_u32 v97, v60, v34, v87
	v_and_b32_e32 v34, 0x1fffff, v96
                                        ; implicit-def: $vgpr96
	s_delay_alu instid0(VALU_DEP_1) | instskip(NEXT) | instid1(VALU_DEP_1)
	v_dual_add_nc_u32 v59, 14, v97 :: v_dual_add_nc_u32 v34, v34, v86
                                        ; implicit-def: $vgpr86_vgpr87
	v_cmpx_ne_u32_e32 0, v59
	s_xor_b32 s10, exec_lo, s10
; %bb.6731:                             ;   in Loop: Header=BB2_6167 Depth=2
	s_delay_alu instid0(VALU_DEP_2) | instskip(SKIP_1) | instid1(VALU_DEP_1)
	v_cmp_lt_u64_e32 vcc_lo, 0xffffff, v[34:35]
	v_add_nc_u32_e32 v86, 15, v97
	v_cndmask_b32_e32 v96, v59, v86, vcc_lo
	v_cndmask_b32_e64 v86, 0, 1, vcc_lo
	s_delay_alu instid0(VALU_DEP_1)
	v_lshrrev_b64 v[86:87], v86, v[34:35]
; %bb.6732:                             ;   in Loop: Header=BB2_6167 Depth=2
	s_and_not1_saveexec_b32 s10, s10
; %bb.6733:                             ;   in Loop: Header=BB2_6167 Depth=2
	v_mov_b64_e32 v[86:87], v[34:35]
	v_bfe_u32 v96, v34, 23, 1
; %bb.6734:                             ;   in Loop: Header=BB2_6167 Depth=2
	s_or_b32 exec_lo, exec_lo, s10
	s_delay_alu instid0(VALU_DEP_2) | instskip(NEXT) | instid1(VALU_DEP_2)
	v_lshrrev_b64 v[86:87], 21, v[86:87]
	v_cmp_gt_i32_e32 vcc_lo, 32, v96
	v_min_i32_e32 v34, 31, v96
	v_cmp_eq_u32_e64 s10, 0, v96
	s_delay_alu instid0(VALU_DEP_2) | instskip(SKIP_1) | instid1(VALU_DEP_2)
	v_dual_cndmask_b32 v87, 0, v87 :: v_dual_lshlrev_b32 v34, 2, v34
	v_cndmask_b32_e32 v86, 3, v86, vcc_lo
	v_and_b32_e32 v34, 0xfc, v34
	s_delay_alu instid0(VALU_DEP_2) | instskip(NEXT) | instid1(VALU_DEP_2)
	v_cmp_eq_u64_e32 vcc_lo, 0, v[86:87]
	v_and_or_b32 v34, v86, 3, v34
	s_and_b32 s10, s10, vcc_lo
	s_delay_alu instid0(VALU_DEP_1) | instid1(SALU_CYCLE_1)
	v_cndmask_b32_e64 v34, v34, 0, s10
	s_delay_alu instid0(VALU_DEP_1)
	v_or_b32_e32 v59, v34, v30
.LBB2_6735:                             ;   in Loop: Header=BB2_6167 Depth=2
	s_or_b32 exec_lo, exec_lo, s40
                                        ; implicit-def: $vgpr30
.LBB2_6736:                             ;   in Loop: Header=BB2_6167 Depth=2
	s_and_not1_saveexec_b32 s10, s29
; %bb.6737:                             ;   in Loop: Header=BB2_6167 Depth=2
	v_or_b32_e32 v59, 0x7b, v30
; %bb.6738:                             ;   in Loop: Header=BB2_6167 Depth=2
	s_or_b32 exec_lo, exec_lo, s10
                                        ; implicit-def: $vgpr86
                                        ; implicit-def: $vgpr30
.LBB2_6739:                             ;   in Loop: Header=BB2_6167 Depth=2
	s_and_not1_saveexec_b32 s10, s28
	s_cbranch_execz .LBB2_6745
; %bb.6740:                             ;   in Loop: Header=BB2_6167 Depth=2
	s_mov_b32 s28, exec_lo
                                        ; implicit-def: $vgpr59
	v_cmpx_ne_u64_e32 0, v[34:35]
	s_xor_b32 s28, exec_lo, s28
; %bb.6741:                             ;   in Loop: Header=BB2_6167 Depth=2
	v_or_b32_e32 v59, 0x7f, v30
                                        ; implicit-def: $vgpr86
; %bb.6742:                             ;   in Loop: Header=BB2_6167 Depth=2
	s_and_not1_saveexec_b32 s28, s28
; %bb.6743:                             ;   in Loop: Header=BB2_6167 Depth=2
	v_cmp_lt_i32_e32 vcc_lo, -1, v86
	v_cndmask_b32_e32 v59, 0xfc, v112, vcc_lo
; %bb.6744:                             ;   in Loop: Header=BB2_6167 Depth=2
	s_or_b32 exec_lo, exec_lo, s28
.LBB2_6745:                             ;   in Loop: Header=BB2_6167 Depth=2
	s_delay_alu instid0(SALU_CYCLE_1)
	s_or_b32 exec_lo, exec_lo, s10
	v_mov_b32_e32 v34, 0
	s_mov_b32 s10, exec_lo
	v_cmpx_lt_u32_e32 0xffffff, v10
	s_cbranch_execz .LBB2_6755
; %bb.6746:                             ;   in Loop: Header=BB2_6167 Depth=2
	v_lshrrev_b32_e32 v30, 24, v10
	v_bfrev_b32_e32 v34, 1
	s_mov_b32 s28, exec_lo
	s_delay_alu instid0(VALU_DEP_2)
	v_cmpx_ne_u32_e32 0x80, v30
	s_cbranch_execz .LBB2_6754
; %bb.6747:                             ;   in Loop: Header=BB2_6167 Depth=2
	v_and_b32_e32 v34, 0x7c000000, v10
	v_bfe_u32 v86, v10, 24, 2
	s_delay_alu instid0(VALU_DEP_2) | instskip(SKIP_1) | instid1(SALU_CYCLE_1)
	v_cmp_ne_u32_e32 vcc_lo, 0x7c000000, v34
                                        ; implicit-def: $vgpr34
	s_and_saveexec_b32 s29, vcc_lo
	s_xor_b32 s29, exec_lo, s29
	s_cbranch_execz .LBB2_6751
; %bb.6748:                             ;   in Loop: Header=BB2_6167 Depth=2
	v_bfe_u32 v34, v10, 26, 5
	s_mov_b32 s40, exec_lo
	s_delay_alu instid0(VALU_DEP_1)
	v_cmpx_eq_u32_e32 0, v34
; %bb.6749:                             ;   in Loop: Header=BB2_6167 Depth=2
	v_clz_i32_u32_e32 v34, v86
	s_delay_alu instid0(VALU_DEP_1) | instskip(NEXT) | instid1(VALU_DEP_1)
	v_min_u32_e32 v34, 32, v34
	v_subrev_nc_u32_e32 v86, 29, v34
	v_sub_nc_u32_e32 v34, 30, v34
	s_delay_alu instid0(VALU_DEP_2) | instskip(NEXT) | instid1(VALU_DEP_1)
	v_lshlrev_b64_e32 v[86:87], v86, v[30:31]
	v_and_b32_e32 v86, 3, v86
; %bb.6750:                             ;   in Loop: Header=BB2_6167 Depth=2
	s_or_b32 exec_lo, exec_lo, s40
	v_and_b32_e32 v30, 0x80000000, v10
	s_delay_alu instid0(VALU_DEP_1) | instskip(NEXT) | instid1(VALU_DEP_1)
	v_lshl_add_u32 v30, v34, 23, v30
	v_lshl_or_b32 v30, v86, 21, v30
                                        ; implicit-def: $vgpr86
	s_delay_alu instid0(VALU_DEP_1)
	v_add_nc_u32_e32 v34, 0x38000000, v30
.LBB2_6751:                             ;   in Loop: Header=BB2_6167 Depth=2
	s_and_not1_saveexec_b32 s29, s29
; %bb.6752:                             ;   in Loop: Header=BB2_6167 Depth=2
	v_cmp_lt_i32_e32 vcc_lo, -1, v10
	v_cndmask_b32_e32 v30, 0xff800000, v103, vcc_lo
	v_cmp_eq_u32_e32 vcc_lo, 0, v86
	s_delay_alu instid0(VALU_DEP_2)
	v_cndmask_b32_e32 v34, 0x7f800001, v30, vcc_lo
; %bb.6753:                             ;   in Loop: Header=BB2_6167 Depth=2
	s_or_b32 exec_lo, exec_lo, s29
.LBB2_6754:                             ;   in Loop: Header=BB2_6167 Depth=2
	s_delay_alu instid0(SALU_CYCLE_1)
	s_or_b32 exec_lo, exec_lo, s28
.LBB2_6755:                             ;   in Loop: Header=BB2_6167 Depth=2
	s_delay_alu instid0(SALU_CYCLE_1) | instskip(NEXT) | instid1(VALU_DEP_1)
	s_or_b32 exec_lo, exec_lo, s10
	v_dual_mul_f32 v86, s27, v34 :: v_dual_mov_b32 v97, v35
                                        ; implicit-def: $vgpr60
	s_mov_b32 s10, exec_lo
	s_delay_alu instid0(VALU_DEP_1) | instskip(SKIP_2) | instid1(VALU_DEP_3)
	v_and_b32_e32 v96, 0x7f800000, v86
	v_and_b32_e32 v34, 0x7fffff, v86
	v_lshrrev_b32_e32 v30, 24, v86
	v_cmpx_ne_u64_e32 0x7f800000, v[96:97]
	s_xor_b32 s28, exec_lo, s10
	s_cbranch_execz .LBB2_6769
; %bb.6756:                             ;   in Loop: Header=BB2_6167 Depth=2
	v_and_b32_e32 v96, 0x7fffffff, v86
	v_mov_b32_e32 v97, v35
	v_and_b32_e32 v30, 0x80, v30
                                        ; implicit-def: $vgpr60
	s_mov_b32 s10, exec_lo
	s_delay_alu instid0(VALU_DEP_2)
	v_cmpx_gt_u64_e32 0x47600001, v[96:97]
	s_xor_b32 s29, exec_lo, s10
	s_cbranch_execz .LBB2_6766
; %bb.6757:                             ;   in Loop: Header=BB2_6167 Depth=2
	v_mov_b32_e32 v60, 0
	s_mov_b32 s40, exec_lo
	v_cmpx_ne_u32_e32 0, v86
	s_cbranch_execz .LBB2_6765
; %bb.6758:                             ;   in Loop: Header=BB2_6167 Depth=2
	v_bfe_u32 v60, v86, 23, 8
	v_or_b32_e32 v96, 0x800000, v34
	s_delay_alu instid0(VALU_DEP_2) | instskip(SKIP_1) | instid1(VALU_DEP_2)
	v_sub_nc_u32_e32 v86, 0x71, v60
	v_cmp_gt_u32_e32 vcc_lo, 0x72, v60
	v_cndmask_b32_e32 v86, 0, v86, vcc_lo
	v_cmp_eq_u32_e32 vcc_lo, 0, v60
	s_delay_alu instid0(VALU_DEP_2) | instskip(NEXT) | instid1(VALU_DEP_1)
	v_cndmask_b32_e64 v61, v86, 0x70, vcc_lo
	v_dual_cndmask_b32 v34, v96, v34, vcc_lo :: v_dual_add_nc_u32 v86, 21, v61
	v_add_nc_u32_e32 v97, 20, v61
	s_delay_alu instid0(VALU_DEP_2) | instskip(NEXT) | instid1(VALU_DEP_2)
	v_lshlrev_b64_e64 v[86:87], v86, -1
	v_lshlrev_b64_e64 v[96:97], v97, 1
	s_delay_alu instid0(VALU_DEP_2) | instskip(NEXT) | instid1(VALU_DEP_3)
	v_bfi_b32 v63, v87, 0, 0
	v_bfi_b32 v62, v86, 0, v34
	v_lshrrev_b64 v[86:87], v61, v[34:35]
	s_delay_alu instid0(VALU_DEP_2) | instskip(NEXT) | instid1(VALU_DEP_2)
	v_cmp_eq_u64_e64 s10, v[62:63], v[96:97]
	v_mov_b64_e32 v[96:97], v[86:87]
	s_and_saveexec_b32 s41, s10
; %bb.6759:                             ;   in Loop: Header=BB2_6167 Depth=2
	v_bfe_u32 v34, v86, 21, 1
	s_delay_alu instid0(VALU_DEP_1) | instskip(NEXT) | instid1(VALU_DEP_1)
	v_add_nc_u64_e32 v[96:97], v[86:87], v[34:35]
	v_add_nc_u64_e32 v[96:97], -1, v[96:97]
; %bb.6760:                             ;   in Loop: Header=BB2_6167 Depth=2
	s_or_b32 exec_lo, exec_lo, s41
	v_add_nc_u32_e32 v34, 0xffffff81, v60
	v_lshrrev_b32_e32 v87, 23, v86
	s_mov_b32 s10, exec_lo
	s_delay_alu instid0(VALU_DEP_2) | instskip(NEXT) | instid1(VALU_DEP_1)
	v_cndmask_b32_e64 v34, v34, 0xffffff82, vcc_lo
	v_add3_u32 v97, v61, v34, v87
	v_and_b32_e32 v34, 0x1fffff, v96
                                        ; implicit-def: $vgpr96
	s_delay_alu instid0(VALU_DEP_1) | instskip(NEXT) | instid1(VALU_DEP_1)
	v_dual_add_nc_u32 v60, 14, v97 :: v_dual_add_nc_u32 v34, v34, v86
                                        ; implicit-def: $vgpr86_vgpr87
	v_cmpx_ne_u32_e32 0, v60
	s_xor_b32 s10, exec_lo, s10
; %bb.6761:                             ;   in Loop: Header=BB2_6167 Depth=2
	s_delay_alu instid0(VALU_DEP_2) | instskip(SKIP_1) | instid1(VALU_DEP_1)
	v_cmp_lt_u64_e32 vcc_lo, 0xffffff, v[34:35]
	v_add_nc_u32_e32 v86, 15, v97
	v_cndmask_b32_e32 v96, v60, v86, vcc_lo
	v_cndmask_b32_e64 v86, 0, 1, vcc_lo
	s_delay_alu instid0(VALU_DEP_1)
	v_lshrrev_b64 v[86:87], v86, v[34:35]
; %bb.6762:                             ;   in Loop: Header=BB2_6167 Depth=2
	s_and_not1_saveexec_b32 s10, s10
; %bb.6763:                             ;   in Loop: Header=BB2_6167 Depth=2
	v_mov_b64_e32 v[86:87], v[34:35]
	v_bfe_u32 v96, v34, 23, 1
; %bb.6764:                             ;   in Loop: Header=BB2_6167 Depth=2
	s_or_b32 exec_lo, exec_lo, s10
	s_delay_alu instid0(VALU_DEP_2) | instskip(NEXT) | instid1(VALU_DEP_2)
	v_lshrrev_b64 v[86:87], 21, v[86:87]
	v_cmp_gt_i32_e32 vcc_lo, 32, v96
	v_min_i32_e32 v34, 31, v96
	v_cmp_eq_u32_e64 s10, 0, v96
	s_delay_alu instid0(VALU_DEP_2) | instskip(SKIP_1) | instid1(VALU_DEP_2)
	v_dual_cndmask_b32 v87, 0, v87 :: v_dual_lshlrev_b32 v34, 2, v34
	v_cndmask_b32_e32 v86, 3, v86, vcc_lo
	v_and_b32_e32 v34, 0xfc, v34
	s_delay_alu instid0(VALU_DEP_2) | instskip(NEXT) | instid1(VALU_DEP_2)
	v_cmp_eq_u64_e32 vcc_lo, 0, v[86:87]
	v_and_or_b32 v34, v86, 3, v34
	s_and_b32 s10, s10, vcc_lo
	s_delay_alu instid0(VALU_DEP_1) | instid1(SALU_CYCLE_1)
	v_cndmask_b32_e64 v34, v34, 0, s10
	s_delay_alu instid0(VALU_DEP_1)
	v_or_b32_e32 v60, v34, v30
.LBB2_6765:                             ;   in Loop: Header=BB2_6167 Depth=2
	s_or_b32 exec_lo, exec_lo, s40
                                        ; implicit-def: $vgpr30
.LBB2_6766:                             ;   in Loop: Header=BB2_6167 Depth=2
	s_and_not1_saveexec_b32 s10, s29
; %bb.6767:                             ;   in Loop: Header=BB2_6167 Depth=2
	v_or_b32_e32 v60, 0x7b, v30
; %bb.6768:                             ;   in Loop: Header=BB2_6167 Depth=2
	s_or_b32 exec_lo, exec_lo, s10
                                        ; implicit-def: $vgpr86
                                        ; implicit-def: $vgpr30
.LBB2_6769:                             ;   in Loop: Header=BB2_6167 Depth=2
	s_and_not1_saveexec_b32 s10, s28
	s_cbranch_execz .LBB2_6775
; %bb.6770:                             ;   in Loop: Header=BB2_6167 Depth=2
	s_mov_b32 s28, exec_lo
                                        ; implicit-def: $vgpr60
	v_cmpx_ne_u64_e32 0, v[34:35]
	s_xor_b32 s28, exec_lo, s28
; %bb.6771:                             ;   in Loop: Header=BB2_6167 Depth=2
	v_or_b32_e32 v60, 0x7f, v30
                                        ; implicit-def: $vgpr86
; %bb.6772:                             ;   in Loop: Header=BB2_6167 Depth=2
	s_and_not1_saveexec_b32 s28, s28
; %bb.6773:                             ;   in Loop: Header=BB2_6167 Depth=2
	v_cmp_lt_i32_e32 vcc_lo, -1, v86
	v_cndmask_b32_e32 v60, 0xfc, v112, vcc_lo
; %bb.6774:                             ;   in Loop: Header=BB2_6167 Depth=2
	s_or_b32 exec_lo, exec_lo, s28
.LBB2_6775:                             ;   in Loop: Header=BB2_6167 Depth=2
	s_delay_alu instid0(SALU_CYCLE_1) | instskip(SKIP_3) | instid1(VALU_DEP_2)
	s_or_b32 exec_lo, exec_lo, s10
	v_and_b32_e32 v30, 0xff, v11
	v_dual_mov_b32 v34, v11 :: v_dual_mov_b32 v86, 0
	s_mov_b32 s10, exec_lo
	v_cmpx_ne_u16_e32 0, v30
	s_cbranch_execz .LBB2_6785
; %bb.6776:                             ;   in Loop: Header=BB2_6167 Depth=2
	v_bfrev_b32_e32 v86, 1
	s_mov_b32 s28, exec_lo
	v_cmpx_ne_u16_e32 0x80, v30
	s_cbranch_execz .LBB2_6784
; %bb.6777:                             ;   in Loop: Header=BB2_6167 Depth=2
	v_and_b32_e32 v86, 0x7c, v11
	v_and_b32_e32 v30, 3, v11
	s_delay_alu instid0(VALU_DEP_2) | instskip(SKIP_1) | instid1(SALU_CYCLE_1)
	v_cmp_ne_u32_e32 vcc_lo, 0x7c, v86
                                        ; implicit-def: $vgpr86
	s_and_saveexec_b32 s29, vcc_lo
	s_xor_b32 s29, exec_lo, s29
	s_cbranch_execz .LBB2_6781
; %bb.6778:                             ;   in Loop: Header=BB2_6167 Depth=2
	v_bfe_u32 v86, v11, 2, 5
	s_mov_b32 s40, exec_lo
	s_delay_alu instid0(VALU_DEP_1)
	v_cmpx_eq_u32_e32 0, v86
; %bb.6779:                             ;   in Loop: Header=BB2_6167 Depth=2
	v_clz_i32_u32_e32 v30, v30
	s_delay_alu instid0(VALU_DEP_1) | instskip(NEXT) | instid1(VALU_DEP_1)
	v_min_u32_e32 v30, 32, v30
	v_subrev_nc_u32_e32 v86, 29, v30
	s_delay_alu instid0(VALU_DEP_1) | instskip(NEXT) | instid1(VALU_DEP_1)
	v_lshlrev_b64_e32 v[96:97], v86, v[34:35]
	v_dual_sub_nc_u32 v86, 30, v30 :: v_dual_bitop2_b32 v30, 3, v96 bitop3:0x40
; %bb.6780:                             ;   in Loop: Header=BB2_6167 Depth=2
	s_or_b32 exec_lo, exec_lo, s40
	v_lshlrev_b32_e32 v87, 24, v11
	s_delay_alu instid0(VALU_DEP_1) | instskip(NEXT) | instid1(VALU_DEP_1)
	v_and_b32_e32 v87, 0x80000000, v87
	v_lshl_add_u32 v86, v86, 23, v87
	s_delay_alu instid0(VALU_DEP_1) | instskip(NEXT) | instid1(VALU_DEP_1)
	v_lshl_or_b32 v30, v30, 21, v86
	v_add_nc_u32_e32 v86, 0x38000000, v30
                                        ; implicit-def: $vgpr30
.LBB2_6781:                             ;   in Loop: Header=BB2_6167 Depth=2
	s_and_not1_saveexec_b32 s29, s29
; %bb.6782:                             ;   in Loop: Header=BB2_6167 Depth=2
	v_bfe_i32 v86, v11, 0, 8
	s_delay_alu instid0(VALU_DEP_1) | instskip(SKIP_2) | instid1(VALU_DEP_2)
	v_cmp_lt_i16_e32 vcc_lo, -1, v86
	v_cndmask_b32_e32 v86, 0xff800000, v103, vcc_lo
	v_cmp_eq_u32_e32 vcc_lo, 0, v30
	v_cndmask_b32_e32 v86, 0x7f800001, v86, vcc_lo
; %bb.6783:                             ;   in Loop: Header=BB2_6167 Depth=2
	s_or_b32 exec_lo, exec_lo, s29
.LBB2_6784:                             ;   in Loop: Header=BB2_6167 Depth=2
	s_delay_alu instid0(SALU_CYCLE_1)
	s_or_b32 exec_lo, exec_lo, s28
.LBB2_6785:                             ;   in Loop: Header=BB2_6167 Depth=2
	s_delay_alu instid0(SALU_CYCLE_1) | instskip(NEXT) | instid1(VALU_DEP_1)
	s_or_b32 exec_lo, exec_lo, s10
	v_dual_mul_f32 v96, s27, v86 :: v_dual_mov_b32 v63, v35
	v_mov_b32_e32 v87, v35
                                        ; implicit-def: $vgpr61
	s_mov_b32 s10, exec_lo
	s_delay_alu instid0(VALU_DEP_2) | instskip(SKIP_2) | instid1(VALU_DEP_3)
	v_and_b32_e32 v62, 0x7f800000, v96
	v_and_b32_e32 v86, 0x7fffff, v96
	v_lshrrev_b32_e32 v30, 24, v96
	v_cmpx_ne_u64_e32 0x7f800000, v[62:63]
	s_xor_b32 s28, exec_lo, s10
	s_cbranch_execz .LBB2_6799
; %bb.6786:                             ;   in Loop: Header=BB2_6167 Depth=2
	v_and_b32_e32 v62, 0x7fffffff, v96
	v_mov_b32_e32 v63, v35
	v_and_b32_e32 v30, 0x80, v30
                                        ; implicit-def: $vgpr61
	s_mov_b32 s10, exec_lo
	s_delay_alu instid0(VALU_DEP_2)
	v_cmpx_gt_u64_e32 0x47600001, v[62:63]
	s_xor_b32 s29, exec_lo, s10
	s_cbranch_execz .LBB2_6796
; %bb.6787:                             ;   in Loop: Header=BB2_6167 Depth=2
	v_mov_b32_e32 v61, 0
	s_mov_b32 s40, exec_lo
	v_cmpx_ne_u32_e32 0, v96
	s_cbranch_execz .LBB2_6795
; %bb.6788:                             ;   in Loop: Header=BB2_6167 Depth=2
	v_bfe_u32 v61, v96, 23, 8
	v_or_b32_e32 v63, 0x800000, v86
	s_delay_alu instid0(VALU_DEP_2) | instskip(SKIP_1) | instid1(VALU_DEP_2)
	v_sub_nc_u32_e32 v96, 0x71, v61
	v_cmp_gt_u32_e32 vcc_lo, 0x72, v61
	v_cndmask_b32_e32 v96, 0, v96, vcc_lo
	v_cmp_eq_u32_e32 vcc_lo, 0, v61
	s_delay_alu instid0(VALU_DEP_2) | instskip(SKIP_1) | instid1(VALU_DEP_2)
	v_cndmask_b32_e64 v62, v96, 0x70, vcc_lo
	v_cndmask_b32_e32 v86, v63, v86, vcc_lo
	v_dual_add_nc_u32 v96, 21, v62 :: v_dual_add_nc_u32 v72, 20, v62
	s_delay_alu instid0(VALU_DEP_1) | instskip(NEXT) | instid1(VALU_DEP_2)
	v_lshlrev_b64_e64 v[96:97], v96, -1
	v_lshlrev_b64_e64 v[72:73], v72, 1
	s_delay_alu instid0(VALU_DEP_2) | instskip(SKIP_1) | instid1(VALU_DEP_4)
	v_bfi_b32 v96, v96, 0, v86
	v_lshrrev_b64 v[86:87], v62, v[86:87]
	v_bfi_b32 v97, v97, 0, 0
	s_delay_alu instid0(VALU_DEP_1) | instskip(NEXT) | instid1(VALU_DEP_3)
	v_cmp_eq_u64_e64 s10, v[96:97], v[72:73]
	v_mov_b64_e32 v[96:97], v[86:87]
	s_and_saveexec_b32 s41, s10
; %bb.6789:                             ;   in Loop: Header=BB2_6167 Depth=2
	v_bfe_u32 v96, v86, 21, 1
	v_mov_b32_e32 v97, v35
	s_delay_alu instid0(VALU_DEP_1) | instskip(NEXT) | instid1(VALU_DEP_1)
	v_add_nc_u64_e32 v[96:97], v[86:87], v[96:97]
	v_add_nc_u64_e32 v[96:97], -1, v[96:97]
; %bb.6790:                             ;   in Loop: Header=BB2_6167 Depth=2
	s_or_b32 exec_lo, exec_lo, s41
	v_add_nc_u32_e32 v87, 0xffffff81, v61
	v_lshrrev_b32_e32 v97, 23, v86
	s_mov_b32 s10, exec_lo
	s_delay_alu instid0(VALU_DEP_2) | instskip(NEXT) | instid1(VALU_DEP_1)
	v_cndmask_b32_e64 v87, v87, 0xffffff82, vcc_lo
	v_add3_u32 v97, v62, v87, v97
	v_and_b32_e32 v87, 0x1fffff, v96
                                        ; implicit-def: $vgpr96
	s_delay_alu instid0(VALU_DEP_1) | instskip(SKIP_1) | instid1(VALU_DEP_2)
	v_dual_add_nc_u32 v61, 14, v97 :: v_dual_add_nc_u32 v86, v87, v86
	v_mov_b32_e32 v87, v35
	v_cmpx_ne_u32_e32 0, v61
	s_xor_b32 s10, exec_lo, s10
; %bb.6791:                             ;   in Loop: Header=BB2_6167 Depth=2
	s_delay_alu instid0(VALU_DEP_2) | instskip(SKIP_2) | instid1(VALU_DEP_2)
	v_cmp_lt_u64_e32 vcc_lo, 0xffffff, v[86:87]
	v_add_nc_u32_e32 v96, 15, v97
	v_cndmask_b32_e64 v97, 0, 1, vcc_lo
	v_cndmask_b32_e32 v96, v61, v96, vcc_lo
	s_delay_alu instid0(VALU_DEP_2)
	v_lshrrev_b64 v[86:87], v97, v[86:87]
; %bb.6792:                             ;   in Loop: Header=BB2_6167 Depth=2
	s_and_not1_saveexec_b32 s10, s10
; %bb.6793:                             ;   in Loop: Header=BB2_6167 Depth=2
	s_delay_alu instid0(VALU_DEP_1)
	v_bfe_u32 v96, v86, 23, 1
; %bb.6794:                             ;   in Loop: Header=BB2_6167 Depth=2
	s_or_b32 exec_lo, exec_lo, s10
	s_delay_alu instid0(VALU_DEP_2) | instskip(NEXT) | instid1(VALU_DEP_2)
	v_lshrrev_b64 v[86:87], 21, v[86:87]
	v_cmp_gt_i32_e32 vcc_lo, 32, v96
	v_min_i32_e32 v97, 31, v96
	v_cmp_eq_u32_e64 s10, 0, v96
	s_delay_alu instid0(VALU_DEP_2) | instskip(SKIP_1) | instid1(VALU_DEP_2)
	v_dual_cndmask_b32 v87, 0, v87, vcc_lo :: v_dual_lshlrev_b32 v97, 2, v97
	v_cndmask_b32_e32 v86, 3, v86, vcc_lo
	v_and_b32_e32 v97, 0xfc, v97
	s_delay_alu instid0(VALU_DEP_2) | instskip(NEXT) | instid1(VALU_DEP_2)
	v_cmp_eq_u64_e32 vcc_lo, 0, v[86:87]
	v_and_or_b32 v86, v86, 3, v97
	s_and_b32 s10, s10, vcc_lo
	s_delay_alu instid0(VALU_DEP_1) | instid1(SALU_CYCLE_1)
	v_cndmask_b32_e64 v86, v86, 0, s10
	s_delay_alu instid0(VALU_DEP_1)
	v_or_b32_e32 v61, v86, v30
.LBB2_6795:                             ;   in Loop: Header=BB2_6167 Depth=2
	s_or_b32 exec_lo, exec_lo, s40
                                        ; implicit-def: $vgpr30
.LBB2_6796:                             ;   in Loop: Header=BB2_6167 Depth=2
	s_and_not1_saveexec_b32 s10, s29
; %bb.6797:                             ;   in Loop: Header=BB2_6167 Depth=2
	v_or_b32_e32 v61, 0x7b, v30
; %bb.6798:                             ;   in Loop: Header=BB2_6167 Depth=2
	s_or_b32 exec_lo, exec_lo, s10
                                        ; implicit-def: $vgpr96
                                        ; implicit-def: $vgpr86_vgpr87
                                        ; implicit-def: $vgpr30
.LBB2_6799:                             ;   in Loop: Header=BB2_6167 Depth=2
	s_and_not1_saveexec_b32 s10, s28
	s_cbranch_execz .LBB2_6805
; %bb.6800:                             ;   in Loop: Header=BB2_6167 Depth=2
	s_mov_b32 s28, exec_lo
                                        ; implicit-def: $vgpr61
	v_cmpx_ne_u64_e32 0, v[86:87]
	s_xor_b32 s28, exec_lo, s28
; %bb.6801:                             ;   in Loop: Header=BB2_6167 Depth=2
	v_or_b32_e32 v61, 0x7f, v30
                                        ; implicit-def: $vgpr96
; %bb.6802:                             ;   in Loop: Header=BB2_6167 Depth=2
	s_and_not1_saveexec_b32 s28, s28
; %bb.6803:                             ;   in Loop: Header=BB2_6167 Depth=2
	v_cmp_lt_i32_e32 vcc_lo, -1, v96
	v_cndmask_b32_e32 v61, 0xfc, v112, vcc_lo
; %bb.6804:                             ;   in Loop: Header=BB2_6167 Depth=2
	s_or_b32 exec_lo, exec_lo, s28
.LBB2_6805:                             ;   in Loop: Header=BB2_6167 Depth=2
	s_delay_alu instid0(SALU_CYCLE_1) | instskip(SKIP_3) | instid1(VALU_DEP_2)
	s_or_b32 exec_lo, exec_lo, s10
	v_lshrrev_b16 v86, 8, v34
	v_mov_b32_e32 v87, 0
	s_mov_b32 s10, exec_lo
	v_cmpx_ne_u16_e32 0, v86
	s_cbranch_execz .LBB2_6815
; %bb.6806:                             ;   in Loop: Header=BB2_6167 Depth=2
	v_bfrev_b32_e32 v87, 1
	s_mov_b32 s28, exec_lo
	v_cmpx_ne_u16_e32 0x80, v86
	s_cbranch_execz .LBB2_6814
; %bb.6807:                             ;   in Loop: Header=BB2_6167 Depth=2
	v_and_b32_e32 v96, 0xffff, v86
	s_delay_alu instid0(VALU_DEP_1) | instskip(SKIP_1) | instid1(VALU_DEP_2)
	v_and_b32_e32 v87, 0x7c, v96
	v_and_b32_e32 v30, 3, v96
	v_cmp_ne_u32_e32 vcc_lo, 0x7c, v87
                                        ; implicit-def: $vgpr87
	s_and_saveexec_b32 s29, vcc_lo
	s_delay_alu instid0(SALU_CYCLE_1)
	s_xor_b32 s29, exec_lo, s29
	s_cbranch_execz .LBB2_6811
; %bb.6808:                             ;   in Loop: Header=BB2_6167 Depth=2
	v_bfe_u32 v87, v96, 2, 5
	s_mov_b32 s40, exec_lo
	s_delay_alu instid0(VALU_DEP_1)
	v_cmpx_eq_u32_e32 0, v87
	s_cbranch_execz .LBB2_6810
; %bb.6809:                             ;   in Loop: Header=BB2_6167 Depth=2
	v_clz_i32_u32_e32 v30, v30
	v_mov_b32_e32 v87, v35
	s_delay_alu instid0(VALU_DEP_2) | instskip(NEXT) | instid1(VALU_DEP_1)
	v_min_u32_e32 v30, 32, v30
	v_subrev_nc_u32_e32 v96, 29, v30
	s_delay_alu instid0(VALU_DEP_1) | instskip(SKIP_1) | instid1(VALU_DEP_2)
	v_lshlrev_b64_e32 v[86:87], v96, v[86:87]
	v_sub_nc_u32_e32 v87, 30, v30
	v_and_b32_e32 v30, 3, v86
.LBB2_6810:                             ;   in Loop: Header=BB2_6167 Depth=2
	s_or_b32 exec_lo, exec_lo, s40
	v_lshlrev_b32_e32 v34, 16, v34
	s_delay_alu instid0(VALU_DEP_1) | instskip(NEXT) | instid1(VALU_DEP_1)
	v_and_b32_e32 v34, 0x80000000, v34
	v_lshl_add_u32 v34, v87, 23, v34
	s_delay_alu instid0(VALU_DEP_1) | instskip(NEXT) | instid1(VALU_DEP_1)
	v_lshl_or_b32 v30, v30, 21, v34
	v_add_nc_u32_e32 v87, 0x38000000, v30
                                        ; implicit-def: $vgpr30
.LBB2_6811:                             ;   in Loop: Header=BB2_6167 Depth=2
	s_and_not1_saveexec_b32 s29, s29
; %bb.6812:                             ;   in Loop: Header=BB2_6167 Depth=2
	v_cmp_lt_i16_e32 vcc_lo, -1, v34
	v_cndmask_b32_e32 v34, 0xff800000, v103, vcc_lo
	v_cmp_eq_u32_e32 vcc_lo, 0, v30
	s_delay_alu instid0(VALU_DEP_2)
	v_cndmask_b32_e32 v87, 0x7f800001, v34, vcc_lo
; %bb.6813:                             ;   in Loop: Header=BB2_6167 Depth=2
	s_or_b32 exec_lo, exec_lo, s29
.LBB2_6814:                             ;   in Loop: Header=BB2_6167 Depth=2
	s_delay_alu instid0(SALU_CYCLE_1)
	s_or_b32 exec_lo, exec_lo, s28
.LBB2_6815:                             ;   in Loop: Header=BB2_6167 Depth=2
	s_delay_alu instid0(SALU_CYCLE_1) | instskip(NEXT) | instid1(VALU_DEP_1)
	s_or_b32 exec_lo, exec_lo, s10
	v_dual_mul_f32 v86, s27, v87 :: v_dual_mov_b32 v97, v35
                                        ; implicit-def: $vgpr62
	s_mov_b32 s10, exec_lo
	s_delay_alu instid0(VALU_DEP_1) | instskip(SKIP_2) | instid1(VALU_DEP_3)
	v_and_b32_e32 v96, 0x7f800000, v86
	v_and_b32_e32 v34, 0x7fffff, v86
	v_lshrrev_b32_e32 v30, 24, v86
	v_cmpx_ne_u64_e32 0x7f800000, v[96:97]
	s_xor_b32 s28, exec_lo, s10
	s_cbranch_execz .LBB2_6829
; %bb.6816:                             ;   in Loop: Header=BB2_6167 Depth=2
	v_and_b32_e32 v96, 0x7fffffff, v86
	v_mov_b32_e32 v97, v35
	v_and_b32_e32 v30, 0x80, v30
                                        ; implicit-def: $vgpr62
	s_mov_b32 s10, exec_lo
	s_delay_alu instid0(VALU_DEP_2)
	v_cmpx_gt_u64_e32 0x47600001, v[96:97]
	s_xor_b32 s29, exec_lo, s10
	s_cbranch_execz .LBB2_6826
; %bb.6817:                             ;   in Loop: Header=BB2_6167 Depth=2
	v_mov_b32_e32 v62, 0
	s_mov_b32 s40, exec_lo
	v_cmpx_ne_u32_e32 0, v86
	s_cbranch_execz .LBB2_6825
; %bb.6818:                             ;   in Loop: Header=BB2_6167 Depth=2
	v_bfe_u32 v62, v86, 23, 8
	v_or_b32_e32 v96, 0x800000, v34
	s_delay_alu instid0(VALU_DEP_2) | instskip(SKIP_1) | instid1(VALU_DEP_2)
	v_sub_nc_u32_e32 v86, 0x71, v62
	v_cmp_gt_u32_e32 vcc_lo, 0x72, v62
	v_cndmask_b32_e32 v86, 0, v86, vcc_lo
	v_cmp_eq_u32_e32 vcc_lo, 0, v62
	s_delay_alu instid0(VALU_DEP_2) | instskip(NEXT) | instid1(VALU_DEP_1)
	v_cndmask_b32_e64 v63, v86, 0x70, vcc_lo
	v_dual_cndmask_b32 v34, v96, v34, vcc_lo :: v_dual_add_nc_u32 v86, 21, v63
	v_add_nc_u32_e32 v97, 20, v63
	s_delay_alu instid0(VALU_DEP_2) | instskip(NEXT) | instid1(VALU_DEP_2)
	v_lshlrev_b64_e64 v[86:87], v86, -1
	v_lshlrev_b64_e64 v[96:97], v97, 1
	s_delay_alu instid0(VALU_DEP_2) | instskip(NEXT) | instid1(VALU_DEP_3)
	v_bfi_b32 v73, v87, 0, 0
	v_bfi_b32 v72, v86, 0, v34
	v_lshrrev_b64 v[86:87], v63, v[34:35]
	s_delay_alu instid0(VALU_DEP_2) | instskip(NEXT) | instid1(VALU_DEP_2)
	v_cmp_eq_u64_e64 s10, v[72:73], v[96:97]
	v_mov_b64_e32 v[96:97], v[86:87]
	s_and_saveexec_b32 s41, s10
; %bb.6819:                             ;   in Loop: Header=BB2_6167 Depth=2
	v_bfe_u32 v34, v86, 21, 1
	s_delay_alu instid0(VALU_DEP_1) | instskip(NEXT) | instid1(VALU_DEP_1)
	v_add_nc_u64_e32 v[96:97], v[86:87], v[34:35]
	v_add_nc_u64_e32 v[96:97], -1, v[96:97]
; %bb.6820:                             ;   in Loop: Header=BB2_6167 Depth=2
	s_or_b32 exec_lo, exec_lo, s41
	v_add_nc_u32_e32 v34, 0xffffff81, v62
	v_lshrrev_b32_e32 v87, 23, v86
	s_mov_b32 s10, exec_lo
	s_delay_alu instid0(VALU_DEP_2) | instskip(NEXT) | instid1(VALU_DEP_1)
	v_cndmask_b32_e64 v34, v34, 0xffffff82, vcc_lo
	v_add3_u32 v97, v63, v34, v87
	v_and_b32_e32 v34, 0x1fffff, v96
                                        ; implicit-def: $vgpr96
	s_delay_alu instid0(VALU_DEP_1) | instskip(NEXT) | instid1(VALU_DEP_1)
	v_dual_add_nc_u32 v62, 14, v97 :: v_dual_add_nc_u32 v34, v34, v86
                                        ; implicit-def: $vgpr86_vgpr87
	v_cmpx_ne_u32_e32 0, v62
	s_xor_b32 s10, exec_lo, s10
; %bb.6821:                             ;   in Loop: Header=BB2_6167 Depth=2
	s_delay_alu instid0(VALU_DEP_2) | instskip(SKIP_1) | instid1(VALU_DEP_1)
	v_cmp_lt_u64_e32 vcc_lo, 0xffffff, v[34:35]
	v_add_nc_u32_e32 v86, 15, v97
	v_cndmask_b32_e32 v96, v62, v86, vcc_lo
	v_cndmask_b32_e64 v86, 0, 1, vcc_lo
	s_delay_alu instid0(VALU_DEP_1)
	v_lshrrev_b64 v[86:87], v86, v[34:35]
; %bb.6822:                             ;   in Loop: Header=BB2_6167 Depth=2
	s_and_not1_saveexec_b32 s10, s10
; %bb.6823:                             ;   in Loop: Header=BB2_6167 Depth=2
	v_mov_b64_e32 v[86:87], v[34:35]
	v_bfe_u32 v96, v34, 23, 1
; %bb.6824:                             ;   in Loop: Header=BB2_6167 Depth=2
	s_or_b32 exec_lo, exec_lo, s10
	s_delay_alu instid0(VALU_DEP_2) | instskip(NEXT) | instid1(VALU_DEP_2)
	v_lshrrev_b64 v[86:87], 21, v[86:87]
	v_cmp_gt_i32_e32 vcc_lo, 32, v96
	v_min_i32_e32 v34, 31, v96
	v_cmp_eq_u32_e64 s10, 0, v96
	s_delay_alu instid0(VALU_DEP_2) | instskip(SKIP_1) | instid1(VALU_DEP_2)
	v_dual_cndmask_b32 v87, 0, v87 :: v_dual_lshlrev_b32 v34, 2, v34
	v_cndmask_b32_e32 v86, 3, v86, vcc_lo
	v_and_b32_e32 v34, 0xfc, v34
	s_delay_alu instid0(VALU_DEP_2) | instskip(NEXT) | instid1(VALU_DEP_2)
	v_cmp_eq_u64_e32 vcc_lo, 0, v[86:87]
	v_and_or_b32 v34, v86, 3, v34
	s_and_b32 s10, s10, vcc_lo
	s_delay_alu instid0(VALU_DEP_1) | instid1(SALU_CYCLE_1)
	v_cndmask_b32_e64 v34, v34, 0, s10
	s_delay_alu instid0(VALU_DEP_1)
	v_or_b32_e32 v62, v34, v30
.LBB2_6825:                             ;   in Loop: Header=BB2_6167 Depth=2
	s_or_b32 exec_lo, exec_lo, s40
                                        ; implicit-def: $vgpr30
.LBB2_6826:                             ;   in Loop: Header=BB2_6167 Depth=2
	s_and_not1_saveexec_b32 s10, s29
; %bb.6827:                             ;   in Loop: Header=BB2_6167 Depth=2
	v_or_b32_e32 v62, 0x7b, v30
; %bb.6828:                             ;   in Loop: Header=BB2_6167 Depth=2
	s_or_b32 exec_lo, exec_lo, s10
                                        ; implicit-def: $vgpr86
                                        ; implicit-def: $vgpr30
.LBB2_6829:                             ;   in Loop: Header=BB2_6167 Depth=2
	s_and_not1_saveexec_b32 s10, s28
	s_cbranch_execz .LBB2_6835
; %bb.6830:                             ;   in Loop: Header=BB2_6167 Depth=2
	s_mov_b32 s28, exec_lo
                                        ; implicit-def: $vgpr62
	v_cmpx_ne_u64_e32 0, v[34:35]
	s_xor_b32 s28, exec_lo, s28
; %bb.6831:                             ;   in Loop: Header=BB2_6167 Depth=2
	v_or_b32_e32 v62, 0x7f, v30
                                        ; implicit-def: $vgpr86
; %bb.6832:                             ;   in Loop: Header=BB2_6167 Depth=2
	s_and_not1_saveexec_b32 s28, s28
; %bb.6833:                             ;   in Loop: Header=BB2_6167 Depth=2
	v_cmp_lt_i32_e32 vcc_lo, -1, v86
	v_cndmask_b32_e32 v62, 0xfc, v112, vcc_lo
; %bb.6834:                             ;   in Loop: Header=BB2_6167 Depth=2
	s_or_b32 exec_lo, exec_lo, s28
.LBB2_6835:                             ;   in Loop: Header=BB2_6167 Depth=2
	s_delay_alu instid0(SALU_CYCLE_1) | instskip(SKIP_2) | instid1(VALU_DEP_1)
	s_or_b32 exec_lo, exec_lo, s10
	v_dual_lshrrev_b32 v30, 16, v11 :: v_dual_mov_b32 v86, 0
	s_mov_b32 s10, exec_lo
	v_and_b32_e32 v34, 0xff, v30
	s_delay_alu instid0(VALU_DEP_1)
	v_cmpx_ne_u16_e32 0, v34
	s_cbranch_execz .LBB2_6845
; %bb.6836:                             ;   in Loop: Header=BB2_6167 Depth=2
	v_bfrev_b32_e32 v86, 1
	s_mov_b32 s28, exec_lo
	v_cmpx_ne_u16_e32 0x80, v34
	s_cbranch_execz .LBB2_6844
; %bb.6837:                             ;   in Loop: Header=BB2_6167 Depth=2
	v_and_b32_e32 v86, 0x7c0000, v11
	v_bfe_u32 v34, v11, 16, 2
	s_delay_alu instid0(VALU_DEP_2) | instskip(SKIP_1) | instid1(SALU_CYCLE_1)
	v_cmp_ne_u32_e32 vcc_lo, 0x7c0000, v86
                                        ; implicit-def: $vgpr86
	s_and_saveexec_b32 s29, vcc_lo
	s_xor_b32 s29, exec_lo, s29
	s_cbranch_execz .LBB2_6841
; %bb.6838:                             ;   in Loop: Header=BB2_6167 Depth=2
	v_bfe_u32 v86, v11, 18, 5
	s_mov_b32 s40, exec_lo
	s_delay_alu instid0(VALU_DEP_1)
	v_cmpx_eq_u32_e32 0, v86
; %bb.6839:                             ;   in Loop: Header=BB2_6167 Depth=2
	v_clz_i32_u32_e32 v34, v34
	s_delay_alu instid0(VALU_DEP_1) | instskip(NEXT) | instid1(VALU_DEP_1)
	v_min_u32_e32 v34, 32, v34
	v_subrev_nc_u32_e32 v86, 29, v34
	s_delay_alu instid0(VALU_DEP_1) | instskip(NEXT) | instid1(VALU_DEP_1)
	v_lshlrev_b64_e32 v[96:97], v86, v[30:31]
	v_dual_sub_nc_u32 v86, 30, v34 :: v_dual_bitop2_b32 v34, 3, v96 bitop3:0x40
; %bb.6840:                             ;   in Loop: Header=BB2_6167 Depth=2
	s_or_b32 exec_lo, exec_lo, s40
	v_lshlrev_b32_e32 v30, 24, v30
	s_delay_alu instid0(VALU_DEP_1) | instskip(NEXT) | instid1(VALU_DEP_1)
	v_and_b32_e32 v30, 0x80000000, v30
	v_lshl_add_u32 v30, v86, 23, v30
	s_delay_alu instid0(VALU_DEP_1) | instskip(NEXT) | instid1(VALU_DEP_1)
	v_lshl_or_b32 v30, v34, 21, v30
                                        ; implicit-def: $vgpr34
	v_add_nc_u32_e32 v86, 0x38000000, v30
                                        ; implicit-def: $vgpr30
.LBB2_6841:                             ;   in Loop: Header=BB2_6167 Depth=2
	s_and_not1_saveexec_b32 s29, s29
; %bb.6842:                             ;   in Loop: Header=BB2_6167 Depth=2
	v_bfe_i32 v30, v30, 0, 8
	s_delay_alu instid0(VALU_DEP_1) | instskip(SKIP_2) | instid1(VALU_DEP_2)
	v_cmp_lt_i16_e32 vcc_lo, -1, v30
	v_cndmask_b32_e32 v30, 0xff800000, v103, vcc_lo
	v_cmp_eq_u32_e32 vcc_lo, 0, v34
	v_cndmask_b32_e32 v86, 0x7f800001, v30, vcc_lo
; %bb.6843:                             ;   in Loop: Header=BB2_6167 Depth=2
	s_or_b32 exec_lo, exec_lo, s29
.LBB2_6844:                             ;   in Loop: Header=BB2_6167 Depth=2
	s_delay_alu instid0(SALU_CYCLE_1)
	s_or_b32 exec_lo, exec_lo, s28
.LBB2_6845:                             ;   in Loop: Header=BB2_6167 Depth=2
	s_delay_alu instid0(SALU_CYCLE_1) | instskip(NEXT) | instid1(VALU_DEP_1)
	s_or_b32 exec_lo, exec_lo, s10
	v_dual_mul_f32 v86, s27, v86 :: v_dual_mov_b32 v97, v35
	s_delay_alu instid0(VALU_DEP_1) | instskip(SKIP_2) | instid1(VALU_DEP_3)
	v_and_b32_e32 v96, 0x7f800000, v86
	v_and_b32_e32 v34, 0x7fffff, v86
	v_lshrrev_b32_e32 v30, 24, v86
	v_cmp_ne_u64_e32 vcc_lo, 0x7f800000, v[96:97]
                                        ; implicit-def: $vgpr96
	s_and_saveexec_b32 s10, vcc_lo
	s_delay_alu instid0(SALU_CYCLE_1)
	s_xor_b32 s28, exec_lo, s10
	s_cbranch_execz .LBB2_6859
; %bb.6846:                             ;   in Loop: Header=BB2_6167 Depth=2
	v_and_b32_e32 v96, 0x7fffffff, v86
	v_mov_b32_e32 v97, v35
	v_and_b32_e32 v30, 0x80, v30
	s_delay_alu instid0(VALU_DEP_2) | instskip(SKIP_1) | instid1(SALU_CYCLE_1)
	v_cmp_gt_u64_e32 vcc_lo, 0x47600001, v[96:97]
                                        ; implicit-def: $vgpr96
	s_and_saveexec_b32 s10, vcc_lo
	s_xor_b32 s29, exec_lo, s10
	s_cbranch_execz .LBB2_6856
; %bb.6847:                             ;   in Loop: Header=BB2_6167 Depth=2
	v_mov_b32_e32 v96, 0
	s_mov_b32 s40, exec_lo
	v_cmpx_ne_u32_e32 0, v86
	s_cbranch_execz .LBB2_6855
; %bb.6848:                             ;   in Loop: Header=BB2_6167 Depth=2
	v_bfe_u32 v63, v86, 23, 8
	v_or_b32_e32 v96, 0x800000, v34
	s_delay_alu instid0(VALU_DEP_2) | instskip(SKIP_1) | instid1(VALU_DEP_2)
	v_sub_nc_u32_e32 v86, 0x71, v63
	v_cmp_gt_u32_e32 vcc_lo, 0x72, v63
	v_cndmask_b32_e32 v86, 0, v86, vcc_lo
	v_cmp_eq_u32_e32 vcc_lo, 0, v63
	s_delay_alu instid0(VALU_DEP_2) | instskip(NEXT) | instid1(VALU_DEP_1)
	v_cndmask_b32_e64 v72, v86, 0x70, vcc_lo
	v_dual_cndmask_b32 v34, v96, v34, vcc_lo :: v_dual_add_nc_u32 v86, 21, v72
	v_add_nc_u32_e32 v97, 20, v72
	s_delay_alu instid0(VALU_DEP_2) | instskip(NEXT) | instid1(VALU_DEP_2)
	v_lshlrev_b64_e64 v[86:87], v86, -1
	v_lshlrev_b64_e64 v[96:97], v97, 1
	s_delay_alu instid0(VALU_DEP_2) | instskip(NEXT) | instid1(VALU_DEP_3)
	v_bfi_b32 v75, v87, 0, 0
	v_bfi_b32 v74, v86, 0, v34
	v_lshrrev_b64 v[86:87], v72, v[34:35]
	s_delay_alu instid0(VALU_DEP_2) | instskip(NEXT) | instid1(VALU_DEP_2)
	v_cmp_eq_u64_e64 s10, v[74:75], v[96:97]
	v_mov_b64_e32 v[96:97], v[86:87]
	s_and_saveexec_b32 s41, s10
; %bb.6849:                             ;   in Loop: Header=BB2_6167 Depth=2
	v_bfe_u32 v34, v86, 21, 1
	s_delay_alu instid0(VALU_DEP_1) | instskip(NEXT) | instid1(VALU_DEP_1)
	v_add_nc_u64_e32 v[96:97], v[86:87], v[34:35]
	v_add_nc_u64_e32 v[96:97], -1, v[96:97]
; %bb.6850:                             ;   in Loop: Header=BB2_6167 Depth=2
	s_or_b32 exec_lo, exec_lo, s41
	v_add_nc_u32_e32 v34, 0xffffff81, v63
	v_lshrrev_b32_e32 v87, 23, v86
	s_mov_b32 s10, exec_lo
	s_delay_alu instid0(VALU_DEP_2) | instskip(NEXT) | instid1(VALU_DEP_1)
	v_cndmask_b32_e64 v34, v34, 0xffffff82, vcc_lo
	v_add3_u32 v97, v72, v34, v87
	v_and_b32_e32 v34, 0x1fffff, v96
                                        ; implicit-def: $vgpr96
	s_delay_alu instid0(VALU_DEP_1) | instskip(NEXT) | instid1(VALU_DEP_1)
	v_dual_add_nc_u32 v63, 14, v97 :: v_dual_add_nc_u32 v34, v34, v86
                                        ; implicit-def: $vgpr86_vgpr87
	v_cmpx_ne_u32_e32 0, v63
	s_xor_b32 s10, exec_lo, s10
; %bb.6851:                             ;   in Loop: Header=BB2_6167 Depth=2
	s_delay_alu instid0(VALU_DEP_2) | instskip(SKIP_1) | instid1(VALU_DEP_1)
	v_cmp_lt_u64_e32 vcc_lo, 0xffffff, v[34:35]
	v_add_nc_u32_e32 v86, 15, v97
	v_cndmask_b32_e32 v96, v63, v86, vcc_lo
	v_cndmask_b32_e64 v86, 0, 1, vcc_lo
	s_delay_alu instid0(VALU_DEP_1)
	v_lshrrev_b64 v[86:87], v86, v[34:35]
; %bb.6852:                             ;   in Loop: Header=BB2_6167 Depth=2
	s_and_not1_saveexec_b32 s10, s10
; %bb.6853:                             ;   in Loop: Header=BB2_6167 Depth=2
	v_mov_b64_e32 v[86:87], v[34:35]
	v_bfe_u32 v96, v34, 23, 1
; %bb.6854:                             ;   in Loop: Header=BB2_6167 Depth=2
	s_or_b32 exec_lo, exec_lo, s10
	s_delay_alu instid0(VALU_DEP_2) | instskip(NEXT) | instid1(VALU_DEP_2)
	v_lshrrev_b64 v[86:87], 21, v[86:87]
	v_cmp_gt_i32_e32 vcc_lo, 32, v96
	v_min_i32_e32 v34, 31, v96
	v_cmp_eq_u32_e64 s10, 0, v96
	s_delay_alu instid0(VALU_DEP_2) | instskip(SKIP_1) | instid1(VALU_DEP_2)
	v_dual_cndmask_b32 v87, 0, v87 :: v_dual_lshlrev_b32 v34, 2, v34
	v_cndmask_b32_e32 v86, 3, v86, vcc_lo
	v_and_b32_e32 v34, 0xfc, v34
	s_delay_alu instid0(VALU_DEP_2) | instskip(NEXT) | instid1(VALU_DEP_2)
	v_cmp_eq_u64_e32 vcc_lo, 0, v[86:87]
	v_and_or_b32 v34, v86, 3, v34
	s_and_b32 s10, s10, vcc_lo
	s_delay_alu instid0(VALU_DEP_1) | instid1(SALU_CYCLE_1)
	v_cndmask_b32_e64 v34, v34, 0, s10
	s_delay_alu instid0(VALU_DEP_1)
	v_or_b32_e32 v96, v34, v30
.LBB2_6855:                             ;   in Loop: Header=BB2_6167 Depth=2
	s_or_b32 exec_lo, exec_lo, s40
                                        ; implicit-def: $vgpr30
.LBB2_6856:                             ;   in Loop: Header=BB2_6167 Depth=2
	s_and_not1_saveexec_b32 s10, s29
; %bb.6857:                             ;   in Loop: Header=BB2_6167 Depth=2
	v_or_b32_e32 v96, 0x7b, v30
; %bb.6858:                             ;   in Loop: Header=BB2_6167 Depth=2
	s_or_b32 exec_lo, exec_lo, s10
                                        ; implicit-def: $vgpr86
                                        ; implicit-def: $vgpr30
.LBB2_6859:                             ;   in Loop: Header=BB2_6167 Depth=2
	s_and_not1_saveexec_b32 s10, s28
	s_cbranch_execz .LBB2_6865
; %bb.6860:                             ;   in Loop: Header=BB2_6167 Depth=2
	s_mov_b32 s28, exec_lo
                                        ; implicit-def: $vgpr96
	v_cmpx_ne_u64_e32 0, v[34:35]
	s_xor_b32 s28, exec_lo, s28
; %bb.6861:                             ;   in Loop: Header=BB2_6167 Depth=2
	v_or_b32_e32 v96, 0x7f, v30
                                        ; implicit-def: $vgpr86
; %bb.6862:                             ;   in Loop: Header=BB2_6167 Depth=2
	s_and_not1_saveexec_b32 s28, s28
; %bb.6863:                             ;   in Loop: Header=BB2_6167 Depth=2
	v_cmp_lt_i32_e32 vcc_lo, -1, v86
	v_cndmask_b32_e32 v96, 0xfc, v112, vcc_lo
; %bb.6864:                             ;   in Loop: Header=BB2_6167 Depth=2
	s_or_b32 exec_lo, exec_lo, s28
.LBB2_6865:                             ;   in Loop: Header=BB2_6167 Depth=2
	s_delay_alu instid0(SALU_CYCLE_1)
	s_or_b32 exec_lo, exec_lo, s10
	v_mov_b32_e32 v34, 0
	s_mov_b32 s10, exec_lo
	v_cmpx_lt_u64_e64 s[12:13], v[10:11]
	s_cbranch_execz .LBB2_6875
; %bb.6866:                             ;   in Loop: Header=BB2_6167 Depth=2
	v_lshrrev_b32_e32 v30, 24, v11
	v_bfrev_b32_e32 v34, 1
	s_mov_b32 s28, exec_lo
	s_delay_alu instid0(VALU_DEP_2)
	v_cmpx_ne_u32_e32 0x80, v30
	s_cbranch_execz .LBB2_6874
; %bb.6867:                             ;   in Loop: Header=BB2_6167 Depth=2
	v_and_b32_e32 v34, 0x7c000000, v11
	v_bfe_u32 v86, v11, 24, 2
	s_delay_alu instid0(VALU_DEP_2) | instskip(SKIP_1) | instid1(SALU_CYCLE_1)
	v_cmp_ne_u32_e32 vcc_lo, 0x7c000000, v34
                                        ; implicit-def: $vgpr34
	s_and_saveexec_b32 s29, vcc_lo
	s_xor_b32 s29, exec_lo, s29
	s_cbranch_execz .LBB2_6871
; %bb.6868:                             ;   in Loop: Header=BB2_6167 Depth=2
	v_bfe_u32 v34, v11, 26, 5
	s_mov_b32 s40, exec_lo
	s_delay_alu instid0(VALU_DEP_1)
	v_cmpx_eq_u32_e32 0, v34
; %bb.6869:                             ;   in Loop: Header=BB2_6167 Depth=2
	v_clz_i32_u32_e32 v34, v86
	s_delay_alu instid0(VALU_DEP_1) | instskip(NEXT) | instid1(VALU_DEP_1)
	v_min_u32_e32 v34, 32, v34
	v_subrev_nc_u32_e32 v86, 29, v34
	v_sub_nc_u32_e32 v34, 30, v34
	s_delay_alu instid0(VALU_DEP_2) | instskip(NEXT) | instid1(VALU_DEP_1)
	v_lshlrev_b64_e32 v[86:87], v86, v[30:31]
	v_and_b32_e32 v86, 3, v86
; %bb.6870:                             ;   in Loop: Header=BB2_6167 Depth=2
	s_or_b32 exec_lo, exec_lo, s40
	v_and_b32_e32 v30, 0x80000000, v11
	s_delay_alu instid0(VALU_DEP_1) | instskip(NEXT) | instid1(VALU_DEP_1)
	v_lshl_add_u32 v30, v34, 23, v30
	v_lshl_or_b32 v30, v86, 21, v30
                                        ; implicit-def: $vgpr86
	s_delay_alu instid0(VALU_DEP_1)
	v_add_nc_u32_e32 v34, 0x38000000, v30
.LBB2_6871:                             ;   in Loop: Header=BB2_6167 Depth=2
	s_and_not1_saveexec_b32 s29, s29
; %bb.6872:                             ;   in Loop: Header=BB2_6167 Depth=2
	v_cmp_lt_i64_e32 vcc_lo, -1, v[10:11]
	v_cndmask_b32_e32 v10, 0xff800000, v103, vcc_lo
	v_cmp_eq_u32_e32 vcc_lo, 0, v86
	s_delay_alu instid0(VALU_DEP_2)
	v_cndmask_b32_e32 v34, 0x7f800001, v10, vcc_lo
; %bb.6873:                             ;   in Loop: Header=BB2_6167 Depth=2
	s_or_b32 exec_lo, exec_lo, s29
.LBB2_6874:                             ;   in Loop: Header=BB2_6167 Depth=2
	s_delay_alu instid0(SALU_CYCLE_1)
	s_or_b32 exec_lo, exec_lo, s28
.LBB2_6875:                             ;   in Loop: Header=BB2_6167 Depth=2
	s_delay_alu instid0(SALU_CYCLE_1) | instskip(NEXT) | instid1(VALU_DEP_1)
	s_or_b32 exec_lo, exec_lo, s10
	v_dual_mul_f32 v10, s27, v34 :: v_dual_mov_b32 v87, v35
                                        ; implicit-def: $vgpr30
	s_mov_b32 s10, exec_lo
	s_delay_alu instid0(VALU_DEP_1) | instskip(SKIP_2) | instid1(VALU_DEP_3)
	v_and_b32_e32 v86, 0x7f800000, v10
	v_and_b32_e32 v34, 0x7fffff, v10
	v_lshrrev_b32_e32 v11, 24, v10
	v_cmpx_ne_u64_e32 0x7f800000, v[86:87]
	s_xor_b32 s28, exec_lo, s10
	s_cbranch_execz .LBB2_6889
; %bb.6876:                             ;   in Loop: Header=BB2_6167 Depth=2
	v_and_b32_e32 v86, 0x7fffffff, v10
	v_mov_b32_e32 v87, v35
	v_and_b32_e32 v97, 0x80, v11
                                        ; implicit-def: $vgpr30
	s_mov_b32 s10, exec_lo
	s_delay_alu instid0(VALU_DEP_2)
	v_cmpx_gt_u64_e32 0x47600001, v[86:87]
	s_xor_b32 s29, exec_lo, s10
	s_cbranch_execz .LBB2_6886
; %bb.6877:                             ;   in Loop: Header=BB2_6167 Depth=2
	v_mov_b32_e32 v30, 0
	s_mov_b32 s40, exec_lo
	v_cmpx_ne_u32_e32 0, v10
	s_cbranch_execz .LBB2_6885
; %bb.6878:                             ;   in Loop: Header=BB2_6167 Depth=2
	v_bfe_u32 v30, v10, 23, 8
	v_or_b32_e32 v86, 0x800000, v34
	s_delay_alu instid0(VALU_DEP_2) | instskip(SKIP_1) | instid1(VALU_DEP_2)
	v_sub_nc_u32_e32 v10, 0x71, v30
	v_cmp_gt_u32_e32 vcc_lo, 0x72, v30
	v_cndmask_b32_e32 v10, 0, v10, vcc_lo
	v_cmp_eq_u32_e32 vcc_lo, 0, v30
	s_delay_alu instid0(VALU_DEP_2) | instskip(NEXT) | instid1(VALU_DEP_1)
	v_cndmask_b32_e64 v63, v10, 0x70, vcc_lo
	v_dual_cndmask_b32 v34, v86, v34, vcc_lo :: v_dual_add_nc_u32 v10, 21, v63
	v_add_nc_u32_e32 v87, 20, v63
	s_delay_alu instid0(VALU_DEP_2) | instskip(NEXT) | instid1(VALU_DEP_2)
	v_lshlrev_b64_e64 v[10:11], v10, -1
	v_lshlrev_b64_e64 v[86:87], v87, 1
	s_delay_alu instid0(VALU_DEP_2) | instskip(NEXT) | instid1(VALU_DEP_3)
	v_bfi_b32 v73, v11, 0, 0
	v_bfi_b32 v72, v10, 0, v34
	v_lshrrev_b64 v[10:11], v63, v[34:35]
	s_delay_alu instid0(VALU_DEP_2) | instskip(NEXT) | instid1(VALU_DEP_2)
	v_cmp_eq_u64_e64 s10, v[72:73], v[86:87]
	v_mov_b64_e32 v[86:87], v[10:11]
	s_and_saveexec_b32 s41, s10
; %bb.6879:                             ;   in Loop: Header=BB2_6167 Depth=2
	v_bfe_u32 v34, v10, 21, 1
	s_delay_alu instid0(VALU_DEP_1) | instskip(NEXT) | instid1(VALU_DEP_1)
	v_add_nc_u64_e32 v[86:87], v[10:11], v[34:35]
	v_add_nc_u64_e32 v[86:87], -1, v[86:87]
; %bb.6880:                             ;   in Loop: Header=BB2_6167 Depth=2
	s_or_b32 exec_lo, exec_lo, s41
	v_add_nc_u32_e32 v11, 0xffffff81, v30
	v_lshrrev_b32_e32 v30, 23, v10
	s_mov_b32 s10, exec_lo
	s_delay_alu instid0(VALU_DEP_2) | instskip(NEXT) | instid1(VALU_DEP_1)
	v_cndmask_b32_e64 v11, v11, 0xffffff82, vcc_lo
	v_add3_u32 v87, v63, v11, v30
	v_and_b32_e32 v11, 0x1fffff, v86
                                        ; implicit-def: $vgpr30
	s_delay_alu instid0(VALU_DEP_1) | instskip(NEXT) | instid1(VALU_DEP_1)
	v_dual_add_nc_u32 v86, 14, v87 :: v_dual_add_nc_u32 v34, v11, v10
                                        ; implicit-def: $vgpr10_vgpr11
	v_cmpx_ne_u32_e32 0, v86
	s_xor_b32 s10, exec_lo, s10
; %bb.6881:                             ;   in Loop: Header=BB2_6167 Depth=2
	s_delay_alu instid0(VALU_DEP_2) | instskip(SKIP_1) | instid1(VALU_DEP_1)
	v_cmp_lt_u64_e32 vcc_lo, 0xffffff, v[34:35]
	v_add_nc_u32_e32 v10, 15, v87
	v_cndmask_b32_e32 v30, v86, v10, vcc_lo
	v_cndmask_b32_e64 v10, 0, 1, vcc_lo
	s_delay_alu instid0(VALU_DEP_1)
	v_lshrrev_b64 v[10:11], v10, v[34:35]
; %bb.6882:                             ;   in Loop: Header=BB2_6167 Depth=2
	s_and_not1_saveexec_b32 s10, s10
; %bb.6883:                             ;   in Loop: Header=BB2_6167 Depth=2
	v_mov_b64_e32 v[10:11], v[34:35]
	v_bfe_u32 v30, v34, 23, 1
; %bb.6884:                             ;   in Loop: Header=BB2_6167 Depth=2
	s_or_b32 exec_lo, exec_lo, s10
	s_delay_alu instid0(VALU_DEP_2) | instskip(NEXT) | instid1(VALU_DEP_2)
	v_lshrrev_b64 v[10:11], 21, v[10:11]
	v_cmp_gt_i32_e32 vcc_lo, 32, v30
	v_min_i32_e32 v34, 31, v30
	v_cmp_eq_u32_e64 s10, 0, v30
	s_delay_alu instid0(VALU_DEP_2) | instskip(SKIP_1) | instid1(VALU_DEP_2)
	v_dual_cndmask_b32 v11, 0, v11 :: v_dual_lshlrev_b32 v34, 2, v34
	v_cndmask_b32_e32 v10, 3, v10, vcc_lo
	v_and_b32_e32 v34, 0xfc, v34
	s_delay_alu instid0(VALU_DEP_2) | instskip(NEXT) | instid1(VALU_DEP_2)
	v_cmp_eq_u64_e32 vcc_lo, 0, v[10:11]
	v_and_or_b32 v10, v10, 3, v34
	s_and_b32 s10, s10, vcc_lo
	s_delay_alu instid0(VALU_DEP_1) | instid1(SALU_CYCLE_1)
	v_cndmask_b32_e64 v10, v10, 0, s10
	s_delay_alu instid0(VALU_DEP_1)
	v_or_b32_e32 v30, v10, v97
.LBB2_6885:                             ;   in Loop: Header=BB2_6167 Depth=2
	s_or_b32 exec_lo, exec_lo, s40
                                        ; implicit-def: $vgpr97
.LBB2_6886:                             ;   in Loop: Header=BB2_6167 Depth=2
	s_and_not1_saveexec_b32 s10, s29
; %bb.6887:                             ;   in Loop: Header=BB2_6167 Depth=2
	v_or_b32_e32 v30, 0x7b, v97
; %bb.6888:                             ;   in Loop: Header=BB2_6167 Depth=2
	s_or_b32 exec_lo, exec_lo, s10
                                        ; implicit-def: $vgpr10
                                        ; implicit-def: $vgpr11
.LBB2_6889:                             ;   in Loop: Header=BB2_6167 Depth=2
	s_and_not1_saveexec_b32 s10, s28
	s_cbranch_execz .LBB2_6895
; %bb.6890:                             ;   in Loop: Header=BB2_6167 Depth=2
	s_mov_b32 s28, exec_lo
                                        ; implicit-def: $vgpr30
	v_cmpx_ne_u64_e32 0, v[34:35]
	s_xor_b32 s28, exec_lo, s28
; %bb.6891:                             ;   in Loop: Header=BB2_6167 Depth=2
	v_or_b32_e32 v30, 0x7f, v11
                                        ; implicit-def: $vgpr10
; %bb.6892:                             ;   in Loop: Header=BB2_6167 Depth=2
	s_and_not1_saveexec_b32 s28, s28
; %bb.6893:                             ;   in Loop: Header=BB2_6167 Depth=2
	v_cmp_lt_i32_e32 vcc_lo, -1, v10
	v_cndmask_b32_e32 v30, 0xfc, v112, vcc_lo
; %bb.6894:                             ;   in Loop: Header=BB2_6167 Depth=2
	s_or_b32 exec_lo, exec_lo, s28
.LBB2_6895:                             ;   in Loop: Header=BB2_6167 Depth=2
	s_delay_alu instid0(SALU_CYCLE_1) | instskip(SKIP_1) | instid1(VALU_DEP_1)
	s_or_b32 exec_lo, exec_lo, s10
	v_and_b32_e32 v10, 0xff, v12
	v_cmp_ne_u16_e32 vcc_lo, 0, v10
	v_mov_b32_e32 v10, 0
	s_and_saveexec_b32 s10, vcc_lo
	s_cbranch_execz .LBB2_6905
; %bb.6896:                             ;   in Loop: Header=BB2_6167 Depth=2
	v_bfe_i32 v34, v12, 0, 8
	v_bfrev_b32_e32 v10, 1
	s_mov_b32 s28, exec_lo
	s_delay_alu instid0(VALU_DEP_2)
	v_cmpx_ne_u16_e32 0xff80, v34
	s_cbranch_execz .LBB2_6904
; %bb.6897:                             ;   in Loop: Header=BB2_6167 Depth=2
	v_and_b32_e32 v10, 0x7c, v12
	v_and_b32_e32 v11, 3, v12
	s_delay_alu instid0(VALU_DEP_2) | instskip(SKIP_1) | instid1(SALU_CYCLE_1)
	v_cmp_ne_u32_e32 vcc_lo, 0x7c, v10
                                        ; implicit-def: $vgpr10
	s_and_saveexec_b32 s29, vcc_lo
	s_xor_b32 s29, exec_lo, s29
	s_cbranch_execz .LBB2_6901
; %bb.6898:                             ;   in Loop: Header=BB2_6167 Depth=2
	v_bfe_u32 v10, v12, 2, 5
	s_mov_b32 s40, exec_lo
	s_delay_alu instid0(VALU_DEP_1)
	v_cmpx_eq_u32_e32 0, v10
; %bb.6899:                             ;   in Loop: Header=BB2_6167 Depth=2
	v_clz_i32_u32_e32 v10, v11
	s_delay_alu instid0(VALU_DEP_1) | instskip(NEXT) | instid1(VALU_DEP_1)
	v_min_u32_e32 v10, 32, v10
	v_subrev_nc_u32_e32 v11, 29, v10
	v_sub_nc_u32_e32 v10, 30, v10
	s_delay_alu instid0(VALU_DEP_2) | instskip(NEXT) | instid1(VALU_DEP_1)
	v_lshlrev_b64_e32 v[86:87], v11, v[12:13]
	v_and_b32_e32 v11, 3, v86
; %bb.6900:                             ;   in Loop: Header=BB2_6167 Depth=2
	s_or_b32 exec_lo, exec_lo, s40
	v_lshlrev_b32_e32 v34, 24, v12
	s_delay_alu instid0(VALU_DEP_1) | instskip(NEXT) | instid1(VALU_DEP_1)
	v_and_b32_e32 v34, 0x80000000, v34
	v_lshl_add_u32 v10, v10, 23, v34
                                        ; implicit-def: $vgpr34
	s_delay_alu instid0(VALU_DEP_1) | instskip(NEXT) | instid1(VALU_DEP_1)
	v_lshl_or_b32 v10, v11, 21, v10
                                        ; implicit-def: $vgpr11
	v_add_nc_u32_e32 v10, 0x38000000, v10
.LBB2_6901:                             ;   in Loop: Header=BB2_6167 Depth=2
	s_and_not1_saveexec_b32 s29, s29
; %bb.6902:                             ;   in Loop: Header=BB2_6167 Depth=2
	v_cmp_lt_i16_e32 vcc_lo, -1, v34
	v_cndmask_b32_e32 v10, 0xff800000, v103, vcc_lo
	v_cmp_eq_u32_e32 vcc_lo, 0, v11
	s_delay_alu instid0(VALU_DEP_2)
	v_cndmask_b32_e32 v10, 0x7f800001, v10, vcc_lo
; %bb.6903:                             ;   in Loop: Header=BB2_6167 Depth=2
	s_or_b32 exec_lo, exec_lo, s29
.LBB2_6904:                             ;   in Loop: Header=BB2_6167 Depth=2
	s_delay_alu instid0(SALU_CYCLE_1)
	s_or_b32 exec_lo, exec_lo, s28
.LBB2_6905:                             ;   in Loop: Header=BB2_6167 Depth=2
	s_delay_alu instid0(SALU_CYCLE_1) | instskip(NEXT) | instid1(VALU_DEP_1)
	s_or_b32 exec_lo, exec_lo, s10
	v_dual_mul_f32 v10, s27, v10 :: v_dual_mov_b32 v87, v35
                                        ; implicit-def: $vgpr97
	s_mov_b32 s10, exec_lo
	s_delay_alu instid0(VALU_DEP_1) | instskip(SKIP_2) | instid1(VALU_DEP_3)
	v_and_b32_e32 v86, 0x7f800000, v10
	v_and_b32_e32 v34, 0x7fffff, v10
	v_lshrrev_b32_e32 v11, 24, v10
	v_cmpx_ne_u64_e32 0x7f800000, v[86:87]
	s_xor_b32 s28, exec_lo, s10
	s_cbranch_execz .LBB2_6919
; %bb.6906:                             ;   in Loop: Header=BB2_6167 Depth=2
	v_and_b32_e32 v86, 0x7fffffff, v10
	v_mov_b32_e32 v87, v35
	v_and_b32_e32 v63, 0x80, v11
                                        ; implicit-def: $vgpr97
	s_mov_b32 s10, exec_lo
	s_delay_alu instid0(VALU_DEP_2)
	v_cmpx_gt_u64_e32 0x47600001, v[86:87]
	s_xor_b32 s29, exec_lo, s10
	s_cbranch_execz .LBB2_6916
; %bb.6907:                             ;   in Loop: Header=BB2_6167 Depth=2
	v_mov_b32_e32 v97, 0
	s_mov_b32 s40, exec_lo
	v_cmpx_ne_u32_e32 0, v10
	s_cbranch_execz .LBB2_6915
; %bb.6908:                             ;   in Loop: Header=BB2_6167 Depth=2
	v_bfe_u32 v97, v10, 23, 8
	v_or_b32_e32 v86, 0x800000, v34
	s_delay_alu instid0(VALU_DEP_2) | instskip(SKIP_1) | instid1(VALU_DEP_2)
	v_sub_nc_u32_e32 v10, 0x71, v97
	v_cmp_gt_u32_e32 vcc_lo, 0x72, v97
	v_cndmask_b32_e32 v10, 0, v10, vcc_lo
	v_cmp_eq_u32_e32 vcc_lo, 0, v97
	s_delay_alu instid0(VALU_DEP_2) | instskip(NEXT) | instid1(VALU_DEP_1)
	v_cndmask_b32_e64 v72, v10, 0x70, vcc_lo
	v_dual_cndmask_b32 v34, v86, v34, vcc_lo :: v_dual_add_nc_u32 v10, 21, v72
	v_add_nc_u32_e32 v87, 20, v72
	s_delay_alu instid0(VALU_DEP_2) | instskip(NEXT) | instid1(VALU_DEP_2)
	v_lshlrev_b64_e64 v[10:11], v10, -1
	v_lshlrev_b64_e64 v[86:87], v87, 1
	s_delay_alu instid0(VALU_DEP_2) | instskip(NEXT) | instid1(VALU_DEP_3)
	v_bfi_b32 v75, v11, 0, 0
	v_bfi_b32 v74, v10, 0, v34
	v_lshrrev_b64 v[10:11], v72, v[34:35]
	s_delay_alu instid0(VALU_DEP_2) | instskip(NEXT) | instid1(VALU_DEP_2)
	v_cmp_eq_u64_e64 s10, v[74:75], v[86:87]
	v_mov_b64_e32 v[86:87], v[10:11]
	s_and_saveexec_b32 s41, s10
; %bb.6909:                             ;   in Loop: Header=BB2_6167 Depth=2
	v_bfe_u32 v34, v10, 21, 1
	s_delay_alu instid0(VALU_DEP_1) | instskip(NEXT) | instid1(VALU_DEP_1)
	v_add_nc_u64_e32 v[86:87], v[10:11], v[34:35]
	v_add_nc_u64_e32 v[86:87], -1, v[86:87]
; %bb.6910:                             ;   in Loop: Header=BB2_6167 Depth=2
	s_or_b32 exec_lo, exec_lo, s41
	v_add_nc_u32_e32 v11, 0xffffff81, v97
	v_lshrrev_b32_e32 v34, 23, v10
	s_mov_b32 s10, exec_lo
	s_delay_alu instid0(VALU_DEP_2) | instskip(NEXT) | instid1(VALU_DEP_1)
	v_cndmask_b32_e64 v11, v11, 0xffffff82, vcc_lo
	v_add3_u32 v87, v72, v11, v34
	v_and_b32_e32 v11, 0x1fffff, v86
                                        ; implicit-def: $vgpr86
	s_delay_alu instid0(VALU_DEP_1) | instskip(NEXT) | instid1(VALU_DEP_1)
	v_dual_add_nc_u32 v97, 14, v87 :: v_dual_add_nc_u32 v34, v11, v10
                                        ; implicit-def: $vgpr10_vgpr11
	v_cmpx_ne_u32_e32 0, v97
	s_xor_b32 s10, exec_lo, s10
; %bb.6911:                             ;   in Loop: Header=BB2_6167 Depth=2
	s_delay_alu instid0(VALU_DEP_2) | instskip(SKIP_1) | instid1(VALU_DEP_1)
	v_cmp_lt_u64_e32 vcc_lo, 0xffffff, v[34:35]
	v_add_nc_u32_e32 v10, 15, v87
	v_cndmask_b32_e32 v86, v97, v10, vcc_lo
	v_cndmask_b32_e64 v10, 0, 1, vcc_lo
	s_delay_alu instid0(VALU_DEP_1)
	v_lshrrev_b64 v[10:11], v10, v[34:35]
; %bb.6912:                             ;   in Loop: Header=BB2_6167 Depth=2
	s_and_not1_saveexec_b32 s10, s10
; %bb.6913:                             ;   in Loop: Header=BB2_6167 Depth=2
	v_mov_b64_e32 v[10:11], v[34:35]
	v_bfe_u32 v86, v34, 23, 1
; %bb.6914:                             ;   in Loop: Header=BB2_6167 Depth=2
	s_or_b32 exec_lo, exec_lo, s10
	s_delay_alu instid0(VALU_DEP_2) | instskip(NEXT) | instid1(VALU_DEP_2)
	v_lshrrev_b64 v[10:11], 21, v[10:11]
	v_cmp_gt_i32_e32 vcc_lo, 32, v86
	v_min_i32_e32 v34, 31, v86
	v_cmp_eq_u32_e64 s10, 0, v86
	s_delay_alu instid0(VALU_DEP_2) | instskip(SKIP_1) | instid1(VALU_DEP_2)
	v_dual_cndmask_b32 v11, 0, v11 :: v_dual_lshlrev_b32 v34, 2, v34
	v_cndmask_b32_e32 v10, 3, v10, vcc_lo
	v_and_b32_e32 v34, 0xfc, v34
	s_delay_alu instid0(VALU_DEP_2) | instskip(NEXT) | instid1(VALU_DEP_2)
	v_cmp_eq_u64_e32 vcc_lo, 0, v[10:11]
	v_and_or_b32 v10, v10, 3, v34
	s_and_b32 s10, s10, vcc_lo
	s_delay_alu instid0(VALU_DEP_1) | instid1(SALU_CYCLE_1)
	v_cndmask_b32_e64 v10, v10, 0, s10
	s_delay_alu instid0(VALU_DEP_1)
	v_or_b32_e32 v97, v10, v63
.LBB2_6915:                             ;   in Loop: Header=BB2_6167 Depth=2
	s_or_b32 exec_lo, exec_lo, s40
                                        ; implicit-def: $vgpr63
.LBB2_6916:                             ;   in Loop: Header=BB2_6167 Depth=2
	s_and_not1_saveexec_b32 s10, s29
; %bb.6917:                             ;   in Loop: Header=BB2_6167 Depth=2
	v_or_b32_e32 v97, 0x7b, v63
; %bb.6918:                             ;   in Loop: Header=BB2_6167 Depth=2
	s_or_b32 exec_lo, exec_lo, s10
                                        ; implicit-def: $vgpr10
                                        ; implicit-def: $vgpr11
.LBB2_6919:                             ;   in Loop: Header=BB2_6167 Depth=2
	s_and_not1_saveexec_b32 s10, s28
	s_cbranch_execz .LBB2_6925
; %bb.6920:                             ;   in Loop: Header=BB2_6167 Depth=2
	s_mov_b32 s28, exec_lo
                                        ; implicit-def: $vgpr97
	v_cmpx_ne_u64_e32 0, v[34:35]
	s_xor_b32 s28, exec_lo, s28
; %bb.6921:                             ;   in Loop: Header=BB2_6167 Depth=2
	v_or_b32_e32 v97, 0x7f, v11
                                        ; implicit-def: $vgpr10
; %bb.6922:                             ;   in Loop: Header=BB2_6167 Depth=2
	s_and_not1_saveexec_b32 s28, s28
; %bb.6923:                             ;   in Loop: Header=BB2_6167 Depth=2
	v_cmp_lt_i32_e32 vcc_lo, -1, v10
	v_cndmask_b32_e32 v97, 0xfc, v112, vcc_lo
; %bb.6924:                             ;   in Loop: Header=BB2_6167 Depth=2
	s_or_b32 exec_lo, exec_lo, s28
.LBB2_6925:                             ;   in Loop: Header=BB2_6167 Depth=2
	s_delay_alu instid0(SALU_CYCLE_1) | instskip(SKIP_3) | instid1(VALU_DEP_2)
	s_or_b32 exec_lo, exec_lo, s10
	v_lshrrev_b16 v34, 8, v12
	v_mov_b32_e32 v11, 0
	s_mov_b32 s10, exec_lo
	v_cmpx_ne_u16_e32 0, v34
	s_cbranch_execz .LBB2_6935
; %bb.6926:                             ;   in Loop: Header=BB2_6167 Depth=2
	v_bfrev_b32_e32 v11, 1
	s_mov_b32 s28, exec_lo
	v_cmpx_ne_u16_e32 0x80, v34
	s_cbranch_execz .LBB2_6934
; %bb.6927:                             ;   in Loop: Header=BB2_6167 Depth=2
	v_and_b32_e32 v86, 0xffff, v34
	s_delay_alu instid0(VALU_DEP_1) | instskip(SKIP_1) | instid1(VALU_DEP_2)
	v_and_b32_e32 v11, 0x7c, v86
	v_and_b32_e32 v10, 3, v86
	v_cmp_ne_u32_e32 vcc_lo, 0x7c, v11
                                        ; implicit-def: $vgpr11
	s_and_saveexec_b32 s29, vcc_lo
	s_delay_alu instid0(SALU_CYCLE_1)
	s_xor_b32 s29, exec_lo, s29
	s_cbranch_execz .LBB2_6931
; %bb.6928:                             ;   in Loop: Header=BB2_6167 Depth=2
	v_bfe_u32 v11, v86, 2, 5
	s_mov_b32 s40, exec_lo
	s_delay_alu instid0(VALU_DEP_1)
	v_cmpx_eq_u32_e32 0, v11
; %bb.6929:                             ;   in Loop: Header=BB2_6167 Depth=2
	v_clz_i32_u32_e32 v10, v10
	s_delay_alu instid0(VALU_DEP_1) | instskip(NEXT) | instid1(VALU_DEP_1)
	v_min_u32_e32 v86, 32, v10
	v_subrev_nc_u32_e32 v10, 29, v86
	s_delay_alu instid0(VALU_DEP_1) | instskip(SKIP_1) | instid1(VALU_DEP_2)
	v_lshlrev_b64_e32 v[10:11], v10, v[34:35]
	v_sub_nc_u32_e32 v11, 30, v86
	v_and_b32_e32 v10, 3, v10
; %bb.6930:                             ;   in Loop: Header=BB2_6167 Depth=2
	s_or_b32 exec_lo, exec_lo, s40
	v_lshlrev_b32_e32 v34, 16, v12
	s_delay_alu instid0(VALU_DEP_1) | instskip(NEXT) | instid1(VALU_DEP_1)
	v_and_b32_e32 v34, 0x80000000, v34
	v_lshl_add_u32 v11, v11, 23, v34
	s_delay_alu instid0(VALU_DEP_1) | instskip(NEXT) | instid1(VALU_DEP_1)
	v_lshl_or_b32 v10, v10, 21, v11
	v_add_nc_u32_e32 v11, 0x38000000, v10
                                        ; implicit-def: $vgpr10
.LBB2_6931:                             ;   in Loop: Header=BB2_6167 Depth=2
	s_and_not1_saveexec_b32 s29, s29
; %bb.6932:                             ;   in Loop: Header=BB2_6167 Depth=2
	v_cmp_lt_i16_e32 vcc_lo, -1, v12
	v_cndmask_b32_e32 v11, 0xff800000, v103, vcc_lo
	v_cmp_eq_u32_e32 vcc_lo, 0, v10
	s_delay_alu instid0(VALU_DEP_2)
	v_cndmask_b32_e32 v11, 0x7f800001, v11, vcc_lo
; %bb.6933:                             ;   in Loop: Header=BB2_6167 Depth=2
	s_or_b32 exec_lo, exec_lo, s29
.LBB2_6934:                             ;   in Loop: Header=BB2_6167 Depth=2
	s_delay_alu instid0(SALU_CYCLE_1)
	s_or_b32 exec_lo, exec_lo, s28
.LBB2_6935:                             ;   in Loop: Header=BB2_6167 Depth=2
	s_delay_alu instid0(SALU_CYCLE_1) | instskip(NEXT) | instid1(VALU_DEP_1)
	s_or_b32 exec_lo, exec_lo, s10
	v_dual_mul_f32 v10, s27, v11 :: v_dual_mov_b32 v87, v35
                                        ; implicit-def: $vgpr63
	s_mov_b32 s10, exec_lo
	s_delay_alu instid0(VALU_DEP_1) | instskip(SKIP_2) | instid1(VALU_DEP_3)
	v_and_b32_e32 v86, 0x7f800000, v10
	v_and_b32_e32 v34, 0x7fffff, v10
	v_lshrrev_b32_e32 v11, 24, v10
	v_cmpx_ne_u64_e32 0x7f800000, v[86:87]
	s_xor_b32 s28, exec_lo, s10
	s_cbranch_execz .LBB2_6949
; %bb.6936:                             ;   in Loop: Header=BB2_6167 Depth=2
	v_and_b32_e32 v86, 0x7fffffff, v10
	v_mov_b32_e32 v87, v35
	v_and_b32_e32 v72, 0x80, v11
                                        ; implicit-def: $vgpr63
	s_mov_b32 s10, exec_lo
	s_delay_alu instid0(VALU_DEP_2)
	v_cmpx_gt_u64_e32 0x47600001, v[86:87]
	s_xor_b32 s29, exec_lo, s10
	s_cbranch_execz .LBB2_6946
; %bb.6937:                             ;   in Loop: Header=BB2_6167 Depth=2
	v_mov_b32_e32 v63, 0
	s_mov_b32 s40, exec_lo
	v_cmpx_ne_u32_e32 0, v10
	s_cbranch_execz .LBB2_6945
; %bb.6938:                             ;   in Loop: Header=BB2_6167 Depth=2
	v_bfe_u32 v63, v10, 23, 8
	v_or_b32_e32 v86, 0x800000, v34
	s_delay_alu instid0(VALU_DEP_2) | instskip(SKIP_1) | instid1(VALU_DEP_2)
	v_sub_nc_u32_e32 v10, 0x71, v63
	v_cmp_gt_u32_e32 vcc_lo, 0x72, v63
	v_cndmask_b32_e32 v10, 0, v10, vcc_lo
	v_cmp_eq_u32_e32 vcc_lo, 0, v63
	s_delay_alu instid0(VALU_DEP_2) | instskip(NEXT) | instid1(VALU_DEP_1)
	v_cndmask_b32_e64 v73, v10, 0x70, vcc_lo
	v_dual_cndmask_b32 v34, v86, v34, vcc_lo :: v_dual_add_nc_u32 v10, 21, v73
	v_add_nc_u32_e32 v87, 20, v73
	s_delay_alu instid0(VALU_DEP_2) | instskip(NEXT) | instid1(VALU_DEP_2)
	v_lshlrev_b64_e64 v[10:11], v10, -1
	v_lshlrev_b64_e64 v[86:87], v87, 1
	s_delay_alu instid0(VALU_DEP_2) | instskip(NEXT) | instid1(VALU_DEP_3)
	v_bfi_b32 v75, v11, 0, 0
	v_bfi_b32 v74, v10, 0, v34
	v_lshrrev_b64 v[10:11], v73, v[34:35]
	s_delay_alu instid0(VALU_DEP_2) | instskip(NEXT) | instid1(VALU_DEP_2)
	v_cmp_eq_u64_e64 s10, v[74:75], v[86:87]
	v_mov_b64_e32 v[86:87], v[10:11]
	s_and_saveexec_b32 s41, s10
; %bb.6939:                             ;   in Loop: Header=BB2_6167 Depth=2
	v_bfe_u32 v34, v10, 21, 1
	s_delay_alu instid0(VALU_DEP_1) | instskip(NEXT) | instid1(VALU_DEP_1)
	v_add_nc_u64_e32 v[86:87], v[10:11], v[34:35]
	v_add_nc_u64_e32 v[86:87], -1, v[86:87]
; %bb.6940:                             ;   in Loop: Header=BB2_6167 Depth=2
	s_or_b32 exec_lo, exec_lo, s41
	v_add_nc_u32_e32 v11, 0xffffff81, v63
	v_lshrrev_b32_e32 v34, 23, v10
	s_mov_b32 s10, exec_lo
	s_delay_alu instid0(VALU_DEP_2) | instskip(NEXT) | instid1(VALU_DEP_1)
	v_cndmask_b32_e64 v11, v11, 0xffffff82, vcc_lo
	v_add3_u32 v87, v73, v11, v34
	v_and_b32_e32 v11, 0x1fffff, v86
                                        ; implicit-def: $vgpr86
	s_delay_alu instid0(VALU_DEP_1) | instskip(NEXT) | instid1(VALU_DEP_1)
	v_dual_add_nc_u32 v63, 14, v87 :: v_dual_add_nc_u32 v34, v11, v10
                                        ; implicit-def: $vgpr10_vgpr11
	v_cmpx_ne_u32_e32 0, v63
	s_xor_b32 s10, exec_lo, s10
; %bb.6941:                             ;   in Loop: Header=BB2_6167 Depth=2
	s_delay_alu instid0(VALU_DEP_2) | instskip(SKIP_1) | instid1(VALU_DEP_1)
	v_cmp_lt_u64_e32 vcc_lo, 0xffffff, v[34:35]
	v_add_nc_u32_e32 v10, 15, v87
	v_cndmask_b32_e32 v86, v63, v10, vcc_lo
	v_cndmask_b32_e64 v10, 0, 1, vcc_lo
	s_delay_alu instid0(VALU_DEP_1)
	v_lshrrev_b64 v[10:11], v10, v[34:35]
; %bb.6942:                             ;   in Loop: Header=BB2_6167 Depth=2
	s_and_not1_saveexec_b32 s10, s10
; %bb.6943:                             ;   in Loop: Header=BB2_6167 Depth=2
	v_mov_b64_e32 v[10:11], v[34:35]
	v_bfe_u32 v86, v34, 23, 1
; %bb.6944:                             ;   in Loop: Header=BB2_6167 Depth=2
	s_or_b32 exec_lo, exec_lo, s10
	s_delay_alu instid0(VALU_DEP_2) | instskip(NEXT) | instid1(VALU_DEP_2)
	v_lshrrev_b64 v[10:11], 21, v[10:11]
	v_cmp_gt_i32_e32 vcc_lo, 32, v86
	v_min_i32_e32 v34, 31, v86
	v_cmp_eq_u32_e64 s10, 0, v86
	s_delay_alu instid0(VALU_DEP_2) | instskip(SKIP_1) | instid1(VALU_DEP_2)
	v_dual_cndmask_b32 v11, 0, v11 :: v_dual_lshlrev_b32 v34, 2, v34
	v_cndmask_b32_e32 v10, 3, v10, vcc_lo
	v_and_b32_e32 v34, 0xfc, v34
	s_delay_alu instid0(VALU_DEP_2) | instskip(NEXT) | instid1(VALU_DEP_2)
	v_cmp_eq_u64_e32 vcc_lo, 0, v[10:11]
	v_and_or_b32 v10, v10, 3, v34
	s_and_b32 s10, s10, vcc_lo
	s_delay_alu instid0(VALU_DEP_1) | instid1(SALU_CYCLE_1)
	v_cndmask_b32_e64 v10, v10, 0, s10
	s_delay_alu instid0(VALU_DEP_1)
	v_or_b32_e32 v63, v10, v72
.LBB2_6945:                             ;   in Loop: Header=BB2_6167 Depth=2
	s_or_b32 exec_lo, exec_lo, s40
                                        ; implicit-def: $vgpr72
.LBB2_6946:                             ;   in Loop: Header=BB2_6167 Depth=2
	s_and_not1_saveexec_b32 s10, s29
; %bb.6947:                             ;   in Loop: Header=BB2_6167 Depth=2
	v_or_b32_e32 v63, 0x7b, v72
; %bb.6948:                             ;   in Loop: Header=BB2_6167 Depth=2
	s_or_b32 exec_lo, exec_lo, s10
                                        ; implicit-def: $vgpr10
                                        ; implicit-def: $vgpr11
.LBB2_6949:                             ;   in Loop: Header=BB2_6167 Depth=2
	s_and_not1_saveexec_b32 s10, s28
	s_cbranch_execz .LBB2_6955
; %bb.6950:                             ;   in Loop: Header=BB2_6167 Depth=2
	s_mov_b32 s28, exec_lo
                                        ; implicit-def: $vgpr63
	v_cmpx_ne_u64_e32 0, v[34:35]
	s_xor_b32 s28, exec_lo, s28
; %bb.6951:                             ;   in Loop: Header=BB2_6167 Depth=2
	v_or_b32_e32 v63, 0x7f, v11
                                        ; implicit-def: $vgpr10
; %bb.6952:                             ;   in Loop: Header=BB2_6167 Depth=2
	s_and_not1_saveexec_b32 s28, s28
; %bb.6953:                             ;   in Loop: Header=BB2_6167 Depth=2
	v_cmp_lt_i32_e32 vcc_lo, -1, v10
	v_cndmask_b32_e32 v63, 0xfc, v112, vcc_lo
; %bb.6954:                             ;   in Loop: Header=BB2_6167 Depth=2
	s_or_b32 exec_lo, exec_lo, s28
.LBB2_6955:                             ;   in Loop: Header=BB2_6167 Depth=2
	s_delay_alu instid0(SALU_CYCLE_1) | instskip(SKIP_2) | instid1(VALU_DEP_1)
	s_or_b32 exec_lo, exec_lo, s10
	v_dual_lshrrev_b32 v10, 16, v12 :: v_dual_mov_b32 v34, 0
	s_mov_b32 s10, exec_lo
	v_and_b32_e32 v11, 0xff, v10
	s_delay_alu instid0(VALU_DEP_1)
	v_cmpx_ne_u16_e32 0, v11
	s_cbranch_execz .LBB2_6965
; %bb.6956:                             ;   in Loop: Header=BB2_6167 Depth=2
	v_bfrev_b32_e32 v34, 1
	s_mov_b32 s28, exec_lo
	v_cmpx_ne_u16_e32 0x80, v11
	s_cbranch_execz .LBB2_6964
; %bb.6957:                             ;   in Loop: Header=BB2_6167 Depth=2
	v_and_b32_e32 v34, 0x7c0000, v12
	v_bfe_u32 v11, v12, 16, 2
	s_delay_alu instid0(VALU_DEP_2) | instskip(SKIP_1) | instid1(SALU_CYCLE_1)
	v_cmp_ne_u32_e32 vcc_lo, 0x7c0000, v34
                                        ; implicit-def: $vgpr34
	s_and_saveexec_b32 s29, vcc_lo
	s_xor_b32 s29, exec_lo, s29
	s_cbranch_execz .LBB2_6961
; %bb.6958:                             ;   in Loop: Header=BB2_6167 Depth=2
	v_bfe_u32 v34, v12, 18, 5
	s_mov_b32 s40, exec_lo
	s_delay_alu instid0(VALU_DEP_1)
	v_cmpx_eq_u32_e32 0, v34
; %bb.6959:                             ;   in Loop: Header=BB2_6167 Depth=2
	v_clz_i32_u32_e32 v11, v11
	s_delay_alu instid0(VALU_DEP_1) | instskip(NEXT) | instid1(VALU_DEP_1)
	v_min_u32_e32 v11, 32, v11
	v_subrev_nc_u32_e32 v34, 29, v11
	s_delay_alu instid0(VALU_DEP_1) | instskip(NEXT) | instid1(VALU_DEP_1)
	v_lshlrev_b64_e32 v[86:87], v34, v[10:11]
	v_dual_sub_nc_u32 v34, 30, v11 :: v_dual_bitop2_b32 v11, 3, v86 bitop3:0x40
; %bb.6960:                             ;   in Loop: Header=BB2_6167 Depth=2
	s_or_b32 exec_lo, exec_lo, s40
	v_lshlrev_b32_e32 v10, 24, v10
	s_delay_alu instid0(VALU_DEP_1) | instskip(NEXT) | instid1(VALU_DEP_1)
	v_and_b32_e32 v10, 0x80000000, v10
	v_lshl_add_u32 v10, v34, 23, v10
	s_delay_alu instid0(VALU_DEP_1) | instskip(NEXT) | instid1(VALU_DEP_1)
	v_lshl_or_b32 v10, v11, 21, v10
                                        ; implicit-def: $vgpr11
	v_add_nc_u32_e32 v34, 0x38000000, v10
                                        ; implicit-def: $vgpr10
.LBB2_6961:                             ;   in Loop: Header=BB2_6167 Depth=2
	s_and_not1_saveexec_b32 s29, s29
; %bb.6962:                             ;   in Loop: Header=BB2_6167 Depth=2
	v_bfe_i32 v10, v10, 0, 8
	s_delay_alu instid0(VALU_DEP_1) | instskip(SKIP_2) | instid1(VALU_DEP_2)
	v_cmp_lt_i16_e32 vcc_lo, -1, v10
	v_cndmask_b32_e32 v10, 0xff800000, v103, vcc_lo
	v_cmp_eq_u32_e32 vcc_lo, 0, v11
	v_cndmask_b32_e32 v34, 0x7f800001, v10, vcc_lo
; %bb.6963:                             ;   in Loop: Header=BB2_6167 Depth=2
	s_or_b32 exec_lo, exec_lo, s29
.LBB2_6964:                             ;   in Loop: Header=BB2_6167 Depth=2
	s_delay_alu instid0(SALU_CYCLE_1)
	s_or_b32 exec_lo, exec_lo, s28
.LBB2_6965:                             ;   in Loop: Header=BB2_6167 Depth=2
	s_delay_alu instid0(SALU_CYCLE_1) | instskip(NEXT) | instid1(VALU_DEP_1)
	s_or_b32 exec_lo, exec_lo, s10
	v_dual_mul_f32 v10, s27, v34 :: v_dual_mov_b32 v87, v35
                                        ; implicit-def: $vgpr72
	s_mov_b32 s10, exec_lo
	s_delay_alu instid0(VALU_DEP_1) | instskip(SKIP_2) | instid1(VALU_DEP_3)
	v_and_b32_e32 v86, 0x7f800000, v10
	v_and_b32_e32 v34, 0x7fffff, v10
	v_lshrrev_b32_e32 v11, 24, v10
	v_cmpx_ne_u64_e32 0x7f800000, v[86:87]
	s_xor_b32 s28, exec_lo, s10
	s_cbranch_execz .LBB2_6979
; %bb.6966:                             ;   in Loop: Header=BB2_6167 Depth=2
	v_and_b32_e32 v86, 0x7fffffff, v10
	v_mov_b32_e32 v87, v35
	v_and_b32_e32 v73, 0x80, v11
                                        ; implicit-def: $vgpr72
	s_mov_b32 s10, exec_lo
	s_delay_alu instid0(VALU_DEP_2)
	v_cmpx_gt_u64_e32 0x47600001, v[86:87]
	s_xor_b32 s29, exec_lo, s10
	s_cbranch_execz .LBB2_6976
; %bb.6967:                             ;   in Loop: Header=BB2_6167 Depth=2
	v_mov_b32_e32 v72, 0
	s_mov_b32 s40, exec_lo
	v_cmpx_ne_u32_e32 0, v10
	s_cbranch_execz .LBB2_6975
; %bb.6968:                             ;   in Loop: Header=BB2_6167 Depth=2
	v_bfe_u32 v72, v10, 23, 8
	v_or_b32_e32 v86, 0x800000, v34
	s_delay_alu instid0(VALU_DEP_2) | instskip(SKIP_1) | instid1(VALU_DEP_2)
	v_sub_nc_u32_e32 v10, 0x71, v72
	v_cmp_gt_u32_e32 vcc_lo, 0x72, v72
	v_cndmask_b32_e32 v10, 0, v10, vcc_lo
	v_cmp_eq_u32_e32 vcc_lo, 0, v72
	s_delay_alu instid0(VALU_DEP_2) | instskip(SKIP_1) | instid1(VALU_DEP_2)
	v_cndmask_b32_e64 v74, v10, 0x70, vcc_lo
	v_cndmask_b32_e32 v34, v86, v34, vcc_lo
	v_dual_add_nc_u32 v10, 21, v74 :: v_dual_add_nc_u32 v87, 20, v74
	s_delay_alu instid0(VALU_DEP_1) | instskip(NEXT) | instid1(VALU_DEP_2)
	v_lshlrev_b64_e64 v[10:11], v10, -1
	v_lshlrev_b64_e64 v[86:87], v87, 1
	s_delay_alu instid0(VALU_DEP_2) | instskip(NEXT) | instid1(VALU_DEP_3)
	v_bfi_b32 v77, v11, 0, 0
	v_bfi_b32 v76, v10, 0, v34
	v_lshrrev_b64 v[10:11], v74, v[34:35]
	s_delay_alu instid0(VALU_DEP_2) | instskip(NEXT) | instid1(VALU_DEP_2)
	v_cmp_eq_u64_e64 s10, v[76:77], v[86:87]
	v_mov_b64_e32 v[86:87], v[10:11]
	s_and_saveexec_b32 s41, s10
; %bb.6969:                             ;   in Loop: Header=BB2_6167 Depth=2
	v_bfe_u32 v34, v10, 21, 1
	s_delay_alu instid0(VALU_DEP_1) | instskip(NEXT) | instid1(VALU_DEP_1)
	v_add_nc_u64_e32 v[86:87], v[10:11], v[34:35]
	v_add_nc_u64_e32 v[86:87], -1, v[86:87]
; %bb.6970:                             ;   in Loop: Header=BB2_6167 Depth=2
	s_or_b32 exec_lo, exec_lo, s41
	v_add_nc_u32_e32 v11, 0xffffff81, v72
	v_lshrrev_b32_e32 v34, 23, v10
	s_mov_b32 s10, exec_lo
	s_delay_alu instid0(VALU_DEP_2) | instskip(NEXT) | instid1(VALU_DEP_1)
	v_cndmask_b32_e64 v11, v11, 0xffffff82, vcc_lo
	v_add3_u32 v87, v74, v11, v34
	v_and_b32_e32 v11, 0x1fffff, v86
                                        ; implicit-def: $vgpr86
	s_delay_alu instid0(VALU_DEP_1) | instskip(NEXT) | instid1(VALU_DEP_1)
	v_dual_add_nc_u32 v72, 14, v87 :: v_dual_add_nc_u32 v34, v11, v10
                                        ; implicit-def: $vgpr10_vgpr11
	v_cmpx_ne_u32_e32 0, v72
	s_xor_b32 s10, exec_lo, s10
; %bb.6971:                             ;   in Loop: Header=BB2_6167 Depth=2
	s_delay_alu instid0(VALU_DEP_2) | instskip(SKIP_1) | instid1(VALU_DEP_1)
	v_cmp_lt_u64_e32 vcc_lo, 0xffffff, v[34:35]
	v_add_nc_u32_e32 v10, 15, v87
	v_cndmask_b32_e32 v86, v72, v10, vcc_lo
	v_cndmask_b32_e64 v10, 0, 1, vcc_lo
	s_delay_alu instid0(VALU_DEP_1)
	v_lshrrev_b64 v[10:11], v10, v[34:35]
; %bb.6972:                             ;   in Loop: Header=BB2_6167 Depth=2
	s_and_not1_saveexec_b32 s10, s10
; %bb.6973:                             ;   in Loop: Header=BB2_6167 Depth=2
	v_mov_b64_e32 v[10:11], v[34:35]
	v_bfe_u32 v86, v34, 23, 1
; %bb.6974:                             ;   in Loop: Header=BB2_6167 Depth=2
	s_or_b32 exec_lo, exec_lo, s10
	s_delay_alu instid0(VALU_DEP_2) | instskip(NEXT) | instid1(VALU_DEP_2)
	v_lshrrev_b64 v[10:11], 21, v[10:11]
	v_cmp_gt_i32_e32 vcc_lo, 32, v86
	v_min_i32_e32 v34, 31, v86
	v_cmp_eq_u32_e64 s10, 0, v86
	s_delay_alu instid0(VALU_DEP_2) | instskip(SKIP_1) | instid1(VALU_DEP_2)
	v_dual_cndmask_b32 v11, 0, v11 :: v_dual_lshlrev_b32 v34, 2, v34
	v_cndmask_b32_e32 v10, 3, v10, vcc_lo
	v_and_b32_e32 v34, 0xfc, v34
	s_delay_alu instid0(VALU_DEP_2) | instskip(NEXT) | instid1(VALU_DEP_2)
	v_cmp_eq_u64_e32 vcc_lo, 0, v[10:11]
	v_and_or_b32 v10, v10, 3, v34
	s_and_b32 s10, s10, vcc_lo
	s_delay_alu instid0(VALU_DEP_1) | instid1(SALU_CYCLE_1)
	v_cndmask_b32_e64 v10, v10, 0, s10
	s_delay_alu instid0(VALU_DEP_1)
	v_or_b32_e32 v72, v10, v73
.LBB2_6975:                             ;   in Loop: Header=BB2_6167 Depth=2
	s_or_b32 exec_lo, exec_lo, s40
                                        ; implicit-def: $vgpr73
.LBB2_6976:                             ;   in Loop: Header=BB2_6167 Depth=2
	s_and_not1_saveexec_b32 s10, s29
; %bb.6977:                             ;   in Loop: Header=BB2_6167 Depth=2
	v_or_b32_e32 v72, 0x7b, v73
; %bb.6978:                             ;   in Loop: Header=BB2_6167 Depth=2
	s_or_b32 exec_lo, exec_lo, s10
                                        ; implicit-def: $vgpr10
                                        ; implicit-def: $vgpr11
.LBB2_6979:                             ;   in Loop: Header=BB2_6167 Depth=2
	s_and_not1_saveexec_b32 s10, s28
	s_cbranch_execz .LBB2_6985
; %bb.6980:                             ;   in Loop: Header=BB2_6167 Depth=2
	s_mov_b32 s28, exec_lo
                                        ; implicit-def: $vgpr72
	v_cmpx_ne_u64_e32 0, v[34:35]
	s_xor_b32 s28, exec_lo, s28
; %bb.6981:                             ;   in Loop: Header=BB2_6167 Depth=2
	v_or_b32_e32 v72, 0x7f, v11
                                        ; implicit-def: $vgpr10
; %bb.6982:                             ;   in Loop: Header=BB2_6167 Depth=2
	s_and_not1_saveexec_b32 s28, s28
; %bb.6983:                             ;   in Loop: Header=BB2_6167 Depth=2
	v_cmp_lt_i32_e32 vcc_lo, -1, v10
	v_cndmask_b32_e32 v72, 0xfc, v112, vcc_lo
; %bb.6984:                             ;   in Loop: Header=BB2_6167 Depth=2
	s_or_b32 exec_lo, exec_lo, s28
.LBB2_6985:                             ;   in Loop: Header=BB2_6167 Depth=2
	s_delay_alu instid0(SALU_CYCLE_1)
	s_or_b32 exec_lo, exec_lo, s10
	v_mov_b32_e32 v11, 0
	s_mov_b32 s10, exec_lo
	v_cmpx_lt_u32_e32 0xffffff, v12
	s_cbranch_execz .LBB2_6995
; %bb.6986:                             ;   in Loop: Header=BB2_6167 Depth=2
	v_lshrrev_b32_e32 v10, 24, v12
	v_bfrev_b32_e32 v11, 1
	s_mov_b32 s28, exec_lo
	s_delay_alu instid0(VALU_DEP_2)
	v_cmpx_ne_u32_e32 0x80, v10
	s_cbranch_execz .LBB2_6994
; %bb.6987:                             ;   in Loop: Header=BB2_6167 Depth=2
	v_and_b32_e32 v11, 0x7c000000, v12
	v_bfe_u32 v34, v12, 24, 2
	s_delay_alu instid0(VALU_DEP_2) | instskip(SKIP_1) | instid1(SALU_CYCLE_1)
	v_cmp_ne_u32_e32 vcc_lo, 0x7c000000, v11
                                        ; implicit-def: $vgpr11
	s_and_saveexec_b32 s29, vcc_lo
	s_xor_b32 s29, exec_lo, s29
	s_cbranch_execz .LBB2_6991
; %bb.6988:                             ;   in Loop: Header=BB2_6167 Depth=2
	v_bfe_u32 v11, v12, 26, 5
	s_mov_b32 s40, exec_lo
	s_delay_alu instid0(VALU_DEP_1)
	v_cmpx_eq_u32_e32 0, v11
; %bb.6989:                             ;   in Loop: Header=BB2_6167 Depth=2
	v_clz_i32_u32_e32 v11, v34
	s_delay_alu instid0(VALU_DEP_1) | instskip(NEXT) | instid1(VALU_DEP_1)
	v_min_u32_e32 v34, 32, v11
	v_subrev_nc_u32_e32 v11, 29, v34
	s_delay_alu instid0(VALU_DEP_1) | instskip(SKIP_1) | instid1(VALU_DEP_2)
	v_lshlrev_b64_e32 v[10:11], v11, v[10:11]
	v_sub_nc_u32_e32 v11, 30, v34
	v_and_b32_e32 v34, 3, v10
; %bb.6990:                             ;   in Loop: Header=BB2_6167 Depth=2
	s_or_b32 exec_lo, exec_lo, s40
	v_and_b32_e32 v10, 0x80000000, v12
	s_delay_alu instid0(VALU_DEP_1) | instskip(NEXT) | instid1(VALU_DEP_1)
	v_lshl_add_u32 v10, v11, 23, v10
	v_lshl_or_b32 v10, v34, 21, v10
                                        ; implicit-def: $vgpr34
	s_delay_alu instid0(VALU_DEP_1)
	v_add_nc_u32_e32 v11, 0x38000000, v10
.LBB2_6991:                             ;   in Loop: Header=BB2_6167 Depth=2
	s_and_not1_saveexec_b32 s29, s29
; %bb.6992:                             ;   in Loop: Header=BB2_6167 Depth=2
	v_cmp_lt_i32_e32 vcc_lo, -1, v12
	v_cndmask_b32_e32 v10, 0xff800000, v103, vcc_lo
	v_cmp_eq_u32_e32 vcc_lo, 0, v34
	s_delay_alu instid0(VALU_DEP_2)
	v_cndmask_b32_e32 v11, 0x7f800001, v10, vcc_lo
; %bb.6993:                             ;   in Loop: Header=BB2_6167 Depth=2
	s_or_b32 exec_lo, exec_lo, s29
.LBB2_6994:                             ;   in Loop: Header=BB2_6167 Depth=2
	s_delay_alu instid0(SALU_CYCLE_1)
	s_or_b32 exec_lo, exec_lo, s28
.LBB2_6995:                             ;   in Loop: Header=BB2_6167 Depth=2
	s_delay_alu instid0(SALU_CYCLE_1) | instskip(NEXT) | instid1(VALU_DEP_1)
	s_or_b32 exec_lo, exec_lo, s10
	v_dual_mul_f32 v10, s27, v11 :: v_dual_mov_b32 v87, v35
                                        ; implicit-def: $vgpr73
	s_mov_b32 s10, exec_lo
	s_delay_alu instid0(VALU_DEP_1) | instskip(SKIP_2) | instid1(VALU_DEP_3)
	v_and_b32_e32 v86, 0x7f800000, v10
	v_and_b32_e32 v34, 0x7fffff, v10
	v_lshrrev_b32_e32 v11, 24, v10
	v_cmpx_ne_u64_e32 0x7f800000, v[86:87]
	s_xor_b32 s28, exec_lo, s10
	s_cbranch_execz .LBB2_7009
; %bb.6996:                             ;   in Loop: Header=BB2_6167 Depth=2
	v_and_b32_e32 v86, 0x7fffffff, v10
	v_mov_b32_e32 v87, v35
	v_and_b32_e32 v74, 0x80, v11
                                        ; implicit-def: $vgpr73
	s_mov_b32 s10, exec_lo
	s_delay_alu instid0(VALU_DEP_2)
	v_cmpx_gt_u64_e32 0x47600001, v[86:87]
	s_xor_b32 s29, exec_lo, s10
	s_cbranch_execz .LBB2_7006
; %bb.6997:                             ;   in Loop: Header=BB2_6167 Depth=2
	v_mov_b32_e32 v73, 0
	s_mov_b32 s40, exec_lo
	v_cmpx_ne_u32_e32 0, v10
	s_cbranch_execz .LBB2_7005
; %bb.6998:                             ;   in Loop: Header=BB2_6167 Depth=2
	v_bfe_u32 v73, v10, 23, 8
	v_or_b32_e32 v86, 0x800000, v34
	s_delay_alu instid0(VALU_DEP_2) | instskip(SKIP_1) | instid1(VALU_DEP_2)
	v_sub_nc_u32_e32 v10, 0x71, v73
	v_cmp_gt_u32_e32 vcc_lo, 0x72, v73
	v_cndmask_b32_e32 v10, 0, v10, vcc_lo
	v_cmp_eq_u32_e32 vcc_lo, 0, v73
	s_delay_alu instid0(VALU_DEP_2) | instskip(NEXT) | instid1(VALU_DEP_1)
	v_cndmask_b32_e64 v75, v10, 0x70, vcc_lo
	v_dual_cndmask_b32 v34, v86, v34, vcc_lo :: v_dual_add_nc_u32 v10, 21, v75
	v_add_nc_u32_e32 v87, 20, v75
	s_delay_alu instid0(VALU_DEP_2) | instskip(NEXT) | instid1(VALU_DEP_2)
	v_lshlrev_b64_e64 v[10:11], v10, -1
	v_lshlrev_b64_e64 v[86:87], v87, 1
	s_delay_alu instid0(VALU_DEP_2) | instskip(NEXT) | instid1(VALU_DEP_3)
	v_bfi_b32 v77, v11, 0, 0
	v_bfi_b32 v76, v10, 0, v34
	v_lshrrev_b64 v[10:11], v75, v[34:35]
	s_delay_alu instid0(VALU_DEP_2) | instskip(NEXT) | instid1(VALU_DEP_2)
	v_cmp_eq_u64_e64 s10, v[76:77], v[86:87]
	v_mov_b64_e32 v[86:87], v[10:11]
	s_and_saveexec_b32 s41, s10
; %bb.6999:                             ;   in Loop: Header=BB2_6167 Depth=2
	v_bfe_u32 v34, v10, 21, 1
	s_delay_alu instid0(VALU_DEP_1) | instskip(NEXT) | instid1(VALU_DEP_1)
	v_add_nc_u64_e32 v[86:87], v[10:11], v[34:35]
	v_add_nc_u64_e32 v[86:87], -1, v[86:87]
; %bb.7000:                             ;   in Loop: Header=BB2_6167 Depth=2
	s_or_b32 exec_lo, exec_lo, s41
	v_add_nc_u32_e32 v11, 0xffffff81, v73
	v_lshrrev_b32_e32 v34, 23, v10
	s_mov_b32 s10, exec_lo
	s_delay_alu instid0(VALU_DEP_2) | instskip(NEXT) | instid1(VALU_DEP_1)
	v_cndmask_b32_e64 v11, v11, 0xffffff82, vcc_lo
	v_add3_u32 v87, v75, v11, v34
	v_and_b32_e32 v11, 0x1fffff, v86
                                        ; implicit-def: $vgpr86
	s_delay_alu instid0(VALU_DEP_1) | instskip(NEXT) | instid1(VALU_DEP_1)
	v_dual_add_nc_u32 v73, 14, v87 :: v_dual_add_nc_u32 v34, v11, v10
                                        ; implicit-def: $vgpr10_vgpr11
	v_cmpx_ne_u32_e32 0, v73
	s_xor_b32 s10, exec_lo, s10
; %bb.7001:                             ;   in Loop: Header=BB2_6167 Depth=2
	s_delay_alu instid0(VALU_DEP_2) | instskip(SKIP_1) | instid1(VALU_DEP_1)
	v_cmp_lt_u64_e32 vcc_lo, 0xffffff, v[34:35]
	v_add_nc_u32_e32 v10, 15, v87
	v_cndmask_b32_e32 v86, v73, v10, vcc_lo
	v_cndmask_b32_e64 v10, 0, 1, vcc_lo
	s_delay_alu instid0(VALU_DEP_1)
	v_lshrrev_b64 v[10:11], v10, v[34:35]
; %bb.7002:                             ;   in Loop: Header=BB2_6167 Depth=2
	s_and_not1_saveexec_b32 s10, s10
; %bb.7003:                             ;   in Loop: Header=BB2_6167 Depth=2
	v_mov_b64_e32 v[10:11], v[34:35]
	v_bfe_u32 v86, v34, 23, 1
; %bb.7004:                             ;   in Loop: Header=BB2_6167 Depth=2
	s_or_b32 exec_lo, exec_lo, s10
	s_delay_alu instid0(VALU_DEP_2) | instskip(NEXT) | instid1(VALU_DEP_2)
	v_lshrrev_b64 v[10:11], 21, v[10:11]
	v_cmp_gt_i32_e32 vcc_lo, 32, v86
	v_min_i32_e32 v34, 31, v86
	v_cmp_eq_u32_e64 s10, 0, v86
	s_delay_alu instid0(VALU_DEP_2) | instskip(SKIP_1) | instid1(VALU_DEP_2)
	v_dual_cndmask_b32 v11, 0, v11 :: v_dual_lshlrev_b32 v34, 2, v34
	v_cndmask_b32_e32 v10, 3, v10, vcc_lo
	v_and_b32_e32 v34, 0xfc, v34
	s_delay_alu instid0(VALU_DEP_2) | instskip(NEXT) | instid1(VALU_DEP_2)
	v_cmp_eq_u64_e32 vcc_lo, 0, v[10:11]
	v_and_or_b32 v10, v10, 3, v34
	s_and_b32 s10, s10, vcc_lo
	s_delay_alu instid0(VALU_DEP_1) | instid1(SALU_CYCLE_1)
	v_cndmask_b32_e64 v10, v10, 0, s10
	s_delay_alu instid0(VALU_DEP_1)
	v_or_b32_e32 v73, v10, v74
.LBB2_7005:                             ;   in Loop: Header=BB2_6167 Depth=2
	s_or_b32 exec_lo, exec_lo, s40
                                        ; implicit-def: $vgpr74
.LBB2_7006:                             ;   in Loop: Header=BB2_6167 Depth=2
	s_and_not1_saveexec_b32 s10, s29
; %bb.7007:                             ;   in Loop: Header=BB2_6167 Depth=2
	v_or_b32_e32 v73, 0x7b, v74
; %bb.7008:                             ;   in Loop: Header=BB2_6167 Depth=2
	s_or_b32 exec_lo, exec_lo, s10
                                        ; implicit-def: $vgpr10
                                        ; implicit-def: $vgpr11
.LBB2_7009:                             ;   in Loop: Header=BB2_6167 Depth=2
	s_and_not1_saveexec_b32 s10, s28
	s_cbranch_execz .LBB2_7015
; %bb.7010:                             ;   in Loop: Header=BB2_6167 Depth=2
	s_mov_b32 s28, exec_lo
                                        ; implicit-def: $vgpr73
	v_cmpx_ne_u64_e32 0, v[34:35]
	s_xor_b32 s28, exec_lo, s28
; %bb.7011:                             ;   in Loop: Header=BB2_6167 Depth=2
	v_or_b32_e32 v73, 0x7f, v11
                                        ; implicit-def: $vgpr10
; %bb.7012:                             ;   in Loop: Header=BB2_6167 Depth=2
	s_and_not1_saveexec_b32 s28, s28
; %bb.7013:                             ;   in Loop: Header=BB2_6167 Depth=2
	v_cmp_lt_i32_e32 vcc_lo, -1, v10
	v_cndmask_b32_e32 v73, 0xfc, v112, vcc_lo
; %bb.7014:                             ;   in Loop: Header=BB2_6167 Depth=2
	s_or_b32 exec_lo, exec_lo, s28
.LBB2_7015:                             ;   in Loop: Header=BB2_6167 Depth=2
	s_delay_alu instid0(SALU_CYCLE_1) | instskip(SKIP_3) | instid1(VALU_DEP_2)
	s_or_b32 exec_lo, exec_lo, s10
	v_and_b32_e32 v10, 0xff, v13
	v_dual_mov_b32 v34, v13 :: v_dual_mov_b32 v11, 0
	s_mov_b32 s10, exec_lo
	v_cmpx_ne_u16_e32 0, v10
	s_cbranch_execz .LBB2_7025
; %bb.7016:                             ;   in Loop: Header=BB2_6167 Depth=2
	v_bfrev_b32_e32 v11, 1
	s_mov_b32 s28, exec_lo
	v_cmpx_ne_u16_e32 0x80, v10
	s_cbranch_execz .LBB2_7024
; %bb.7017:                             ;   in Loop: Header=BB2_6167 Depth=2
	v_and_b32_e32 v11, 0x7c, v13
	v_and_b32_e32 v10, 3, v13
	s_delay_alu instid0(VALU_DEP_2) | instskip(SKIP_1) | instid1(SALU_CYCLE_1)
	v_cmp_ne_u32_e32 vcc_lo, 0x7c, v11
                                        ; implicit-def: $vgpr11
	s_and_saveexec_b32 s29, vcc_lo
	s_xor_b32 s29, exec_lo, s29
	s_cbranch_execz .LBB2_7021
; %bb.7018:                             ;   in Loop: Header=BB2_6167 Depth=2
	v_bfe_u32 v11, v13, 2, 5
	s_mov_b32 s40, exec_lo
	s_delay_alu instid0(VALU_DEP_1)
	v_cmpx_eq_u32_e32 0, v11
; %bb.7019:                             ;   in Loop: Header=BB2_6167 Depth=2
	v_clz_i32_u32_e32 v10, v10
	s_delay_alu instid0(VALU_DEP_1) | instskip(NEXT) | instid1(VALU_DEP_1)
	v_min_u32_e32 v86, 32, v10
	v_subrev_nc_u32_e32 v10, 29, v86
	s_delay_alu instid0(VALU_DEP_1) | instskip(SKIP_1) | instid1(VALU_DEP_2)
	v_lshlrev_b64_e32 v[10:11], v10, v[34:35]
	v_sub_nc_u32_e32 v11, 30, v86
	v_and_b32_e32 v10, 3, v10
; %bb.7020:                             ;   in Loop: Header=BB2_6167 Depth=2
	s_or_b32 exec_lo, exec_lo, s40
	v_lshlrev_b32_e32 v86, 24, v13
	s_delay_alu instid0(VALU_DEP_1) | instskip(NEXT) | instid1(VALU_DEP_1)
	v_and_b32_e32 v86, 0x80000000, v86
	v_lshl_add_u32 v11, v11, 23, v86
	s_delay_alu instid0(VALU_DEP_1) | instskip(NEXT) | instid1(VALU_DEP_1)
	v_lshl_or_b32 v10, v10, 21, v11
	v_add_nc_u32_e32 v11, 0x38000000, v10
                                        ; implicit-def: $vgpr10
.LBB2_7021:                             ;   in Loop: Header=BB2_6167 Depth=2
	s_and_not1_saveexec_b32 s29, s29
; %bb.7022:                             ;   in Loop: Header=BB2_6167 Depth=2
	v_bfe_i32 v11, v13, 0, 8
	s_delay_alu instid0(VALU_DEP_1) | instskip(SKIP_2) | instid1(VALU_DEP_2)
	v_cmp_lt_i16_e32 vcc_lo, -1, v11
	v_cndmask_b32_e32 v11, 0xff800000, v103, vcc_lo
	v_cmp_eq_u32_e32 vcc_lo, 0, v10
	v_cndmask_b32_e32 v11, 0x7f800001, v11, vcc_lo
; %bb.7023:                             ;   in Loop: Header=BB2_6167 Depth=2
	s_or_b32 exec_lo, exec_lo, s29
.LBB2_7024:                             ;   in Loop: Header=BB2_6167 Depth=2
	s_delay_alu instid0(SALU_CYCLE_1)
	s_or_b32 exec_lo, exec_lo, s28
.LBB2_7025:                             ;   in Loop: Header=BB2_6167 Depth=2
	s_delay_alu instid0(SALU_CYCLE_1) | instskip(NEXT) | instid1(VALU_DEP_1)
	s_or_b32 exec_lo, exec_lo, s10
	v_dual_mul_f32 v86, s27, v11 :: v_dual_mov_b32 v75, v35
	s_delay_alu instid0(VALU_DEP_1) | instskip(SKIP_2) | instid1(VALU_DEP_2)
	v_dual_mov_b32 v11, v35 :: v_dual_lshrrev_b32 v87, 24, v86
	v_and_b32_e32 v74, 0x7f800000, v86
	v_and_b32_e32 v10, 0x7fffff, v86
	v_cmp_ne_u64_e32 vcc_lo, 0x7f800000, v[74:75]
                                        ; implicit-def: $vgpr74
	s_and_saveexec_b32 s10, vcc_lo
	s_delay_alu instid0(SALU_CYCLE_1)
	s_xor_b32 s28, exec_lo, s10
	s_cbranch_execz .LBB2_7039
; %bb.7026:                             ;   in Loop: Header=BB2_6167 Depth=2
	v_and_b32_e32 v74, 0x7fffffff, v86
	v_mov_b32_e32 v75, v35
	s_delay_alu instid0(VALU_DEP_1) | instskip(SKIP_2) | instid1(SALU_CYCLE_1)
	v_cmp_gt_u64_e32 vcc_lo, 0x47600001, v[74:75]
	v_and_b32_e32 v75, 0x80, v87
                                        ; implicit-def: $vgpr74
	s_and_saveexec_b32 s10, vcc_lo
	s_xor_b32 s29, exec_lo, s10
	s_cbranch_execz .LBB2_7036
; %bb.7027:                             ;   in Loop: Header=BB2_6167 Depth=2
	v_mov_b32_e32 v74, 0
	s_mov_b32 s40, exec_lo
	v_cmpx_ne_u32_e32 0, v86
	s_cbranch_execz .LBB2_7035
; %bb.7028:                             ;   in Loop: Header=BB2_6167 Depth=2
	v_bfe_u32 v74, v86, 23, 8
	v_or_b32_e32 v77, 0x800000, v10
	s_delay_alu instid0(VALU_DEP_2) | instskip(SKIP_1) | instid1(VALU_DEP_2)
	v_sub_nc_u32_e32 v86, 0x71, v74
	v_cmp_gt_u32_e32 vcc_lo, 0x72, v74
	v_cndmask_b32_e32 v86, 0, v86, vcc_lo
	v_cmp_eq_u32_e32 vcc_lo, 0, v74
	s_delay_alu instid0(VALU_DEP_2) | instskip(NEXT) | instid1(VALU_DEP_1)
	v_cndmask_b32_e64 v76, v86, 0x70, vcc_lo
	v_dual_cndmask_b32 v10, v77, v10, vcc_lo :: v_dual_add_nc_u32 v86, 21, v76
	v_add_nc_u32_e32 v78, 20, v76
	s_delay_alu instid0(VALU_DEP_2) | instskip(NEXT) | instid1(VALU_DEP_2)
	v_lshlrev_b64_e64 v[86:87], v86, -1
	v_lshlrev_b64_e64 v[78:79], v78, 1
	s_delay_alu instid0(VALU_DEP_2) | instskip(SKIP_1) | instid1(VALU_DEP_4)
	v_bfi_b32 v86, v86, 0, v10
	v_lshrrev_b64 v[10:11], v76, v[10:11]
	v_bfi_b32 v87, v87, 0, 0
	s_delay_alu instid0(VALU_DEP_1) | instskip(NEXT) | instid1(VALU_DEP_3)
	v_cmp_eq_u64_e64 s10, v[86:87], v[78:79]
	v_mov_b64_e32 v[86:87], v[10:11]
	s_and_saveexec_b32 s41, s10
; %bb.7029:                             ;   in Loop: Header=BB2_6167 Depth=2
	v_bfe_u32 v86, v10, 21, 1
	v_mov_b32_e32 v87, v35
	s_delay_alu instid0(VALU_DEP_1) | instskip(NEXT) | instid1(VALU_DEP_1)
	v_add_nc_u64_e32 v[86:87], v[10:11], v[86:87]
	v_add_nc_u64_e32 v[86:87], -1, v[86:87]
; %bb.7030:                             ;   in Loop: Header=BB2_6167 Depth=2
	s_or_b32 exec_lo, exec_lo, s41
	v_add_nc_u32_e32 v11, 0xffffff81, v74
	v_lshrrev_b32_e32 v87, 23, v10
	s_mov_b32 s10, exec_lo
	s_delay_alu instid0(VALU_DEP_2) | instskip(NEXT) | instid1(VALU_DEP_1)
	v_cndmask_b32_e64 v11, v11, 0xffffff82, vcc_lo
	v_add3_u32 v87, v76, v11, v87
	v_and_b32_e32 v11, 0x1fffff, v86
                                        ; implicit-def: $vgpr86
	s_delay_alu instid0(VALU_DEP_1) | instskip(SKIP_1) | instid1(VALU_DEP_2)
	v_dual_add_nc_u32 v74, 14, v87 :: v_dual_add_nc_u32 v10, v11, v10
	v_mov_b32_e32 v11, v35
	v_cmpx_ne_u32_e32 0, v74
	s_xor_b32 s10, exec_lo, s10
; %bb.7031:                             ;   in Loop: Header=BB2_6167 Depth=2
	s_delay_alu instid0(VALU_DEP_2) | instskip(SKIP_2) | instid1(VALU_DEP_2)
	v_cmp_lt_u64_e32 vcc_lo, 0xffffff, v[10:11]
	v_add_nc_u32_e32 v86, 15, v87
	v_cndmask_b32_e64 v87, 0, 1, vcc_lo
	v_cndmask_b32_e32 v86, v74, v86, vcc_lo
	s_delay_alu instid0(VALU_DEP_2)
	v_lshrrev_b64 v[10:11], v87, v[10:11]
; %bb.7032:                             ;   in Loop: Header=BB2_6167 Depth=2
	s_and_not1_saveexec_b32 s10, s10
; %bb.7033:                             ;   in Loop: Header=BB2_6167 Depth=2
	s_delay_alu instid0(VALU_DEP_1)
	v_bfe_u32 v86, v10, 23, 1
; %bb.7034:                             ;   in Loop: Header=BB2_6167 Depth=2
	s_or_b32 exec_lo, exec_lo, s10
	s_delay_alu instid0(VALU_DEP_2) | instskip(NEXT) | instid1(VALU_DEP_2)
	v_lshrrev_b64 v[10:11], 21, v[10:11]
	v_cmp_gt_i32_e32 vcc_lo, 32, v86
	v_min_i32_e32 v87, 31, v86
	v_cmp_eq_u32_e64 s10, 0, v86
	s_delay_alu instid0(VALU_DEP_4) | instskip(NEXT) | instid1(VALU_DEP_3)
	v_cndmask_b32_e32 v11, 0, v11, vcc_lo
	v_dual_cndmask_b32 v10, 3, v10 :: v_dual_lshlrev_b32 v87, 2, v87
	s_delay_alu instid0(VALU_DEP_1) | instskip(NEXT) | instid1(VALU_DEP_2)
	v_and_b32_e32 v87, 0xfc, v87
	v_cmp_eq_u64_e32 vcc_lo, 0, v[10:11]
	s_delay_alu instid0(VALU_DEP_2)
	v_and_or_b32 v10, v10, 3, v87
	s_and_b32 s10, s10, vcc_lo
	s_delay_alu instid0(VALU_DEP_1) | instid1(SALU_CYCLE_1)
	v_cndmask_b32_e64 v10, v10, 0, s10
	s_delay_alu instid0(VALU_DEP_1)
	v_or_b32_e32 v74, v10, v75
.LBB2_7035:                             ;   in Loop: Header=BB2_6167 Depth=2
	s_or_b32 exec_lo, exec_lo, s40
                                        ; implicit-def: $vgpr75
.LBB2_7036:                             ;   in Loop: Header=BB2_6167 Depth=2
	s_and_not1_saveexec_b32 s10, s29
; %bb.7037:                             ;   in Loop: Header=BB2_6167 Depth=2
	v_or_b32_e32 v74, 0x7b, v75
; %bb.7038:                             ;   in Loop: Header=BB2_6167 Depth=2
	s_or_b32 exec_lo, exec_lo, s10
                                        ; implicit-def: $vgpr86
                                        ; implicit-def: $vgpr10_vgpr11
                                        ; implicit-def: $vgpr87
.LBB2_7039:                             ;   in Loop: Header=BB2_6167 Depth=2
	s_and_not1_saveexec_b32 s10, s28
	s_cbranch_execz .LBB2_7045
; %bb.7040:                             ;   in Loop: Header=BB2_6167 Depth=2
	s_mov_b32 s28, exec_lo
                                        ; implicit-def: $vgpr74
	v_cmpx_ne_u64_e32 0, v[10:11]
	s_xor_b32 s28, exec_lo, s28
; %bb.7041:                             ;   in Loop: Header=BB2_6167 Depth=2
	v_or_b32_e32 v74, 0x7f, v87
                                        ; implicit-def: $vgpr86
; %bb.7042:                             ;   in Loop: Header=BB2_6167 Depth=2
	s_and_not1_saveexec_b32 s28, s28
; %bb.7043:                             ;   in Loop: Header=BB2_6167 Depth=2
	v_cmp_lt_i32_e32 vcc_lo, -1, v86
	v_cndmask_b32_e32 v74, 0xfc, v112, vcc_lo
; %bb.7044:                             ;   in Loop: Header=BB2_6167 Depth=2
	s_or_b32 exec_lo, exec_lo, s28
.LBB2_7045:                             ;   in Loop: Header=BB2_6167 Depth=2
	s_delay_alu instid0(SALU_CYCLE_1) | instskip(SKIP_3) | instid1(VALU_DEP_2)
	s_or_b32 exec_lo, exec_lo, s10
	v_lshrrev_b16 v10, 8, v34
	v_mov_b32_e32 v86, 0
	s_mov_b32 s10, exec_lo
	v_cmpx_ne_u16_e32 0, v10
	s_cbranch_execz .LBB2_7055
; %bb.7046:                             ;   in Loop: Header=BB2_6167 Depth=2
	v_bfrev_b32_e32 v86, 1
	s_mov_b32 s28, exec_lo
	v_cmpx_ne_u16_e32 0x80, v10
	s_cbranch_execz .LBB2_7054
; %bb.7047:                             ;   in Loop: Header=BB2_6167 Depth=2
	v_and_b32_e32 v87, 0xffff, v10
	s_delay_alu instid0(VALU_DEP_1) | instskip(SKIP_1) | instid1(VALU_DEP_2)
	v_and_b32_e32 v86, 0x7c, v87
	v_and_b32_e32 v11, 3, v87
	v_cmp_ne_u32_e32 vcc_lo, 0x7c, v86
                                        ; implicit-def: $vgpr86
	s_and_saveexec_b32 s29, vcc_lo
	s_delay_alu instid0(SALU_CYCLE_1)
	s_xor_b32 s29, exec_lo, s29
	s_cbranch_execz .LBB2_7051
; %bb.7048:                             ;   in Loop: Header=BB2_6167 Depth=2
	v_bfe_u32 v86, v87, 2, 5
	s_mov_b32 s40, exec_lo
	s_delay_alu instid0(VALU_DEP_1)
	v_cmpx_eq_u32_e32 0, v86
	s_cbranch_execz .LBB2_7050
; %bb.7049:                             ;   in Loop: Header=BB2_6167 Depth=2
	v_clz_i32_u32_e32 v11, v11
	s_delay_alu instid0(VALU_DEP_1) | instskip(SKIP_1) | instid1(VALU_DEP_2)
	v_min_u32_e32 v86, 32, v11
	v_mov_b32_e32 v11, v35
	v_subrev_nc_u32_e32 v87, 29, v86
	v_sub_nc_u32_e32 v86, 30, v86
	s_delay_alu instid0(VALU_DEP_2) | instskip(NEXT) | instid1(VALU_DEP_1)
	v_lshlrev_b64_e32 v[10:11], v87, v[10:11]
	v_and_b32_e32 v11, 3, v10
.LBB2_7050:                             ;   in Loop: Header=BB2_6167 Depth=2
	s_or_b32 exec_lo, exec_lo, s40
	v_lshlrev_b32_e32 v10, 16, v34
	s_delay_alu instid0(VALU_DEP_1) | instskip(NEXT) | instid1(VALU_DEP_1)
	v_and_b32_e32 v10, 0x80000000, v10
	v_lshl_add_u32 v10, v86, 23, v10
	s_delay_alu instid0(VALU_DEP_1) | instskip(NEXT) | instid1(VALU_DEP_1)
	v_lshl_or_b32 v10, v11, 21, v10
                                        ; implicit-def: $vgpr11
	v_add_nc_u32_e32 v86, 0x38000000, v10
.LBB2_7051:                             ;   in Loop: Header=BB2_6167 Depth=2
	s_and_not1_saveexec_b32 s29, s29
; %bb.7052:                             ;   in Loop: Header=BB2_6167 Depth=2
	v_cmp_lt_i16_e32 vcc_lo, -1, v34
	v_cndmask_b32_e32 v10, 0xff800000, v103, vcc_lo
	v_cmp_eq_u32_e32 vcc_lo, 0, v11
	s_delay_alu instid0(VALU_DEP_2)
	v_cndmask_b32_e32 v86, 0x7f800001, v10, vcc_lo
; %bb.7053:                             ;   in Loop: Header=BB2_6167 Depth=2
	s_or_b32 exec_lo, exec_lo, s29
.LBB2_7054:                             ;   in Loop: Header=BB2_6167 Depth=2
	s_delay_alu instid0(SALU_CYCLE_1)
	s_or_b32 exec_lo, exec_lo, s28
.LBB2_7055:                             ;   in Loop: Header=BB2_6167 Depth=2
	s_delay_alu instid0(SALU_CYCLE_1) | instskip(NEXT) | instid1(VALU_DEP_1)
	s_or_b32 exec_lo, exec_lo, s10
	v_dual_mul_f32 v10, s27, v86 :: v_dual_mov_b32 v87, v35
                                        ; implicit-def: $vgpr75
	s_mov_b32 s10, exec_lo
	s_delay_alu instid0(VALU_DEP_1) | instskip(SKIP_2) | instid1(VALU_DEP_3)
	v_and_b32_e32 v86, 0x7f800000, v10
	v_and_b32_e32 v34, 0x7fffff, v10
	v_lshrrev_b32_e32 v11, 24, v10
	v_cmpx_ne_u64_e32 0x7f800000, v[86:87]
	s_xor_b32 s28, exec_lo, s10
	s_cbranch_execz .LBB2_7069
; %bb.7056:                             ;   in Loop: Header=BB2_6167 Depth=2
	v_and_b32_e32 v86, 0x7fffffff, v10
	v_mov_b32_e32 v87, v35
	v_and_b32_e32 v76, 0x80, v11
                                        ; implicit-def: $vgpr75
	s_mov_b32 s10, exec_lo
	s_delay_alu instid0(VALU_DEP_2)
	v_cmpx_gt_u64_e32 0x47600001, v[86:87]
	s_xor_b32 s29, exec_lo, s10
	s_cbranch_execz .LBB2_7066
; %bb.7057:                             ;   in Loop: Header=BB2_6167 Depth=2
	v_mov_b32_e32 v75, 0
	s_mov_b32 s40, exec_lo
	v_cmpx_ne_u32_e32 0, v10
	s_cbranch_execz .LBB2_7065
; %bb.7058:                             ;   in Loop: Header=BB2_6167 Depth=2
	v_bfe_u32 v75, v10, 23, 8
	v_or_b32_e32 v86, 0x800000, v34
	s_delay_alu instid0(VALU_DEP_2) | instskip(SKIP_1) | instid1(VALU_DEP_2)
	v_sub_nc_u32_e32 v10, 0x71, v75
	v_cmp_gt_u32_e32 vcc_lo, 0x72, v75
	v_cndmask_b32_e32 v10, 0, v10, vcc_lo
	v_cmp_eq_u32_e32 vcc_lo, 0, v75
	s_delay_alu instid0(VALU_DEP_2) | instskip(NEXT) | instid1(VALU_DEP_1)
	v_cndmask_b32_e64 v77, v10, 0x70, vcc_lo
	v_dual_cndmask_b32 v34, v86, v34, vcc_lo :: v_dual_add_nc_u32 v10, 21, v77
	v_add_nc_u32_e32 v87, 20, v77
	s_delay_alu instid0(VALU_DEP_2) | instskip(NEXT) | instid1(VALU_DEP_2)
	v_lshlrev_b64_e64 v[10:11], v10, -1
	v_lshlrev_b64_e64 v[86:87], v87, 1
	s_delay_alu instid0(VALU_DEP_2) | instskip(NEXT) | instid1(VALU_DEP_3)
	v_bfi_b32 v79, v11, 0, 0
	v_bfi_b32 v78, v10, 0, v34
	v_lshrrev_b64 v[10:11], v77, v[34:35]
	s_delay_alu instid0(VALU_DEP_2) | instskip(NEXT) | instid1(VALU_DEP_2)
	v_cmp_eq_u64_e64 s10, v[78:79], v[86:87]
	v_mov_b64_e32 v[86:87], v[10:11]
	s_and_saveexec_b32 s41, s10
; %bb.7059:                             ;   in Loop: Header=BB2_6167 Depth=2
	v_bfe_u32 v34, v10, 21, 1
	s_delay_alu instid0(VALU_DEP_1) | instskip(NEXT) | instid1(VALU_DEP_1)
	v_add_nc_u64_e32 v[86:87], v[10:11], v[34:35]
	v_add_nc_u64_e32 v[86:87], -1, v[86:87]
; %bb.7060:                             ;   in Loop: Header=BB2_6167 Depth=2
	s_or_b32 exec_lo, exec_lo, s41
	v_add_nc_u32_e32 v11, 0xffffff81, v75
	v_lshrrev_b32_e32 v34, 23, v10
	s_mov_b32 s10, exec_lo
	s_delay_alu instid0(VALU_DEP_2) | instskip(NEXT) | instid1(VALU_DEP_1)
	v_cndmask_b32_e64 v11, v11, 0xffffff82, vcc_lo
	v_add3_u32 v87, v77, v11, v34
	v_and_b32_e32 v11, 0x1fffff, v86
                                        ; implicit-def: $vgpr86
	s_delay_alu instid0(VALU_DEP_1) | instskip(NEXT) | instid1(VALU_DEP_1)
	v_dual_add_nc_u32 v75, 14, v87 :: v_dual_add_nc_u32 v34, v11, v10
                                        ; implicit-def: $vgpr10_vgpr11
	v_cmpx_ne_u32_e32 0, v75
	s_xor_b32 s10, exec_lo, s10
; %bb.7061:                             ;   in Loop: Header=BB2_6167 Depth=2
	s_delay_alu instid0(VALU_DEP_2) | instskip(SKIP_1) | instid1(VALU_DEP_1)
	v_cmp_lt_u64_e32 vcc_lo, 0xffffff, v[34:35]
	v_add_nc_u32_e32 v10, 15, v87
	v_cndmask_b32_e32 v86, v75, v10, vcc_lo
	v_cndmask_b32_e64 v10, 0, 1, vcc_lo
	s_delay_alu instid0(VALU_DEP_1)
	v_lshrrev_b64 v[10:11], v10, v[34:35]
; %bb.7062:                             ;   in Loop: Header=BB2_6167 Depth=2
	s_and_not1_saveexec_b32 s10, s10
; %bb.7063:                             ;   in Loop: Header=BB2_6167 Depth=2
	v_mov_b64_e32 v[10:11], v[34:35]
	v_bfe_u32 v86, v34, 23, 1
; %bb.7064:                             ;   in Loop: Header=BB2_6167 Depth=2
	s_or_b32 exec_lo, exec_lo, s10
	s_delay_alu instid0(VALU_DEP_2) | instskip(NEXT) | instid1(VALU_DEP_2)
	v_lshrrev_b64 v[10:11], 21, v[10:11]
	v_cmp_gt_i32_e32 vcc_lo, 32, v86
	v_min_i32_e32 v34, 31, v86
	v_cmp_eq_u32_e64 s10, 0, v86
	s_delay_alu instid0(VALU_DEP_2) | instskip(SKIP_1) | instid1(VALU_DEP_2)
	v_dual_cndmask_b32 v11, 0, v11 :: v_dual_lshlrev_b32 v34, 2, v34
	v_cndmask_b32_e32 v10, 3, v10, vcc_lo
	v_and_b32_e32 v34, 0xfc, v34
	s_delay_alu instid0(VALU_DEP_2) | instskip(NEXT) | instid1(VALU_DEP_2)
	v_cmp_eq_u64_e32 vcc_lo, 0, v[10:11]
	v_and_or_b32 v10, v10, 3, v34
	s_and_b32 s10, s10, vcc_lo
	s_delay_alu instid0(VALU_DEP_1) | instid1(SALU_CYCLE_1)
	v_cndmask_b32_e64 v10, v10, 0, s10
	s_delay_alu instid0(VALU_DEP_1)
	v_or_b32_e32 v75, v10, v76
.LBB2_7065:                             ;   in Loop: Header=BB2_6167 Depth=2
	s_or_b32 exec_lo, exec_lo, s40
                                        ; implicit-def: $vgpr76
.LBB2_7066:                             ;   in Loop: Header=BB2_6167 Depth=2
	s_and_not1_saveexec_b32 s10, s29
; %bb.7067:                             ;   in Loop: Header=BB2_6167 Depth=2
	v_or_b32_e32 v75, 0x7b, v76
; %bb.7068:                             ;   in Loop: Header=BB2_6167 Depth=2
	s_or_b32 exec_lo, exec_lo, s10
                                        ; implicit-def: $vgpr10
                                        ; implicit-def: $vgpr11
.LBB2_7069:                             ;   in Loop: Header=BB2_6167 Depth=2
	s_and_not1_saveexec_b32 s10, s28
	s_cbranch_execz .LBB2_7075
; %bb.7070:                             ;   in Loop: Header=BB2_6167 Depth=2
	s_mov_b32 s28, exec_lo
                                        ; implicit-def: $vgpr75
	v_cmpx_ne_u64_e32 0, v[34:35]
	s_xor_b32 s28, exec_lo, s28
; %bb.7071:                             ;   in Loop: Header=BB2_6167 Depth=2
	v_or_b32_e32 v75, 0x7f, v11
                                        ; implicit-def: $vgpr10
; %bb.7072:                             ;   in Loop: Header=BB2_6167 Depth=2
	s_and_not1_saveexec_b32 s28, s28
; %bb.7073:                             ;   in Loop: Header=BB2_6167 Depth=2
	v_cmp_lt_i32_e32 vcc_lo, -1, v10
	v_cndmask_b32_e32 v75, 0xfc, v112, vcc_lo
; %bb.7074:                             ;   in Loop: Header=BB2_6167 Depth=2
	s_or_b32 exec_lo, exec_lo, s28
.LBB2_7075:                             ;   in Loop: Header=BB2_6167 Depth=2
	s_delay_alu instid0(SALU_CYCLE_1) | instskip(SKIP_2) | instid1(VALU_DEP_1)
	s_or_b32 exec_lo, exec_lo, s10
	v_dual_lshrrev_b32 v10, 16, v13 :: v_dual_mov_b32 v34, 0
	s_mov_b32 s10, exec_lo
	v_and_b32_e32 v11, 0xff, v10
	s_delay_alu instid0(VALU_DEP_1)
	v_cmpx_ne_u16_e32 0, v11
	s_cbranch_execz .LBB2_7085
; %bb.7076:                             ;   in Loop: Header=BB2_6167 Depth=2
	v_bfrev_b32_e32 v34, 1
	s_mov_b32 s28, exec_lo
	v_cmpx_ne_u16_e32 0x80, v11
	s_cbranch_execz .LBB2_7084
; %bb.7077:                             ;   in Loop: Header=BB2_6167 Depth=2
	v_and_b32_e32 v34, 0x7c0000, v13
	v_bfe_u32 v11, v13, 16, 2
	s_delay_alu instid0(VALU_DEP_2) | instskip(SKIP_1) | instid1(SALU_CYCLE_1)
	v_cmp_ne_u32_e32 vcc_lo, 0x7c0000, v34
                                        ; implicit-def: $vgpr34
	s_and_saveexec_b32 s29, vcc_lo
	s_xor_b32 s29, exec_lo, s29
	s_cbranch_execz .LBB2_7081
; %bb.7078:                             ;   in Loop: Header=BB2_6167 Depth=2
	v_bfe_u32 v34, v13, 18, 5
	s_mov_b32 s40, exec_lo
	s_delay_alu instid0(VALU_DEP_1)
	v_cmpx_eq_u32_e32 0, v34
; %bb.7079:                             ;   in Loop: Header=BB2_6167 Depth=2
	v_clz_i32_u32_e32 v11, v11
	s_delay_alu instid0(VALU_DEP_1) | instskip(NEXT) | instid1(VALU_DEP_1)
	v_min_u32_e32 v11, 32, v11
	v_subrev_nc_u32_e32 v34, 29, v11
	s_delay_alu instid0(VALU_DEP_1) | instskip(NEXT) | instid1(VALU_DEP_1)
	v_lshlrev_b64_e32 v[86:87], v34, v[10:11]
	v_dual_sub_nc_u32 v34, 30, v11 :: v_dual_bitop2_b32 v11, 3, v86 bitop3:0x40
; %bb.7080:                             ;   in Loop: Header=BB2_6167 Depth=2
	s_or_b32 exec_lo, exec_lo, s40
	v_lshlrev_b32_e32 v10, 24, v10
	s_delay_alu instid0(VALU_DEP_1) | instskip(NEXT) | instid1(VALU_DEP_1)
	v_and_b32_e32 v10, 0x80000000, v10
	v_lshl_add_u32 v10, v34, 23, v10
	s_delay_alu instid0(VALU_DEP_1) | instskip(NEXT) | instid1(VALU_DEP_1)
	v_lshl_or_b32 v10, v11, 21, v10
                                        ; implicit-def: $vgpr11
	v_add_nc_u32_e32 v34, 0x38000000, v10
                                        ; implicit-def: $vgpr10
.LBB2_7081:                             ;   in Loop: Header=BB2_6167 Depth=2
	s_and_not1_saveexec_b32 s29, s29
; %bb.7082:                             ;   in Loop: Header=BB2_6167 Depth=2
	v_bfe_i32 v10, v10, 0, 8
	s_delay_alu instid0(VALU_DEP_1) | instskip(SKIP_2) | instid1(VALU_DEP_2)
	v_cmp_lt_i16_e32 vcc_lo, -1, v10
	v_cndmask_b32_e32 v10, 0xff800000, v103, vcc_lo
	v_cmp_eq_u32_e32 vcc_lo, 0, v11
	v_cndmask_b32_e32 v34, 0x7f800001, v10, vcc_lo
; %bb.7083:                             ;   in Loop: Header=BB2_6167 Depth=2
	s_or_b32 exec_lo, exec_lo, s29
.LBB2_7084:                             ;   in Loop: Header=BB2_6167 Depth=2
	s_delay_alu instid0(SALU_CYCLE_1)
	s_or_b32 exec_lo, exec_lo, s28
.LBB2_7085:                             ;   in Loop: Header=BB2_6167 Depth=2
	s_delay_alu instid0(SALU_CYCLE_1) | instskip(NEXT) | instid1(VALU_DEP_1)
	s_or_b32 exec_lo, exec_lo, s10
	v_dual_mul_f32 v10, s27, v34 :: v_dual_mov_b32 v87, v35
	s_delay_alu instid0(VALU_DEP_1) | instskip(SKIP_2) | instid1(VALU_DEP_3)
	v_and_b32_e32 v86, 0x7f800000, v10
	v_and_b32_e32 v34, 0x7fffff, v10
	v_lshrrev_b32_e32 v11, 24, v10
	v_cmp_ne_u64_e32 vcc_lo, 0x7f800000, v[86:87]
                                        ; implicit-def: $vgpr86
	s_and_saveexec_b32 s10, vcc_lo
	s_delay_alu instid0(SALU_CYCLE_1)
	s_xor_b32 s28, exec_lo, s10
	s_cbranch_execz .LBB2_7099
; %bb.7086:                             ;   in Loop: Header=BB2_6167 Depth=2
	v_and_b32_e32 v86, 0x7fffffff, v10
	v_mov_b32_e32 v87, v35
	v_and_b32_e32 v76, 0x80, v11
	s_delay_alu instid0(VALU_DEP_2) | instskip(SKIP_1) | instid1(SALU_CYCLE_1)
	v_cmp_gt_u64_e32 vcc_lo, 0x47600001, v[86:87]
                                        ; implicit-def: $vgpr86
	s_and_saveexec_b32 s10, vcc_lo
	s_xor_b32 s29, exec_lo, s10
	s_cbranch_execz .LBB2_7096
; %bb.7087:                             ;   in Loop: Header=BB2_6167 Depth=2
	v_mov_b32_e32 v86, 0
	s_mov_b32 s40, exec_lo
	v_cmpx_ne_u32_e32 0, v10
	s_cbranch_execz .LBB2_7095
; %bb.7088:                             ;   in Loop: Header=BB2_6167 Depth=2
	v_bfe_u32 v77, v10, 23, 8
	v_or_b32_e32 v86, 0x800000, v34
	s_delay_alu instid0(VALU_DEP_2) | instskip(SKIP_1) | instid1(VALU_DEP_2)
	v_sub_nc_u32_e32 v10, 0x71, v77
	v_cmp_gt_u32_e32 vcc_lo, 0x72, v77
	v_cndmask_b32_e32 v10, 0, v10, vcc_lo
	v_cmp_eq_u32_e32 vcc_lo, 0, v77
	s_delay_alu instid0(VALU_DEP_2) | instskip(SKIP_1) | instid1(VALU_DEP_2)
	v_cndmask_b32_e64 v78, v10, 0x70, vcc_lo
	v_cndmask_b32_e32 v34, v86, v34, vcc_lo
	v_dual_add_nc_u32 v10, 21, v78 :: v_dual_add_nc_u32 v87, 20, v78
	s_delay_alu instid0(VALU_DEP_1) | instskip(NEXT) | instid1(VALU_DEP_2)
	v_lshlrev_b64_e64 v[10:11], v10, -1
	v_lshlrev_b64_e64 v[86:87], v87, 1
	s_delay_alu instid0(VALU_DEP_2) | instskip(NEXT) | instid1(VALU_DEP_3)
	v_bfi_b32 v89, v11, 0, 0
	v_bfi_b32 v88, v10, 0, v34
	v_lshrrev_b64 v[10:11], v78, v[34:35]
	s_delay_alu instid0(VALU_DEP_2) | instskip(NEXT) | instid1(VALU_DEP_2)
	v_cmp_eq_u64_e64 s10, v[88:89], v[86:87]
	v_mov_b64_e32 v[86:87], v[10:11]
	s_and_saveexec_b32 s41, s10
; %bb.7089:                             ;   in Loop: Header=BB2_6167 Depth=2
	v_bfe_u32 v34, v10, 21, 1
	s_delay_alu instid0(VALU_DEP_1) | instskip(NEXT) | instid1(VALU_DEP_1)
	v_add_nc_u64_e32 v[86:87], v[10:11], v[34:35]
	v_add_nc_u64_e32 v[86:87], -1, v[86:87]
; %bb.7090:                             ;   in Loop: Header=BB2_6167 Depth=2
	s_or_b32 exec_lo, exec_lo, s41
	v_add_nc_u32_e32 v11, 0xffffff81, v77
	v_lshrrev_b32_e32 v34, 23, v10
	s_mov_b32 s10, exec_lo
	s_delay_alu instid0(VALU_DEP_2) | instskip(NEXT) | instid1(VALU_DEP_1)
	v_cndmask_b32_e64 v11, v11, 0xffffff82, vcc_lo
	v_add3_u32 v87, v78, v11, v34
	v_and_b32_e32 v11, 0x1fffff, v86
                                        ; implicit-def: $vgpr86
	s_delay_alu instid0(VALU_DEP_1) | instskip(NEXT) | instid1(VALU_DEP_1)
	v_dual_add_nc_u32 v77, 14, v87 :: v_dual_add_nc_u32 v34, v11, v10
                                        ; implicit-def: $vgpr10_vgpr11
	v_cmpx_ne_u32_e32 0, v77
	s_xor_b32 s10, exec_lo, s10
; %bb.7091:                             ;   in Loop: Header=BB2_6167 Depth=2
	s_delay_alu instid0(VALU_DEP_2) | instskip(SKIP_1) | instid1(VALU_DEP_1)
	v_cmp_lt_u64_e32 vcc_lo, 0xffffff, v[34:35]
	v_add_nc_u32_e32 v10, 15, v87
	v_cndmask_b32_e32 v86, v77, v10, vcc_lo
	v_cndmask_b32_e64 v10, 0, 1, vcc_lo
	s_delay_alu instid0(VALU_DEP_1)
	v_lshrrev_b64 v[10:11], v10, v[34:35]
; %bb.7092:                             ;   in Loop: Header=BB2_6167 Depth=2
	s_and_not1_saveexec_b32 s10, s10
; %bb.7093:                             ;   in Loop: Header=BB2_6167 Depth=2
	v_mov_b64_e32 v[10:11], v[34:35]
	v_bfe_u32 v86, v34, 23, 1
; %bb.7094:                             ;   in Loop: Header=BB2_6167 Depth=2
	s_or_b32 exec_lo, exec_lo, s10
	s_delay_alu instid0(VALU_DEP_2) | instskip(NEXT) | instid1(VALU_DEP_2)
	v_lshrrev_b64 v[10:11], 21, v[10:11]
	v_cmp_gt_i32_e32 vcc_lo, 32, v86
	v_min_i32_e32 v34, 31, v86
	v_cmp_eq_u32_e64 s10, 0, v86
	s_delay_alu instid0(VALU_DEP_2) | instskip(SKIP_1) | instid1(VALU_DEP_2)
	v_dual_cndmask_b32 v11, 0, v11 :: v_dual_lshlrev_b32 v34, 2, v34
	v_cndmask_b32_e32 v10, 3, v10, vcc_lo
	v_and_b32_e32 v34, 0xfc, v34
	s_delay_alu instid0(VALU_DEP_2) | instskip(NEXT) | instid1(VALU_DEP_2)
	v_cmp_eq_u64_e32 vcc_lo, 0, v[10:11]
	v_and_or_b32 v10, v10, 3, v34
	s_and_b32 s10, s10, vcc_lo
	s_delay_alu instid0(VALU_DEP_1) | instid1(SALU_CYCLE_1)
	v_cndmask_b32_e64 v10, v10, 0, s10
	s_delay_alu instid0(VALU_DEP_1)
	v_or_b32_e32 v86, v10, v76
.LBB2_7095:                             ;   in Loop: Header=BB2_6167 Depth=2
	s_or_b32 exec_lo, exec_lo, s40
                                        ; implicit-def: $vgpr76
.LBB2_7096:                             ;   in Loop: Header=BB2_6167 Depth=2
	s_and_not1_saveexec_b32 s10, s29
; %bb.7097:                             ;   in Loop: Header=BB2_6167 Depth=2
	v_or_b32_e32 v86, 0x7b, v76
; %bb.7098:                             ;   in Loop: Header=BB2_6167 Depth=2
	s_or_b32 exec_lo, exec_lo, s10
                                        ; implicit-def: $vgpr10
                                        ; implicit-def: $vgpr11
.LBB2_7099:                             ;   in Loop: Header=BB2_6167 Depth=2
	s_and_not1_saveexec_b32 s10, s28
	s_cbranch_execz .LBB2_7105
; %bb.7100:                             ;   in Loop: Header=BB2_6167 Depth=2
	s_mov_b32 s28, exec_lo
                                        ; implicit-def: $vgpr86
	v_cmpx_ne_u64_e32 0, v[34:35]
	s_xor_b32 s28, exec_lo, s28
; %bb.7101:                             ;   in Loop: Header=BB2_6167 Depth=2
	v_or_b32_e32 v86, 0x7f, v11
                                        ; implicit-def: $vgpr10
; %bb.7102:                             ;   in Loop: Header=BB2_6167 Depth=2
	s_and_not1_saveexec_b32 s28, s28
; %bb.7103:                             ;   in Loop: Header=BB2_6167 Depth=2
	v_cmp_lt_i32_e32 vcc_lo, -1, v10
	v_cndmask_b32_e32 v86, 0xfc, v112, vcc_lo
; %bb.7104:                             ;   in Loop: Header=BB2_6167 Depth=2
	s_or_b32 exec_lo, exec_lo, s28
.LBB2_7105:                             ;   in Loop: Header=BB2_6167 Depth=2
	s_delay_alu instid0(SALU_CYCLE_1)
	s_or_b32 exec_lo, exec_lo, s10
	v_mov_b32_e32 v11, 0
	s_mov_b32 s10, exec_lo
	v_cmpx_lt_u64_e64 s[12:13], v[12:13]
	s_cbranch_execz .LBB2_7115
; %bb.7106:                             ;   in Loop: Header=BB2_6167 Depth=2
	v_lshrrev_b32_e32 v10, 24, v13
	v_bfrev_b32_e32 v11, 1
	s_mov_b32 s28, exec_lo
	s_delay_alu instid0(VALU_DEP_2)
	v_cmpx_ne_u32_e32 0x80, v10
	s_cbranch_execz .LBB2_7114
; %bb.7107:                             ;   in Loop: Header=BB2_6167 Depth=2
	v_and_b32_e32 v11, 0x7c000000, v13
	v_bfe_u32 v34, v13, 24, 2
	s_delay_alu instid0(VALU_DEP_2) | instskip(SKIP_1) | instid1(SALU_CYCLE_1)
	v_cmp_ne_u32_e32 vcc_lo, 0x7c000000, v11
                                        ; implicit-def: $vgpr11
	s_and_saveexec_b32 s29, vcc_lo
	s_xor_b32 s29, exec_lo, s29
	s_cbranch_execz .LBB2_7111
; %bb.7108:                             ;   in Loop: Header=BB2_6167 Depth=2
	v_bfe_u32 v11, v13, 26, 5
	s_mov_b32 s40, exec_lo
	s_delay_alu instid0(VALU_DEP_1)
	v_cmpx_eq_u32_e32 0, v11
; %bb.7109:                             ;   in Loop: Header=BB2_6167 Depth=2
	v_clz_i32_u32_e32 v11, v34
	s_delay_alu instid0(VALU_DEP_1) | instskip(NEXT) | instid1(VALU_DEP_1)
	v_min_u32_e32 v12, 32, v11
	v_subrev_nc_u32_e32 v11, 29, v12
	s_delay_alu instid0(VALU_DEP_1) | instskip(NEXT) | instid1(VALU_DEP_1)
	v_lshlrev_b64_e32 v[10:11], v11, v[10:11]
	v_dual_sub_nc_u32 v11, 30, v12 :: v_dual_bitop2_b32 v34, 3, v10 bitop3:0x40
; %bb.7110:                             ;   in Loop: Header=BB2_6167 Depth=2
	s_or_b32 exec_lo, exec_lo, s40
	v_and_b32_e32 v10, 0x80000000, v13
                                        ; implicit-def: $vgpr12_vgpr13
	s_delay_alu instid0(VALU_DEP_1) | instskip(NEXT) | instid1(VALU_DEP_1)
	v_lshl_add_u32 v10, v11, 23, v10
	v_lshl_or_b32 v10, v34, 21, v10
                                        ; implicit-def: $vgpr34
	s_delay_alu instid0(VALU_DEP_1)
	v_add_nc_u32_e32 v11, 0x38000000, v10
.LBB2_7111:                             ;   in Loop: Header=BB2_6167 Depth=2
	s_and_not1_saveexec_b32 s29, s29
; %bb.7112:                             ;   in Loop: Header=BB2_6167 Depth=2
	v_cmp_lt_i64_e32 vcc_lo, -1, v[12:13]
	v_cndmask_b32_e32 v10, 0xff800000, v103, vcc_lo
	v_cmp_eq_u32_e32 vcc_lo, 0, v34
	s_delay_alu instid0(VALU_DEP_2)
	v_cndmask_b32_e32 v11, 0x7f800001, v10, vcc_lo
; %bb.7113:                             ;   in Loop: Header=BB2_6167 Depth=2
	s_or_b32 exec_lo, exec_lo, s29
.LBB2_7114:                             ;   in Loop: Header=BB2_6167 Depth=2
	s_delay_alu instid0(SALU_CYCLE_1)
	s_or_b32 exec_lo, exec_lo, s28
.LBB2_7115:                             ;   in Loop: Header=BB2_6167 Depth=2
	s_delay_alu instid0(SALU_CYCLE_1) | instskip(NEXT) | instid1(VALU_DEP_1)
	s_or_b32 exec_lo, exec_lo, s10
	v_dual_mul_f32 v11, s27, v11 :: v_dual_mov_b32 v13, v35
                                        ; implicit-def: $vgpr10
	s_delay_alu instid0(VALU_DEP_1) | instskip(SKIP_1) | instid1(VALU_DEP_2)
	v_and_b32_e32 v12, 0x7f800000, v11
	v_and_b32_e32 v34, 0x7fffff, v11
	v_cmp_ne_u64_e32 vcc_lo, 0x7f800000, v[12:13]
	v_lshrrev_b32_e32 v12, 24, v11
	s_and_saveexec_b32 s10, vcc_lo
	s_delay_alu instid0(SALU_CYCLE_1)
	s_xor_b32 s27, exec_lo, s10
	s_cbranch_execz .LBB2_7129
; %bb.7116:                             ;   in Loop: Header=BB2_6167 Depth=2
	v_and_b32_e32 v76, 0x7fffffff, v11
	v_mov_b32_e32 v77, v35
	v_and_b32_e32 v87, 0x80, v12
                                        ; implicit-def: $vgpr10
	s_mov_b32 s10, exec_lo
	s_delay_alu instid0(VALU_DEP_2)
	v_cmpx_gt_u64_e32 0x47600001, v[76:77]
	s_xor_b32 s28, exec_lo, s10
	s_cbranch_execz .LBB2_7126
; %bb.7117:                             ;   in Loop: Header=BB2_6167 Depth=2
	v_mov_b32_e32 v10, 0
	s_mov_b32 s29, exec_lo
	v_cmpx_ne_u32_e32 0, v11
	s_cbranch_execz .LBB2_7125
; %bb.7118:                             ;   in Loop: Header=BB2_6167 Depth=2
	v_bfe_u32 v76, v11, 23, 8
	v_or_b32_e32 v12, 0x800000, v34
	s_delay_alu instid0(VALU_DEP_2) | instskip(SKIP_1) | instid1(VALU_DEP_2)
	v_sub_nc_u32_e32 v10, 0x71, v76
	v_cmp_gt_u32_e32 vcc_lo, 0x72, v76
	v_cndmask_b32_e32 v10, 0, v10, vcc_lo
	v_cmp_eq_u32_e32 vcc_lo, 0, v76
	s_delay_alu instid0(VALU_DEP_2) | instskip(NEXT) | instid1(VALU_DEP_1)
	v_cndmask_b32_e64 v77, v10, 0x70, vcc_lo
	v_dual_cndmask_b32 v34, v12, v34, vcc_lo :: v_dual_add_nc_u32 v10, 21, v77
	v_add_nc_u32_e32 v13, 20, v77
	s_delay_alu instid0(VALU_DEP_2) | instskip(NEXT) | instid1(VALU_DEP_2)
	v_lshlrev_b64_e64 v[10:11], v10, -1
	v_lshlrev_b64_e64 v[12:13], v13, 1
	s_delay_alu instid0(VALU_DEP_2) | instskip(NEXT) | instid1(VALU_DEP_3)
	v_bfi_b32 v79, v11, 0, 0
	v_bfi_b32 v78, v10, 0, v34
	v_lshrrev_b64 v[10:11], v77, v[34:35]
	s_delay_alu instid0(VALU_DEP_2) | instskip(NEXT) | instid1(VALU_DEP_2)
	v_cmp_eq_u64_e64 s10, v[78:79], v[12:13]
	v_mov_b64_e32 v[12:13], v[10:11]
	s_and_saveexec_b32 s40, s10
; %bb.7119:                             ;   in Loop: Header=BB2_6167 Depth=2
	v_bfe_u32 v34, v10, 21, 1
	s_delay_alu instid0(VALU_DEP_1) | instskip(NEXT) | instid1(VALU_DEP_1)
	v_add_nc_u64_e32 v[12:13], v[10:11], v[34:35]
	v_add_nc_u64_e32 v[12:13], -1, v[12:13]
; %bb.7120:                             ;   in Loop: Header=BB2_6167 Depth=2
	s_or_b32 exec_lo, exec_lo, s40
	v_add_nc_u32_e32 v11, 0xffffff81, v76
	v_lshrrev_b32_e32 v13, 23, v10
	s_mov_b32 s10, exec_lo
	s_delay_alu instid0(VALU_DEP_2) | instskip(NEXT) | instid1(VALU_DEP_1)
	v_cndmask_b32_e64 v11, v11, 0xffffff82, vcc_lo
	v_add3_u32 v13, v77, v11, v13
	v_and_b32_e32 v11, 0x1fffff, v12
                                        ; implicit-def: $vgpr12
	s_delay_alu instid0(VALU_DEP_1) | instskip(NEXT) | instid1(VALU_DEP_1)
	v_dual_add_nc_u32 v76, 14, v13 :: v_dual_add_nc_u32 v34, v11, v10
                                        ; implicit-def: $vgpr10_vgpr11
	v_cmpx_ne_u32_e32 0, v76
	s_xor_b32 s10, exec_lo, s10
; %bb.7121:                             ;   in Loop: Header=BB2_6167 Depth=2
	s_delay_alu instid0(VALU_DEP_2) | instskip(SKIP_1) | instid1(VALU_DEP_1)
	v_cmp_lt_u64_e32 vcc_lo, 0xffffff, v[34:35]
	v_add_nc_u32_e32 v10, 15, v13
	v_cndmask_b32_e32 v12, v76, v10, vcc_lo
	v_cndmask_b32_e64 v10, 0, 1, vcc_lo
	s_delay_alu instid0(VALU_DEP_1)
	v_lshrrev_b64 v[10:11], v10, v[34:35]
; %bb.7122:                             ;   in Loop: Header=BB2_6167 Depth=2
	s_and_not1_saveexec_b32 s10, s10
; %bb.7123:                             ;   in Loop: Header=BB2_6167 Depth=2
	v_mov_b64_e32 v[10:11], v[34:35]
	v_bfe_u32 v12, v34, 23, 1
; %bb.7124:                             ;   in Loop: Header=BB2_6167 Depth=2
	s_or_b32 exec_lo, exec_lo, s10
	s_delay_alu instid0(VALU_DEP_2) | instskip(NEXT) | instid1(VALU_DEP_2)
	v_lshrrev_b64 v[10:11], 21, v[10:11]
	v_cmp_gt_i32_e32 vcc_lo, 32, v12
	v_min_i32_e32 v13, 31, v12
	v_cmp_eq_u32_e64 s10, 0, v12
	s_delay_alu instid0(VALU_DEP_2) | instskip(SKIP_1) | instid1(VALU_DEP_2)
	v_dual_cndmask_b32 v11, 0, v11, vcc_lo :: v_dual_lshlrev_b32 v13, 2, v13
	v_cndmask_b32_e32 v10, 3, v10, vcc_lo
	v_and_b32_e32 v13, 0xfc, v13
	s_delay_alu instid0(VALU_DEP_2) | instskip(NEXT) | instid1(VALU_DEP_2)
	v_cmp_eq_u64_e32 vcc_lo, 0, v[10:11]
	v_and_or_b32 v10, v10, 3, v13
	s_and_b32 s10, s10, vcc_lo
	s_delay_alu instid0(VALU_DEP_1) | instid1(SALU_CYCLE_1)
	v_cndmask_b32_e64 v10, v10, 0, s10
	s_delay_alu instid0(VALU_DEP_1)
	v_or_b32_e32 v10, v10, v87
.LBB2_7125:                             ;   in Loop: Header=BB2_6167 Depth=2
	s_or_b32 exec_lo, exec_lo, s29
                                        ; implicit-def: $vgpr87
.LBB2_7126:                             ;   in Loop: Header=BB2_6167 Depth=2
	s_and_not1_saveexec_b32 s10, s28
; %bb.7127:                             ;   in Loop: Header=BB2_6167 Depth=2
	v_or_b32_e32 v10, 0x7b, v87
; %bb.7128:                             ;   in Loop: Header=BB2_6167 Depth=2
	s_or_b32 exec_lo, exec_lo, s10
                                        ; implicit-def: $vgpr11
                                        ; implicit-def: $vgpr12
.LBB2_7129:                             ;   in Loop: Header=BB2_6167 Depth=2
	s_and_not1_saveexec_b32 s10, s27
	s_cbranch_execz .LBB2_6166
; %bb.7130:                             ;   in Loop: Header=BB2_6167 Depth=2
	s_mov_b32 s27, exec_lo
                                        ; implicit-def: $vgpr10
	v_cmpx_ne_u64_e32 0, v[34:35]
	s_xor_b32 s27, exec_lo, s27
; %bb.7131:                             ;   in Loop: Header=BB2_6167 Depth=2
	v_or_b32_e32 v10, 0x7f, v12
                                        ; implicit-def: $vgpr11
; %bb.7132:                             ;   in Loop: Header=BB2_6167 Depth=2
	s_and_not1_saveexec_b32 s27, s27
	s_cbranch_execz .LBB2_6165
; %bb.7133:                             ;   in Loop: Header=BB2_6167 Depth=2
	v_cmp_lt_i32_e32 vcc_lo, -1, v11
	v_cndmask_b32_e32 v10, 0xfc, v112, vcc_lo
	s_branch .LBB2_6165
.LBB2_7134:                             ;   in Loop: Header=BB2_6091 Depth=1
	s_or_b32 exec_lo, exec_lo, s24
.LBB2_7135:                             ;   in Loop: Header=BB2_6091 Depth=1
	s_delay_alu instid0(SALU_CYCLE_1) | instskip(SKIP_4) | instid1(VALU_DEP_2)
	s_or_b32 exec_lo, exec_lo, s11
	v_and_b32_e32 v10, 0x3ffffc00, v69
	v_mov_b32_e32 v30, 0
	s_mov_b32 s10, 0
	s_mov_b32 s23, exec_lo
                                        ; implicit-def: $vgpr96
                                        ; implicit-def: $vgpr97
	v_cmpx_ne_u32_e64 v69, v10
	s_cbranch_execz .LBB2_7629
; %bb.7136:                             ;   in Loop: Header=BB2_6091 Depth=1
	v_lshlrev_b32_e32 v11, 5, v71
	v_and_b32_e32 v98, 0x1ff, v69
	v_bfe_u32 v30, v69, 9, 1
	s_mov_b32 s24, exec_lo
	s_delay_alu instid0(VALU_DEP_3) | instskip(NEXT) | instid1(VALU_DEP_3)
	v_sub_nc_u32_e32 v11, v100, v11
	v_cmp_lt_u32_e64 s10, 15, v98
	s_delay_alu instid0(VALU_DEP_2) | instskip(NEXT) | instid1(VALU_DEP_2)
	v_ashrrev_i32_e32 v12, 31, v11
	v_add_co_ci_u32_e64 v30, null, 0, v30, s10
	s_delay_alu instid0(VALU_DEP_2) | instskip(NEXT) | instid1(VALU_DEP_1)
	v_lshrrev_b32_e32 v12, 27, v12
	v_add_nc_u32_e32 v12, v11, v12
	s_delay_alu instid0(VALU_DEP_1) | instskip(NEXT) | instid1(VALU_DEP_1)
	v_and_b32_e32 v13, 0xffffffe0, v12
	v_dual_ashrrev_i32 v12, 5, v12 :: v_dual_sub_nc_u32 v71, v11, v13
	v_and_b32_e32 v13, 0x3ff, v69
	s_delay_alu instid0(VALU_DEP_2) | instskip(NEXT) | instid1(VALU_DEP_1)
	v_dual_sub_nc_u32 v99, v30, v12 :: v_dual_lshlrev_b32 v11, 4, v71
	v_lshl_add_u32 v11, v12, 9, v11
	s_delay_alu instid0(VALU_DEP_1) | instskip(NEXT) | instid1(VALU_DEP_1)
	v_sub_nc_u32_e32 v113, v13, v11
	v_cmpx_lt_i32_e32 15, v113
	s_cbranch_execz .LBB2_7628
; %bb.7137:                             ;   in Loop: Header=BB2_6091 Depth=1
	s_trap 2
	ds_load_b64 v[12:13], v0
	v_add_nc_u32_e32 v84, v11, v10
	s_delay_alu instid0(VALU_DEP_1)
	v_ashrrev_i32_e32 v85, 31, v84
	s_wait_dscnt 0x0
	v_readfirstlane_b32 s26, v12
	v_readfirstlane_b32 s27, v13
	s_and_b32 s25, s26, 3
	s_bfe_i32 s11, s26, 0x80000
	s_clz_i32_u32 s40, s25
	s_bfe_u32 s28, s26, 0x50002
	s_min_u32 s40, s40, 32
	s_and_b32 s29, s26, 0x7c
	s_sub_co_i32 s43, s40, 29
	s_lshl_b32 s41, s26, 24
	s_sext_i32_i8 s42, s26
	s_lshl_b64 s[26:27], s[26:27], s43
	s_and_b32 s41, s41, 0x80000000
	s_sub_co_i32 s27, 30, s40
	s_and_b32 s26, s26, 3
	s_cmp_gt_i32 s42, -1
	s_cselect_b32 s40, s20, 0xff800000
	s_cmp_eq_u32 s25, 0
	s_cselect_b32 s40, s40, 0x7f800001
	s_cmp_eq_u32 s28, 0
	s_cselect_b32 s27, s27, s28
	s_cselect_b32 s25, s26, s25
	s_lshl_b32 s26, s27, 23
	s_lshl_b32 s25, s25, 21
	s_add_co_i32 s26, s26, s41
	s_delay_alu instid0(SALU_CYCLE_1) | instskip(NEXT) | instid1(SALU_CYCLE_1)
	s_or_b32 s25, s26, s25
	s_add_co_i32 s26, s25, 0x38000000
	s_cmp_eq_u32 s29, 0x7c
	s_mov_b32 s25, 0
	s_cselect_b32 s26, s40, s26
	s_and_b32 s27, s11, 0xff
	s_branch .LBB2_7140
.LBB2_7138:                             ;   in Loop: Header=BB2_7140 Depth=2
	s_or_b32 exec_lo, exec_lo, s28
.LBB2_7139:                             ;   in Loop: Header=BB2_7140 Depth=2
	s_delay_alu instid0(SALU_CYCLE_1)
	s_or_b32 exec_lo, exec_lo, s11
	v_lshl_or_b32 v11, v119, 8, v118
	v_dual_lshlrev_b32 v12, 16, v96 :: v_dual_lshlrev_b32 v13, 24, v30
	v_lshl_or_b32 v34, v40, 8, v97
	v_dual_lshlrev_b32 v97, 24, v10 :: v_dual_sub_nc_u32 v113, v113, v48
	v_lshl_or_b32 v30, v115, 8, v114
	s_delay_alu instid0(VALU_DEP_4)
	v_or3_b32 v11, v11, v12, v13
	v_dual_lshlrev_b32 v12, 16, v116 :: v_dual_lshlrev_b32 v13, 24, v117
	v_dual_lshlrev_b32 v87, 16, v41 :: v_dual_lshlrev_b32 v96, 24, v42
	v_dual_lshlrev_b32 v86, 16, v86 :: v_dual_sub_nc_u32 v99, v99, v36
	v_lshl_or_b32 v114, v44, 8, v43
	v_add_nc_u64_e32 v[118:119], v[82:83], v[84:85]
	v_cmp_gt_i32_e32 vcc_lo, 16, v113
	v_add_nc_u64_e32 v[84:85], v[84:85], v[48:49]
	v_or3_b32 v10, v30, v12, v13
	v_or3_b32 v12, v34, v87, v96
	;; [unrolled: 1-line block ×3, first 2 shown]
	s_or_b32 s25, vcc_lo, s25
	global_store_b128 v[118:119], v[10:13], off th:TH_STORE_NT
	s_wait_xcnt 0x0
	s_and_not1_b32 exec_lo, exec_lo, s25
	s_cbranch_execz .LBB2_7627
.LBB2_7140:                             ;   Parent Loop BB2_6091 Depth=1
                                        ; =>  This Inner Loop Header: Depth=2
	s_cmp_lt_i32 s27, 0x80
	s_cbranch_scc1 .LBB2_7144
; %bb.7141:                             ;   in Loop: Header=BB2_7140 Depth=2
	s_and_b32 s11, 0xffff, s27
	s_delay_alu instid0(SALU_CYCLE_1)
	s_cmp_eq_u32 s11, 0x80
	s_mov_b32 s11, -1
	s_cbranch_scc0 .LBB2_7143
; %bb.7142:                             ;   in Loop: Header=BB2_7140 Depth=2
	s_mov_b32 s11, 0
.LBB2_7143:                             ;   in Loop: Header=BB2_7140 Depth=2
	s_brev_b32 s28, 1
	s_branch .LBB2_7146
.LBB2_7144:                             ;   in Loop: Header=BB2_7140 Depth=2
	s_mov_b32 s11, 0
	s_brev_b32 s28, 1
	s_cbranch_execz .LBB2_7146
; %bb.7145:                             ;   in Loop: Header=BB2_7140 Depth=2
	s_and_b32 s11, 0xffff, s27
	s_mov_b32 s28, 0
	s_cmp_lg_u32 s11, 0
	s_cselect_b32 s11, -1, 0
.LBB2_7146:                             ;   in Loop: Header=BB2_7140 Depth=2
	s_delay_alu instid0(SALU_CYCLE_1)
	s_and_not1_b32 vcc_lo, exec_lo, s11
	s_cbranch_vccnz .LBB2_7148
; %bb.7147:                             ;   in Loop: Header=BB2_7140 Depth=2
	s_mov_b32 s28, s26
.LBB2_7148:                             ;   in Loop: Header=BB2_7140 Depth=2
	v_add_nc_u64_e32 v[10:11], v[80:81], v[84:85]
	global_load_b128 v[10:13], v[10:11], off th:TH_LOAD_NT
	s_wait_loadcnt 0x0
	v_and_b32_e32 v30, 0xff, v10
	s_delay_alu instid0(VALU_DEP_1)
	v_cmp_ne_u16_e32 vcc_lo, 0, v30
	v_mov_b32_e32 v30, 0
	s_wait_xcnt 0x0
	s_and_saveexec_b32 s11, vcc_lo
	s_cbranch_execz .LBB2_7158
; %bb.7149:                             ;   in Loop: Header=BB2_7140 Depth=2
	v_bfe_i32 v86, v10, 0, 8
	v_bfrev_b32_e32 v30, 1
	s_mov_b32 s29, exec_lo
	s_delay_alu instid0(VALU_DEP_2)
	v_cmpx_ne_u16_e32 0xff80, v86
	s_cbranch_execz .LBB2_7157
; %bb.7150:                             ;   in Loop: Header=BB2_7140 Depth=2
	v_and_b32_e32 v30, 0x7c, v10
	v_and_b32_e32 v34, 3, v10
	s_delay_alu instid0(VALU_DEP_2) | instskip(SKIP_1) | instid1(SALU_CYCLE_1)
	v_cmp_ne_u32_e32 vcc_lo, 0x7c, v30
                                        ; implicit-def: $vgpr30
	s_and_saveexec_b32 s40, vcc_lo
	s_xor_b32 s40, exec_lo, s40
	s_cbranch_execz .LBB2_7154
; %bb.7151:                             ;   in Loop: Header=BB2_7140 Depth=2
	v_bfe_u32 v30, v10, 2, 5
	s_mov_b32 s41, exec_lo
	s_delay_alu instid0(VALU_DEP_1)
	v_cmpx_eq_u32_e32 0, v30
; %bb.7152:                             ;   in Loop: Header=BB2_7140 Depth=2
	v_clz_i32_u32_e32 v30, v34
	s_delay_alu instid0(VALU_DEP_1) | instskip(NEXT) | instid1(VALU_DEP_1)
	v_min_u32_e32 v30, 32, v30
	v_subrev_nc_u32_e32 v34, 29, v30
	v_sub_nc_u32_e32 v30, 30, v30
	s_delay_alu instid0(VALU_DEP_2) | instskip(NEXT) | instid1(VALU_DEP_1)
	v_lshlrev_b64_e32 v[86:87], v34, v[10:11]
	v_and_b32_e32 v34, 3, v86
; %bb.7153:                             ;   in Loop: Header=BB2_7140 Depth=2
	s_or_b32 exec_lo, exec_lo, s41
	v_lshlrev_b32_e32 v86, 24, v10
	s_delay_alu instid0(VALU_DEP_1) | instskip(NEXT) | instid1(VALU_DEP_1)
	v_and_b32_e32 v86, 0x80000000, v86
	v_lshl_add_u32 v30, v30, 23, v86
                                        ; implicit-def: $vgpr86
	s_delay_alu instid0(VALU_DEP_1) | instskip(NEXT) | instid1(VALU_DEP_1)
	v_lshl_or_b32 v30, v34, 21, v30
                                        ; implicit-def: $vgpr34
	v_add_nc_u32_e32 v30, 0x38000000, v30
.LBB2_7154:                             ;   in Loop: Header=BB2_7140 Depth=2
	s_and_not1_saveexec_b32 s40, s40
; %bb.7155:                             ;   in Loop: Header=BB2_7140 Depth=2
	v_cmp_lt_i16_e32 vcc_lo, -1, v86
	v_cndmask_b32_e32 v30, 0xff800000, v103, vcc_lo
	v_cmp_eq_u32_e32 vcc_lo, 0, v34
	s_delay_alu instid0(VALU_DEP_2)
	v_cndmask_b32_e32 v30, 0x7f800001, v30, vcc_lo
; %bb.7156:                             ;   in Loop: Header=BB2_7140 Depth=2
	s_or_b32 exec_lo, exec_lo, s40
.LBB2_7157:                             ;   in Loop: Header=BB2_7140 Depth=2
	s_delay_alu instid0(SALU_CYCLE_1)
	s_or_b32 exec_lo, exec_lo, s29
.LBB2_7158:                             ;   in Loop: Header=BB2_7140 Depth=2
	s_delay_alu instid0(SALU_CYCLE_1) | instskip(NEXT) | instid1(VALU_DEP_1)
	s_or_b32 exec_lo, exec_lo, s11
	v_dual_mul_f32 v86, s28, v30 :: v_dual_mov_b32 v97, v35
                                        ; implicit-def: $vgpr114
	s_mov_b32 s11, exec_lo
	s_delay_alu instid0(VALU_DEP_1) | instskip(SKIP_2) | instid1(VALU_DEP_3)
	v_and_b32_e32 v96, 0x7f800000, v86
	v_and_b32_e32 v34, 0x7fffff, v86
	v_lshrrev_b32_e32 v30, 24, v86
	v_cmpx_ne_u64_e32 0x7f800000, v[96:97]
	s_xor_b32 s29, exec_lo, s11
	s_cbranch_execz .LBB2_7172
; %bb.7159:                             ;   in Loop: Header=BB2_7140 Depth=2
	v_and_b32_e32 v96, 0x7fffffff, v86
	v_mov_b32_e32 v97, v35
	v_and_b32_e32 v30, 0x80, v30
                                        ; implicit-def: $vgpr114
	s_mov_b32 s11, exec_lo
	s_delay_alu instid0(VALU_DEP_2)
	v_cmpx_gt_u64_e32 0x47600001, v[96:97]
	s_xor_b32 s40, exec_lo, s11
	s_cbranch_execz .LBB2_7169
; %bb.7160:                             ;   in Loop: Header=BB2_7140 Depth=2
	v_mov_b32_e32 v114, 0
	s_mov_b32 s41, exec_lo
	v_cmpx_ne_u32_e32 0, v86
	s_cbranch_execz .LBB2_7168
; %bb.7161:                             ;   in Loop: Header=BB2_7140 Depth=2
	v_bfe_u32 v114, v86, 23, 8
	v_or_b32_e32 v96, 0x800000, v34
	s_delay_alu instid0(VALU_DEP_2) | instskip(SKIP_1) | instid1(VALU_DEP_2)
	v_sub_nc_u32_e32 v86, 0x71, v114
	v_cmp_gt_u32_e32 vcc_lo, 0x72, v114
	v_cndmask_b32_e32 v86, 0, v86, vcc_lo
	v_cmp_eq_u32_e32 vcc_lo, 0, v114
	s_delay_alu instid0(VALU_DEP_2) | instskip(NEXT) | instid1(VALU_DEP_1)
	v_cndmask_b32_e64 v115, v86, 0x70, vcc_lo
	v_dual_cndmask_b32 v34, v96, v34, vcc_lo :: v_dual_add_nc_u32 v86, 21, v115
	v_add_nc_u32_e32 v97, 20, v115
	s_delay_alu instid0(VALU_DEP_2) | instskip(NEXT) | instid1(VALU_DEP_2)
	v_lshlrev_b64_e64 v[86:87], v86, -1
	v_lshlrev_b64_e64 v[96:97], v97, 1
	s_delay_alu instid0(VALU_DEP_2) | instskip(NEXT) | instid1(VALU_DEP_3)
	v_bfi_b32 v117, v87, 0, 0
	v_bfi_b32 v116, v86, 0, v34
	v_lshrrev_b64 v[86:87], v115, v[34:35]
	s_delay_alu instid0(VALU_DEP_2) | instskip(NEXT) | instid1(VALU_DEP_2)
	v_cmp_eq_u64_e64 s11, v[116:117], v[96:97]
	v_mov_b64_e32 v[96:97], v[86:87]
	s_and_saveexec_b32 s42, s11
; %bb.7162:                             ;   in Loop: Header=BB2_7140 Depth=2
	v_bfe_u32 v34, v86, 21, 1
	s_delay_alu instid0(VALU_DEP_1) | instskip(NEXT) | instid1(VALU_DEP_1)
	v_add_nc_u64_e32 v[96:97], v[86:87], v[34:35]
	v_add_nc_u64_e32 v[96:97], -1, v[96:97]
; %bb.7163:                             ;   in Loop: Header=BB2_7140 Depth=2
	s_or_b32 exec_lo, exec_lo, s42
	v_add_nc_u32_e32 v34, 0xffffff81, v114
	v_lshrrev_b32_e32 v87, 23, v86
	s_mov_b32 s11, exec_lo
	s_delay_alu instid0(VALU_DEP_2) | instskip(NEXT) | instid1(VALU_DEP_1)
	v_cndmask_b32_e64 v34, v34, 0xffffff82, vcc_lo
	v_add3_u32 v97, v115, v34, v87
	v_and_b32_e32 v34, 0x1fffff, v96
                                        ; implicit-def: $vgpr96
	s_delay_alu instid0(VALU_DEP_1) | instskip(NEXT) | instid1(VALU_DEP_1)
	v_dual_add_nc_u32 v114, 14, v97 :: v_dual_add_nc_u32 v34, v34, v86
                                        ; implicit-def: $vgpr86_vgpr87
	v_cmpx_ne_u32_e32 0, v114
	s_xor_b32 s11, exec_lo, s11
; %bb.7164:                             ;   in Loop: Header=BB2_7140 Depth=2
	s_delay_alu instid0(VALU_DEP_2) | instskip(SKIP_1) | instid1(VALU_DEP_1)
	v_cmp_lt_u64_e32 vcc_lo, 0xffffff, v[34:35]
	v_add_nc_u32_e32 v86, 15, v97
	v_cndmask_b32_e32 v96, v114, v86, vcc_lo
	v_cndmask_b32_e64 v86, 0, 1, vcc_lo
	s_delay_alu instid0(VALU_DEP_1)
	v_lshrrev_b64 v[86:87], v86, v[34:35]
; %bb.7165:                             ;   in Loop: Header=BB2_7140 Depth=2
	s_and_not1_saveexec_b32 s11, s11
; %bb.7166:                             ;   in Loop: Header=BB2_7140 Depth=2
	v_mov_b64_e32 v[86:87], v[34:35]
	v_bfe_u32 v96, v34, 23, 1
; %bb.7167:                             ;   in Loop: Header=BB2_7140 Depth=2
	s_or_b32 exec_lo, exec_lo, s11
	s_delay_alu instid0(VALU_DEP_2) | instskip(NEXT) | instid1(VALU_DEP_2)
	v_lshrrev_b64 v[86:87], 21, v[86:87]
	v_cmp_gt_i32_e32 vcc_lo, 32, v96
	v_min_i32_e32 v34, 31, v96
	v_cmp_eq_u32_e64 s11, 0, v96
	s_delay_alu instid0(VALU_DEP_2) | instskip(SKIP_1) | instid1(VALU_DEP_2)
	v_dual_cndmask_b32 v87, 0, v87 :: v_dual_lshlrev_b32 v34, 2, v34
	v_cndmask_b32_e32 v86, 3, v86, vcc_lo
	v_and_b32_e32 v34, 0xfc, v34
	s_delay_alu instid0(VALU_DEP_2) | instskip(NEXT) | instid1(VALU_DEP_2)
	v_cmp_eq_u64_e32 vcc_lo, 0, v[86:87]
	v_and_or_b32 v34, v86, 3, v34
	s_and_b32 s11, s11, vcc_lo
	s_delay_alu instid0(VALU_DEP_1) | instid1(SALU_CYCLE_1)
	v_cndmask_b32_e64 v34, v34, 0, s11
	s_delay_alu instid0(VALU_DEP_1)
	v_or_b32_e32 v114, v34, v30
.LBB2_7168:                             ;   in Loop: Header=BB2_7140 Depth=2
	s_or_b32 exec_lo, exec_lo, s41
                                        ; implicit-def: $vgpr30
.LBB2_7169:                             ;   in Loop: Header=BB2_7140 Depth=2
	s_and_not1_saveexec_b32 s11, s40
; %bb.7170:                             ;   in Loop: Header=BB2_7140 Depth=2
	v_or_b32_e32 v114, 0x7b, v30
; %bb.7171:                             ;   in Loop: Header=BB2_7140 Depth=2
	s_or_b32 exec_lo, exec_lo, s11
                                        ; implicit-def: $vgpr86
                                        ; implicit-def: $vgpr30
.LBB2_7172:                             ;   in Loop: Header=BB2_7140 Depth=2
	s_and_not1_saveexec_b32 s11, s29
	s_cbranch_execz .LBB2_7178
; %bb.7173:                             ;   in Loop: Header=BB2_7140 Depth=2
	s_mov_b32 s29, exec_lo
                                        ; implicit-def: $vgpr114
	v_cmpx_ne_u64_e32 0, v[34:35]
	s_xor_b32 s29, exec_lo, s29
; %bb.7174:                             ;   in Loop: Header=BB2_7140 Depth=2
	v_or_b32_e32 v114, 0x7f, v30
                                        ; implicit-def: $vgpr86
; %bb.7175:                             ;   in Loop: Header=BB2_7140 Depth=2
	s_and_not1_saveexec_b32 s29, s29
; %bb.7176:                             ;   in Loop: Header=BB2_7140 Depth=2
	v_cmp_lt_i32_e32 vcc_lo, -1, v86
	v_cndmask_b32_e32 v114, 0xfc, v112, vcc_lo
; %bb.7177:                             ;   in Loop: Header=BB2_7140 Depth=2
	s_or_b32 exec_lo, exec_lo, s29
.LBB2_7178:                             ;   in Loop: Header=BB2_7140 Depth=2
	s_delay_alu instid0(SALU_CYCLE_1) | instskip(SKIP_3) | instid1(VALU_DEP_2)
	s_or_b32 exec_lo, exec_lo, s11
	v_lshrrev_b16 v34, 8, v10
	v_mov_b32_e32 v86, 0
	s_mov_b32 s11, exec_lo
	v_cmpx_ne_u16_e32 0, v34
	s_cbranch_execz .LBB2_7188
; %bb.7179:                             ;   in Loop: Header=BB2_7140 Depth=2
	v_bfrev_b32_e32 v86, 1
	s_mov_b32 s29, exec_lo
	v_cmpx_ne_u16_e32 0x80, v34
	s_cbranch_execz .LBB2_7187
; %bb.7180:                             ;   in Loop: Header=BB2_7140 Depth=2
	v_and_b32_e32 v87, 0xffff, v34
	s_delay_alu instid0(VALU_DEP_1) | instskip(SKIP_1) | instid1(VALU_DEP_2)
	v_and_b32_e32 v86, 0x7c, v87
	v_and_b32_e32 v30, 3, v87
	v_cmp_ne_u32_e32 vcc_lo, 0x7c, v86
                                        ; implicit-def: $vgpr86
	s_and_saveexec_b32 s40, vcc_lo
	s_delay_alu instid0(SALU_CYCLE_1)
	s_xor_b32 s40, exec_lo, s40
	s_cbranch_execz .LBB2_7184
; %bb.7181:                             ;   in Loop: Header=BB2_7140 Depth=2
	v_bfe_u32 v86, v87, 2, 5
	s_mov_b32 s41, exec_lo
	s_delay_alu instid0(VALU_DEP_1)
	v_cmpx_eq_u32_e32 0, v86
; %bb.7182:                             ;   in Loop: Header=BB2_7140 Depth=2
	v_clz_i32_u32_e32 v30, v30
	s_delay_alu instid0(VALU_DEP_1) | instskip(NEXT) | instid1(VALU_DEP_1)
	v_min_u32_e32 v30, 32, v30
	v_subrev_nc_u32_e32 v86, 29, v30
	s_delay_alu instid0(VALU_DEP_1) | instskip(NEXT) | instid1(VALU_DEP_1)
	v_lshlrev_b64_e32 v[96:97], v86, v[34:35]
	v_dual_sub_nc_u32 v86, 30, v30 :: v_dual_bitop2_b32 v30, 3, v96 bitop3:0x40
; %bb.7183:                             ;   in Loop: Header=BB2_7140 Depth=2
	s_or_b32 exec_lo, exec_lo, s41
	v_lshlrev_b32_e32 v34, 16, v10
	s_delay_alu instid0(VALU_DEP_1) | instskip(NEXT) | instid1(VALU_DEP_1)
	v_and_b32_e32 v34, 0x80000000, v34
	v_lshl_add_u32 v34, v86, 23, v34
	s_delay_alu instid0(VALU_DEP_1) | instskip(NEXT) | instid1(VALU_DEP_1)
	v_lshl_or_b32 v30, v30, 21, v34
	v_add_nc_u32_e32 v86, 0x38000000, v30
                                        ; implicit-def: $vgpr30
.LBB2_7184:                             ;   in Loop: Header=BB2_7140 Depth=2
	s_and_not1_saveexec_b32 s40, s40
; %bb.7185:                             ;   in Loop: Header=BB2_7140 Depth=2
	v_cmp_lt_i16_e32 vcc_lo, -1, v10
	v_cndmask_b32_e32 v34, 0xff800000, v103, vcc_lo
	v_cmp_eq_u32_e32 vcc_lo, 0, v30
	s_delay_alu instid0(VALU_DEP_2)
	v_cndmask_b32_e32 v86, 0x7f800001, v34, vcc_lo
; %bb.7186:                             ;   in Loop: Header=BB2_7140 Depth=2
	s_or_b32 exec_lo, exec_lo, s40
.LBB2_7187:                             ;   in Loop: Header=BB2_7140 Depth=2
	s_delay_alu instid0(SALU_CYCLE_1)
	s_or_b32 exec_lo, exec_lo, s29
.LBB2_7188:                             ;   in Loop: Header=BB2_7140 Depth=2
	s_delay_alu instid0(SALU_CYCLE_1) | instskip(NEXT) | instid1(VALU_DEP_1)
	s_or_b32 exec_lo, exec_lo, s11
	v_dual_mul_f32 v86, s28, v86 :: v_dual_mov_b32 v97, v35
                                        ; implicit-def: $vgpr115
	s_mov_b32 s11, exec_lo
	s_delay_alu instid0(VALU_DEP_1) | instskip(SKIP_2) | instid1(VALU_DEP_3)
	v_and_b32_e32 v96, 0x7f800000, v86
	v_and_b32_e32 v34, 0x7fffff, v86
	v_lshrrev_b32_e32 v30, 24, v86
	v_cmpx_ne_u64_e32 0x7f800000, v[96:97]
	s_xor_b32 s29, exec_lo, s11
	s_cbranch_execz .LBB2_7202
; %bb.7189:                             ;   in Loop: Header=BB2_7140 Depth=2
	v_and_b32_e32 v96, 0x7fffffff, v86
	v_mov_b32_e32 v97, v35
	v_and_b32_e32 v30, 0x80, v30
                                        ; implicit-def: $vgpr115
	s_mov_b32 s11, exec_lo
	s_delay_alu instid0(VALU_DEP_2)
	v_cmpx_gt_u64_e32 0x47600001, v[96:97]
	s_xor_b32 s40, exec_lo, s11
	s_cbranch_execz .LBB2_7199
; %bb.7190:                             ;   in Loop: Header=BB2_7140 Depth=2
	v_mov_b32_e32 v115, 0
	s_mov_b32 s41, exec_lo
	v_cmpx_ne_u32_e32 0, v86
	s_cbranch_execz .LBB2_7198
; %bb.7191:                             ;   in Loop: Header=BB2_7140 Depth=2
	v_bfe_u32 v115, v86, 23, 8
	v_or_b32_e32 v96, 0x800000, v34
	s_delay_alu instid0(VALU_DEP_2) | instskip(SKIP_1) | instid1(VALU_DEP_2)
	v_sub_nc_u32_e32 v86, 0x71, v115
	v_cmp_gt_u32_e32 vcc_lo, 0x72, v115
	v_cndmask_b32_e32 v86, 0, v86, vcc_lo
	v_cmp_eq_u32_e32 vcc_lo, 0, v115
	s_delay_alu instid0(VALU_DEP_2) | instskip(NEXT) | instid1(VALU_DEP_1)
	v_cndmask_b32_e64 v116, v86, 0x70, vcc_lo
	v_dual_cndmask_b32 v34, v96, v34, vcc_lo :: v_dual_add_nc_u32 v86, 21, v116
	v_add_nc_u32_e32 v97, 20, v116
	s_delay_alu instid0(VALU_DEP_2) | instskip(NEXT) | instid1(VALU_DEP_2)
	v_lshlrev_b64_e64 v[86:87], v86, -1
	v_lshlrev_b64_e64 v[96:97], v97, 1
	s_delay_alu instid0(VALU_DEP_2) | instskip(NEXT) | instid1(VALU_DEP_3)
	v_bfi_b32 v119, v87, 0, 0
	v_bfi_b32 v118, v86, 0, v34
	v_lshrrev_b64 v[86:87], v116, v[34:35]
	s_delay_alu instid0(VALU_DEP_2) | instskip(NEXT) | instid1(VALU_DEP_2)
	v_cmp_eq_u64_e64 s11, v[118:119], v[96:97]
	v_mov_b64_e32 v[96:97], v[86:87]
	s_and_saveexec_b32 s42, s11
; %bb.7192:                             ;   in Loop: Header=BB2_7140 Depth=2
	v_bfe_u32 v34, v86, 21, 1
	s_delay_alu instid0(VALU_DEP_1) | instskip(NEXT) | instid1(VALU_DEP_1)
	v_add_nc_u64_e32 v[96:97], v[86:87], v[34:35]
	v_add_nc_u64_e32 v[96:97], -1, v[96:97]
; %bb.7193:                             ;   in Loop: Header=BB2_7140 Depth=2
	s_or_b32 exec_lo, exec_lo, s42
	v_add_nc_u32_e32 v34, 0xffffff81, v115
	v_lshrrev_b32_e32 v87, 23, v86
	s_mov_b32 s11, exec_lo
	s_delay_alu instid0(VALU_DEP_2) | instskip(NEXT) | instid1(VALU_DEP_1)
	v_cndmask_b32_e64 v34, v34, 0xffffff82, vcc_lo
	v_add3_u32 v97, v116, v34, v87
	v_and_b32_e32 v34, 0x1fffff, v96
                                        ; implicit-def: $vgpr96
	s_delay_alu instid0(VALU_DEP_1) | instskip(NEXT) | instid1(VALU_DEP_1)
	v_dual_add_nc_u32 v115, 14, v97 :: v_dual_add_nc_u32 v34, v34, v86
                                        ; implicit-def: $vgpr86_vgpr87
	v_cmpx_ne_u32_e32 0, v115
	s_xor_b32 s11, exec_lo, s11
; %bb.7194:                             ;   in Loop: Header=BB2_7140 Depth=2
	s_delay_alu instid0(VALU_DEP_2) | instskip(SKIP_1) | instid1(VALU_DEP_1)
	v_cmp_lt_u64_e32 vcc_lo, 0xffffff, v[34:35]
	v_add_nc_u32_e32 v86, 15, v97
	v_cndmask_b32_e32 v96, v115, v86, vcc_lo
	v_cndmask_b32_e64 v86, 0, 1, vcc_lo
	s_delay_alu instid0(VALU_DEP_1)
	v_lshrrev_b64 v[86:87], v86, v[34:35]
; %bb.7195:                             ;   in Loop: Header=BB2_7140 Depth=2
	s_and_not1_saveexec_b32 s11, s11
; %bb.7196:                             ;   in Loop: Header=BB2_7140 Depth=2
	v_mov_b64_e32 v[86:87], v[34:35]
	v_bfe_u32 v96, v34, 23, 1
; %bb.7197:                             ;   in Loop: Header=BB2_7140 Depth=2
	s_or_b32 exec_lo, exec_lo, s11
	s_delay_alu instid0(VALU_DEP_2) | instskip(NEXT) | instid1(VALU_DEP_2)
	v_lshrrev_b64 v[86:87], 21, v[86:87]
	v_cmp_gt_i32_e32 vcc_lo, 32, v96
	v_min_i32_e32 v34, 31, v96
	v_cmp_eq_u32_e64 s11, 0, v96
	s_delay_alu instid0(VALU_DEP_2) | instskip(SKIP_1) | instid1(VALU_DEP_2)
	v_dual_cndmask_b32 v87, 0, v87 :: v_dual_lshlrev_b32 v34, 2, v34
	v_cndmask_b32_e32 v86, 3, v86, vcc_lo
	v_and_b32_e32 v34, 0xfc, v34
	s_delay_alu instid0(VALU_DEP_2) | instskip(NEXT) | instid1(VALU_DEP_2)
	v_cmp_eq_u64_e32 vcc_lo, 0, v[86:87]
	v_and_or_b32 v34, v86, 3, v34
	s_and_b32 s11, s11, vcc_lo
	s_delay_alu instid0(VALU_DEP_1) | instid1(SALU_CYCLE_1)
	v_cndmask_b32_e64 v34, v34, 0, s11
	s_delay_alu instid0(VALU_DEP_1)
	v_or_b32_e32 v115, v34, v30
.LBB2_7198:                             ;   in Loop: Header=BB2_7140 Depth=2
	s_or_b32 exec_lo, exec_lo, s41
                                        ; implicit-def: $vgpr30
.LBB2_7199:                             ;   in Loop: Header=BB2_7140 Depth=2
	s_and_not1_saveexec_b32 s11, s40
; %bb.7200:                             ;   in Loop: Header=BB2_7140 Depth=2
	v_or_b32_e32 v115, 0x7b, v30
; %bb.7201:                             ;   in Loop: Header=BB2_7140 Depth=2
	s_or_b32 exec_lo, exec_lo, s11
                                        ; implicit-def: $vgpr86
                                        ; implicit-def: $vgpr30
.LBB2_7202:                             ;   in Loop: Header=BB2_7140 Depth=2
	s_and_not1_saveexec_b32 s11, s29
	s_cbranch_execz .LBB2_7208
; %bb.7203:                             ;   in Loop: Header=BB2_7140 Depth=2
	s_mov_b32 s29, exec_lo
                                        ; implicit-def: $vgpr115
	v_cmpx_ne_u64_e32 0, v[34:35]
	s_xor_b32 s29, exec_lo, s29
; %bb.7204:                             ;   in Loop: Header=BB2_7140 Depth=2
	v_or_b32_e32 v115, 0x7f, v30
                                        ; implicit-def: $vgpr86
; %bb.7205:                             ;   in Loop: Header=BB2_7140 Depth=2
	s_and_not1_saveexec_b32 s29, s29
; %bb.7206:                             ;   in Loop: Header=BB2_7140 Depth=2
	v_cmp_lt_i32_e32 vcc_lo, -1, v86
	v_cndmask_b32_e32 v115, 0xfc, v112, vcc_lo
; %bb.7207:                             ;   in Loop: Header=BB2_7140 Depth=2
	s_or_b32 exec_lo, exec_lo, s29
.LBB2_7208:                             ;   in Loop: Header=BB2_7140 Depth=2
	s_delay_alu instid0(SALU_CYCLE_1) | instskip(SKIP_2) | instid1(VALU_DEP_1)
	s_or_b32 exec_lo, exec_lo, s11
	v_dual_lshrrev_b32 v30, 16, v10 :: v_dual_mov_b32 v34, 0
	s_mov_b32 s11, exec_lo
	v_and_b32_e32 v86, 0xff, v30
	s_delay_alu instid0(VALU_DEP_1)
	v_cmpx_ne_u16_e32 0, v86
	s_cbranch_execz .LBB2_7218
; %bb.7209:                             ;   in Loop: Header=BB2_7140 Depth=2
	v_bfrev_b32_e32 v34, 1
	s_mov_b32 s29, exec_lo
	v_cmpx_ne_u16_e32 0x80, v86
	s_cbranch_execz .LBB2_7217
; %bb.7210:                             ;   in Loop: Header=BB2_7140 Depth=2
	v_and_b32_e32 v34, 0x7c0000, v10
	v_bfe_u32 v86, v10, 16, 2
	s_delay_alu instid0(VALU_DEP_2) | instskip(SKIP_1) | instid1(SALU_CYCLE_1)
	v_cmp_ne_u32_e32 vcc_lo, 0x7c0000, v34
                                        ; implicit-def: $vgpr34
	s_and_saveexec_b32 s40, vcc_lo
	s_xor_b32 s40, exec_lo, s40
	s_cbranch_execz .LBB2_7214
; %bb.7211:                             ;   in Loop: Header=BB2_7140 Depth=2
	v_bfe_u32 v34, v10, 18, 5
	s_mov_b32 s41, exec_lo
	s_delay_alu instid0(VALU_DEP_1)
	v_cmpx_eq_u32_e32 0, v34
; %bb.7212:                             ;   in Loop: Header=BB2_7140 Depth=2
	v_clz_i32_u32_e32 v34, v86
	s_delay_alu instid0(VALU_DEP_1) | instskip(NEXT) | instid1(VALU_DEP_1)
	v_min_u32_e32 v34, 32, v34
	v_subrev_nc_u32_e32 v86, 29, v34
	v_sub_nc_u32_e32 v34, 30, v34
	s_delay_alu instid0(VALU_DEP_2) | instskip(NEXT) | instid1(VALU_DEP_1)
	v_lshlrev_b64_e32 v[86:87], v86, v[30:31]
	v_and_b32_e32 v86, 3, v86
; %bb.7213:                             ;   in Loop: Header=BB2_7140 Depth=2
	s_or_b32 exec_lo, exec_lo, s41
	v_lshlrev_b32_e32 v30, 24, v30
	s_delay_alu instid0(VALU_DEP_1) | instskip(NEXT) | instid1(VALU_DEP_1)
	v_and_b32_e32 v30, 0x80000000, v30
	v_lshl_add_u32 v30, v34, 23, v30
	s_delay_alu instid0(VALU_DEP_1) | instskip(NEXT) | instid1(VALU_DEP_1)
	v_lshl_or_b32 v30, v86, 21, v30
                                        ; implicit-def: $vgpr86
	v_add_nc_u32_e32 v34, 0x38000000, v30
                                        ; implicit-def: $vgpr30
.LBB2_7214:                             ;   in Loop: Header=BB2_7140 Depth=2
	s_and_not1_saveexec_b32 s40, s40
; %bb.7215:                             ;   in Loop: Header=BB2_7140 Depth=2
	v_bfe_i32 v30, v30, 0, 8
	s_delay_alu instid0(VALU_DEP_1) | instskip(SKIP_2) | instid1(VALU_DEP_2)
	v_cmp_lt_i16_e32 vcc_lo, -1, v30
	v_cndmask_b32_e32 v30, 0xff800000, v103, vcc_lo
	v_cmp_eq_u32_e32 vcc_lo, 0, v86
	v_cndmask_b32_e32 v34, 0x7f800001, v30, vcc_lo
; %bb.7216:                             ;   in Loop: Header=BB2_7140 Depth=2
	s_or_b32 exec_lo, exec_lo, s40
.LBB2_7217:                             ;   in Loop: Header=BB2_7140 Depth=2
	s_delay_alu instid0(SALU_CYCLE_1)
	s_or_b32 exec_lo, exec_lo, s29
.LBB2_7218:                             ;   in Loop: Header=BB2_7140 Depth=2
	s_delay_alu instid0(SALU_CYCLE_1) | instskip(NEXT) | instid1(VALU_DEP_1)
	s_or_b32 exec_lo, exec_lo, s11
	v_dual_mul_f32 v86, s28, v34 :: v_dual_mov_b32 v97, v35
                                        ; implicit-def: $vgpr116
	s_mov_b32 s11, exec_lo
	s_delay_alu instid0(VALU_DEP_1) | instskip(SKIP_2) | instid1(VALU_DEP_3)
	v_and_b32_e32 v96, 0x7f800000, v86
	v_and_b32_e32 v34, 0x7fffff, v86
	v_lshrrev_b32_e32 v30, 24, v86
	v_cmpx_ne_u64_e32 0x7f800000, v[96:97]
	s_xor_b32 s29, exec_lo, s11
	s_cbranch_execz .LBB2_7232
; %bb.7219:                             ;   in Loop: Header=BB2_7140 Depth=2
	v_and_b32_e32 v96, 0x7fffffff, v86
	v_mov_b32_e32 v97, v35
	v_and_b32_e32 v30, 0x80, v30
                                        ; implicit-def: $vgpr116
	s_mov_b32 s11, exec_lo
	s_delay_alu instid0(VALU_DEP_2)
	v_cmpx_gt_u64_e32 0x47600001, v[96:97]
	s_xor_b32 s40, exec_lo, s11
	s_cbranch_execz .LBB2_7229
; %bb.7220:                             ;   in Loop: Header=BB2_7140 Depth=2
	v_mov_b32_e32 v116, 0
	s_mov_b32 s41, exec_lo
	v_cmpx_ne_u32_e32 0, v86
	s_cbranch_execz .LBB2_7228
; %bb.7221:                             ;   in Loop: Header=BB2_7140 Depth=2
	v_bfe_u32 v116, v86, 23, 8
	v_or_b32_e32 v96, 0x800000, v34
	s_delay_alu instid0(VALU_DEP_2) | instskip(SKIP_1) | instid1(VALU_DEP_2)
	v_sub_nc_u32_e32 v86, 0x71, v116
	v_cmp_gt_u32_e32 vcc_lo, 0x72, v116
	v_cndmask_b32_e32 v86, 0, v86, vcc_lo
	v_cmp_eq_u32_e32 vcc_lo, 0, v116
	s_delay_alu instid0(VALU_DEP_2) | instskip(NEXT) | instid1(VALU_DEP_1)
	v_cndmask_b32_e64 v117, v86, 0x70, vcc_lo
	v_dual_cndmask_b32 v34, v96, v34, vcc_lo :: v_dual_add_nc_u32 v86, 21, v117
	v_add_nc_u32_e32 v97, 20, v117
	s_delay_alu instid0(VALU_DEP_2) | instskip(NEXT) | instid1(VALU_DEP_2)
	v_lshlrev_b64_e64 v[86:87], v86, -1
	v_lshlrev_b64_e64 v[96:97], v97, 1
	s_delay_alu instid0(VALU_DEP_2) | instskip(NEXT) | instid1(VALU_DEP_3)
	v_bfi_b32 v119, v87, 0, 0
	v_bfi_b32 v118, v86, 0, v34
	v_lshrrev_b64 v[86:87], v117, v[34:35]
	s_delay_alu instid0(VALU_DEP_2) | instskip(NEXT) | instid1(VALU_DEP_2)
	v_cmp_eq_u64_e64 s11, v[118:119], v[96:97]
	v_mov_b64_e32 v[96:97], v[86:87]
	s_and_saveexec_b32 s42, s11
; %bb.7222:                             ;   in Loop: Header=BB2_7140 Depth=2
	v_bfe_u32 v34, v86, 21, 1
	s_delay_alu instid0(VALU_DEP_1) | instskip(NEXT) | instid1(VALU_DEP_1)
	v_add_nc_u64_e32 v[96:97], v[86:87], v[34:35]
	v_add_nc_u64_e32 v[96:97], -1, v[96:97]
; %bb.7223:                             ;   in Loop: Header=BB2_7140 Depth=2
	s_or_b32 exec_lo, exec_lo, s42
	v_add_nc_u32_e32 v34, 0xffffff81, v116
	v_lshrrev_b32_e32 v87, 23, v86
	s_mov_b32 s11, exec_lo
	s_delay_alu instid0(VALU_DEP_2) | instskip(NEXT) | instid1(VALU_DEP_1)
	v_cndmask_b32_e64 v34, v34, 0xffffff82, vcc_lo
	v_add3_u32 v97, v117, v34, v87
	v_and_b32_e32 v34, 0x1fffff, v96
                                        ; implicit-def: $vgpr96
	s_delay_alu instid0(VALU_DEP_1) | instskip(NEXT) | instid1(VALU_DEP_1)
	v_dual_add_nc_u32 v116, 14, v97 :: v_dual_add_nc_u32 v34, v34, v86
                                        ; implicit-def: $vgpr86_vgpr87
	v_cmpx_ne_u32_e32 0, v116
	s_xor_b32 s11, exec_lo, s11
; %bb.7224:                             ;   in Loop: Header=BB2_7140 Depth=2
	s_delay_alu instid0(VALU_DEP_2) | instskip(SKIP_1) | instid1(VALU_DEP_1)
	v_cmp_lt_u64_e32 vcc_lo, 0xffffff, v[34:35]
	v_add_nc_u32_e32 v86, 15, v97
	v_cndmask_b32_e32 v96, v116, v86, vcc_lo
	v_cndmask_b32_e64 v86, 0, 1, vcc_lo
	s_delay_alu instid0(VALU_DEP_1)
	v_lshrrev_b64 v[86:87], v86, v[34:35]
; %bb.7225:                             ;   in Loop: Header=BB2_7140 Depth=2
	s_and_not1_saveexec_b32 s11, s11
; %bb.7226:                             ;   in Loop: Header=BB2_7140 Depth=2
	v_mov_b64_e32 v[86:87], v[34:35]
	v_bfe_u32 v96, v34, 23, 1
; %bb.7227:                             ;   in Loop: Header=BB2_7140 Depth=2
	s_or_b32 exec_lo, exec_lo, s11
	s_delay_alu instid0(VALU_DEP_2) | instskip(NEXT) | instid1(VALU_DEP_2)
	v_lshrrev_b64 v[86:87], 21, v[86:87]
	v_cmp_gt_i32_e32 vcc_lo, 32, v96
	v_min_i32_e32 v34, 31, v96
	v_cmp_eq_u32_e64 s11, 0, v96
	s_delay_alu instid0(VALU_DEP_2) | instskip(SKIP_1) | instid1(VALU_DEP_2)
	v_dual_cndmask_b32 v87, 0, v87 :: v_dual_lshlrev_b32 v34, 2, v34
	v_cndmask_b32_e32 v86, 3, v86, vcc_lo
	v_and_b32_e32 v34, 0xfc, v34
	s_delay_alu instid0(VALU_DEP_2) | instskip(NEXT) | instid1(VALU_DEP_2)
	v_cmp_eq_u64_e32 vcc_lo, 0, v[86:87]
	v_and_or_b32 v34, v86, 3, v34
	s_and_b32 s11, s11, vcc_lo
	s_delay_alu instid0(VALU_DEP_1) | instid1(SALU_CYCLE_1)
	v_cndmask_b32_e64 v34, v34, 0, s11
	s_delay_alu instid0(VALU_DEP_1)
	v_or_b32_e32 v116, v34, v30
.LBB2_7228:                             ;   in Loop: Header=BB2_7140 Depth=2
	s_or_b32 exec_lo, exec_lo, s41
                                        ; implicit-def: $vgpr30
.LBB2_7229:                             ;   in Loop: Header=BB2_7140 Depth=2
	s_and_not1_saveexec_b32 s11, s40
; %bb.7230:                             ;   in Loop: Header=BB2_7140 Depth=2
	v_or_b32_e32 v116, 0x7b, v30
; %bb.7231:                             ;   in Loop: Header=BB2_7140 Depth=2
	s_or_b32 exec_lo, exec_lo, s11
                                        ; implicit-def: $vgpr86
                                        ; implicit-def: $vgpr30
.LBB2_7232:                             ;   in Loop: Header=BB2_7140 Depth=2
	s_and_not1_saveexec_b32 s11, s29
	s_cbranch_execz .LBB2_7238
; %bb.7233:                             ;   in Loop: Header=BB2_7140 Depth=2
	s_mov_b32 s29, exec_lo
                                        ; implicit-def: $vgpr116
	v_cmpx_ne_u64_e32 0, v[34:35]
	s_xor_b32 s29, exec_lo, s29
; %bb.7234:                             ;   in Loop: Header=BB2_7140 Depth=2
	v_or_b32_e32 v116, 0x7f, v30
                                        ; implicit-def: $vgpr86
; %bb.7235:                             ;   in Loop: Header=BB2_7140 Depth=2
	s_and_not1_saveexec_b32 s29, s29
; %bb.7236:                             ;   in Loop: Header=BB2_7140 Depth=2
	v_cmp_lt_i32_e32 vcc_lo, -1, v86
	v_cndmask_b32_e32 v116, 0xfc, v112, vcc_lo
; %bb.7237:                             ;   in Loop: Header=BB2_7140 Depth=2
	s_or_b32 exec_lo, exec_lo, s29
.LBB2_7238:                             ;   in Loop: Header=BB2_7140 Depth=2
	s_delay_alu instid0(SALU_CYCLE_1)
	s_or_b32 exec_lo, exec_lo, s11
	v_mov_b32_e32 v34, 0
	s_mov_b32 s11, exec_lo
	v_cmpx_lt_u32_e32 0xffffff, v10
	s_cbranch_execz .LBB2_7248
; %bb.7239:                             ;   in Loop: Header=BB2_7140 Depth=2
	v_lshrrev_b32_e32 v30, 24, v10
	v_bfrev_b32_e32 v34, 1
	s_mov_b32 s29, exec_lo
	s_delay_alu instid0(VALU_DEP_2)
	v_cmpx_ne_u32_e32 0x80, v30
	s_cbranch_execz .LBB2_7247
; %bb.7240:                             ;   in Loop: Header=BB2_7140 Depth=2
	v_and_b32_e32 v34, 0x7c000000, v10
	v_bfe_u32 v86, v10, 24, 2
	s_delay_alu instid0(VALU_DEP_2) | instskip(SKIP_1) | instid1(SALU_CYCLE_1)
	v_cmp_ne_u32_e32 vcc_lo, 0x7c000000, v34
                                        ; implicit-def: $vgpr34
	s_and_saveexec_b32 s40, vcc_lo
	s_xor_b32 s40, exec_lo, s40
	s_cbranch_execz .LBB2_7244
; %bb.7241:                             ;   in Loop: Header=BB2_7140 Depth=2
	v_bfe_u32 v34, v10, 26, 5
	s_mov_b32 s41, exec_lo
	s_delay_alu instid0(VALU_DEP_1)
	v_cmpx_eq_u32_e32 0, v34
; %bb.7242:                             ;   in Loop: Header=BB2_7140 Depth=2
	v_clz_i32_u32_e32 v34, v86
	s_delay_alu instid0(VALU_DEP_1) | instskip(NEXT) | instid1(VALU_DEP_1)
	v_min_u32_e32 v34, 32, v34
	v_subrev_nc_u32_e32 v86, 29, v34
	v_sub_nc_u32_e32 v34, 30, v34
	s_delay_alu instid0(VALU_DEP_2) | instskip(NEXT) | instid1(VALU_DEP_1)
	v_lshlrev_b64_e32 v[86:87], v86, v[30:31]
	v_and_b32_e32 v86, 3, v86
; %bb.7243:                             ;   in Loop: Header=BB2_7140 Depth=2
	s_or_b32 exec_lo, exec_lo, s41
	v_and_b32_e32 v30, 0x80000000, v10
	s_delay_alu instid0(VALU_DEP_1) | instskip(NEXT) | instid1(VALU_DEP_1)
	v_lshl_add_u32 v30, v34, 23, v30
	v_lshl_or_b32 v30, v86, 21, v30
                                        ; implicit-def: $vgpr86
	s_delay_alu instid0(VALU_DEP_1)
	v_add_nc_u32_e32 v34, 0x38000000, v30
.LBB2_7244:                             ;   in Loop: Header=BB2_7140 Depth=2
	s_and_not1_saveexec_b32 s40, s40
; %bb.7245:                             ;   in Loop: Header=BB2_7140 Depth=2
	v_cmp_lt_i32_e32 vcc_lo, -1, v10
	v_cndmask_b32_e32 v30, 0xff800000, v103, vcc_lo
	v_cmp_eq_u32_e32 vcc_lo, 0, v86
	s_delay_alu instid0(VALU_DEP_2)
	v_cndmask_b32_e32 v34, 0x7f800001, v30, vcc_lo
; %bb.7246:                             ;   in Loop: Header=BB2_7140 Depth=2
	s_or_b32 exec_lo, exec_lo, s40
.LBB2_7247:                             ;   in Loop: Header=BB2_7140 Depth=2
	s_delay_alu instid0(SALU_CYCLE_1)
	s_or_b32 exec_lo, exec_lo, s29
.LBB2_7248:                             ;   in Loop: Header=BB2_7140 Depth=2
	s_delay_alu instid0(SALU_CYCLE_1) | instskip(NEXT) | instid1(VALU_DEP_1)
	s_or_b32 exec_lo, exec_lo, s11
	v_dual_mul_f32 v86, s28, v34 :: v_dual_mov_b32 v97, v35
                                        ; implicit-def: $vgpr117
	s_mov_b32 s11, exec_lo
	s_delay_alu instid0(VALU_DEP_1) | instskip(SKIP_2) | instid1(VALU_DEP_3)
	v_and_b32_e32 v96, 0x7f800000, v86
	v_and_b32_e32 v34, 0x7fffff, v86
	v_lshrrev_b32_e32 v30, 24, v86
	v_cmpx_ne_u64_e32 0x7f800000, v[96:97]
	s_xor_b32 s29, exec_lo, s11
	s_cbranch_execz .LBB2_7262
; %bb.7249:                             ;   in Loop: Header=BB2_7140 Depth=2
	v_and_b32_e32 v96, 0x7fffffff, v86
	v_mov_b32_e32 v97, v35
	v_and_b32_e32 v30, 0x80, v30
                                        ; implicit-def: $vgpr117
	s_mov_b32 s11, exec_lo
	s_delay_alu instid0(VALU_DEP_2)
	v_cmpx_gt_u64_e32 0x47600001, v[96:97]
	s_xor_b32 s40, exec_lo, s11
	s_cbranch_execz .LBB2_7259
; %bb.7250:                             ;   in Loop: Header=BB2_7140 Depth=2
	v_mov_b32_e32 v117, 0
	s_mov_b32 s41, exec_lo
	v_cmpx_ne_u32_e32 0, v86
	s_cbranch_execz .LBB2_7258
; %bb.7251:                             ;   in Loop: Header=BB2_7140 Depth=2
	v_bfe_u32 v117, v86, 23, 8
	v_or_b32_e32 v96, 0x800000, v34
	s_delay_alu instid0(VALU_DEP_2) | instskip(SKIP_1) | instid1(VALU_DEP_2)
	v_sub_nc_u32_e32 v86, 0x71, v117
	v_cmp_gt_u32_e32 vcc_lo, 0x72, v117
	v_cndmask_b32_e32 v86, 0, v86, vcc_lo
	v_cmp_eq_u32_e32 vcc_lo, 0, v117
	s_delay_alu instid0(VALU_DEP_2) | instskip(SKIP_1) | instid1(VALU_DEP_2)
	v_cndmask_b32_e64 v118, v86, 0x70, vcc_lo
	v_cndmask_b32_e32 v34, v96, v34, vcc_lo
	v_dual_add_nc_u32 v86, 21, v118 :: v_dual_add_nc_u32 v97, 20, v118
	s_delay_alu instid0(VALU_DEP_1) | instskip(NEXT) | instid1(VALU_DEP_2)
	v_lshlrev_b64_e64 v[86:87], v86, -1
	v_lshlrev_b64_e64 v[96:97], v97, 1
	s_delay_alu instid0(VALU_DEP_2) | instskip(NEXT) | instid1(VALU_DEP_3)
	v_bfi_b32 v41, v87, 0, 0
	v_bfi_b32 v40, v86, 0, v34
	v_lshrrev_b64 v[86:87], v118, v[34:35]
	s_delay_alu instid0(VALU_DEP_2) | instskip(NEXT) | instid1(VALU_DEP_2)
	v_cmp_eq_u64_e64 s11, v[40:41], v[96:97]
	v_mov_b64_e32 v[96:97], v[86:87]
	s_and_saveexec_b32 s42, s11
; %bb.7252:                             ;   in Loop: Header=BB2_7140 Depth=2
	v_bfe_u32 v34, v86, 21, 1
	s_delay_alu instid0(VALU_DEP_1) | instskip(NEXT) | instid1(VALU_DEP_1)
	v_add_nc_u64_e32 v[96:97], v[86:87], v[34:35]
	v_add_nc_u64_e32 v[96:97], -1, v[96:97]
; %bb.7253:                             ;   in Loop: Header=BB2_7140 Depth=2
	s_or_b32 exec_lo, exec_lo, s42
	v_add_nc_u32_e32 v34, 0xffffff81, v117
	v_lshrrev_b32_e32 v87, 23, v86
	s_mov_b32 s11, exec_lo
	s_delay_alu instid0(VALU_DEP_2) | instskip(NEXT) | instid1(VALU_DEP_1)
	v_cndmask_b32_e64 v34, v34, 0xffffff82, vcc_lo
	v_add3_u32 v97, v118, v34, v87
	v_and_b32_e32 v34, 0x1fffff, v96
                                        ; implicit-def: $vgpr96
	s_delay_alu instid0(VALU_DEP_1) | instskip(NEXT) | instid1(VALU_DEP_1)
	v_dual_add_nc_u32 v117, 14, v97 :: v_dual_add_nc_u32 v34, v34, v86
                                        ; implicit-def: $vgpr86_vgpr87
	v_cmpx_ne_u32_e32 0, v117
	s_xor_b32 s11, exec_lo, s11
; %bb.7254:                             ;   in Loop: Header=BB2_7140 Depth=2
	s_delay_alu instid0(VALU_DEP_2) | instskip(SKIP_1) | instid1(VALU_DEP_1)
	v_cmp_lt_u64_e32 vcc_lo, 0xffffff, v[34:35]
	v_add_nc_u32_e32 v86, 15, v97
	v_cndmask_b32_e32 v96, v117, v86, vcc_lo
	v_cndmask_b32_e64 v86, 0, 1, vcc_lo
	s_delay_alu instid0(VALU_DEP_1)
	v_lshrrev_b64 v[86:87], v86, v[34:35]
; %bb.7255:                             ;   in Loop: Header=BB2_7140 Depth=2
	s_and_not1_saveexec_b32 s11, s11
; %bb.7256:                             ;   in Loop: Header=BB2_7140 Depth=2
	v_mov_b64_e32 v[86:87], v[34:35]
	v_bfe_u32 v96, v34, 23, 1
; %bb.7257:                             ;   in Loop: Header=BB2_7140 Depth=2
	s_or_b32 exec_lo, exec_lo, s11
	s_delay_alu instid0(VALU_DEP_2) | instskip(NEXT) | instid1(VALU_DEP_2)
	v_lshrrev_b64 v[86:87], 21, v[86:87]
	v_cmp_gt_i32_e32 vcc_lo, 32, v96
	v_min_i32_e32 v34, 31, v96
	v_cmp_eq_u32_e64 s11, 0, v96
	s_delay_alu instid0(VALU_DEP_2) | instskip(SKIP_1) | instid1(VALU_DEP_2)
	v_dual_cndmask_b32 v87, 0, v87 :: v_dual_lshlrev_b32 v34, 2, v34
	v_cndmask_b32_e32 v86, 3, v86, vcc_lo
	v_and_b32_e32 v34, 0xfc, v34
	s_delay_alu instid0(VALU_DEP_2) | instskip(NEXT) | instid1(VALU_DEP_2)
	v_cmp_eq_u64_e32 vcc_lo, 0, v[86:87]
	v_and_or_b32 v34, v86, 3, v34
	s_and_b32 s11, s11, vcc_lo
	s_delay_alu instid0(VALU_DEP_1) | instid1(SALU_CYCLE_1)
	v_cndmask_b32_e64 v34, v34, 0, s11
	s_delay_alu instid0(VALU_DEP_1)
	v_or_b32_e32 v117, v34, v30
.LBB2_7258:                             ;   in Loop: Header=BB2_7140 Depth=2
	s_or_b32 exec_lo, exec_lo, s41
                                        ; implicit-def: $vgpr30
.LBB2_7259:                             ;   in Loop: Header=BB2_7140 Depth=2
	s_and_not1_saveexec_b32 s11, s40
; %bb.7260:                             ;   in Loop: Header=BB2_7140 Depth=2
	v_or_b32_e32 v117, 0x7b, v30
; %bb.7261:                             ;   in Loop: Header=BB2_7140 Depth=2
	s_or_b32 exec_lo, exec_lo, s11
                                        ; implicit-def: $vgpr86
                                        ; implicit-def: $vgpr30
.LBB2_7262:                             ;   in Loop: Header=BB2_7140 Depth=2
	s_and_not1_saveexec_b32 s11, s29
	s_cbranch_execz .LBB2_7268
; %bb.7263:                             ;   in Loop: Header=BB2_7140 Depth=2
	s_mov_b32 s29, exec_lo
                                        ; implicit-def: $vgpr117
	v_cmpx_ne_u64_e32 0, v[34:35]
	s_xor_b32 s29, exec_lo, s29
; %bb.7264:                             ;   in Loop: Header=BB2_7140 Depth=2
	v_or_b32_e32 v117, 0x7f, v30
                                        ; implicit-def: $vgpr86
; %bb.7265:                             ;   in Loop: Header=BB2_7140 Depth=2
	s_and_not1_saveexec_b32 s29, s29
; %bb.7266:                             ;   in Loop: Header=BB2_7140 Depth=2
	v_cmp_lt_i32_e32 vcc_lo, -1, v86
	v_cndmask_b32_e32 v117, 0xfc, v112, vcc_lo
; %bb.7267:                             ;   in Loop: Header=BB2_7140 Depth=2
	s_or_b32 exec_lo, exec_lo, s29
.LBB2_7268:                             ;   in Loop: Header=BB2_7140 Depth=2
	s_delay_alu instid0(SALU_CYCLE_1) | instskip(SKIP_3) | instid1(VALU_DEP_2)
	s_or_b32 exec_lo, exec_lo, s11
	v_and_b32_e32 v86, 0xff, v11
	v_dual_mov_b32 v34, v11 :: v_dual_mov_b32 v30, 0
	s_mov_b32 s11, exec_lo
	v_cmpx_ne_u16_e32 0, v86
	s_cbranch_execz .LBB2_7278
; %bb.7269:                             ;   in Loop: Header=BB2_7140 Depth=2
	v_bfrev_b32_e32 v30, 1
	s_mov_b32 s29, exec_lo
	v_cmpx_ne_u16_e32 0x80, v86
	s_cbranch_execz .LBB2_7277
; %bb.7270:                             ;   in Loop: Header=BB2_7140 Depth=2
	v_and_b32_e32 v30, 0x7c, v11
	v_and_b32_e32 v86, 3, v11
	s_delay_alu instid0(VALU_DEP_2) | instskip(SKIP_1) | instid1(SALU_CYCLE_1)
	v_cmp_ne_u32_e32 vcc_lo, 0x7c, v30
                                        ; implicit-def: $vgpr30
	s_and_saveexec_b32 s40, vcc_lo
	s_xor_b32 s40, exec_lo, s40
	s_cbranch_execz .LBB2_7274
; %bb.7271:                             ;   in Loop: Header=BB2_7140 Depth=2
	v_bfe_u32 v30, v11, 2, 5
	s_mov_b32 s41, exec_lo
	s_delay_alu instid0(VALU_DEP_1)
	v_cmpx_eq_u32_e32 0, v30
; %bb.7272:                             ;   in Loop: Header=BB2_7140 Depth=2
	v_clz_i32_u32_e32 v30, v86
	s_delay_alu instid0(VALU_DEP_1) | instskip(NEXT) | instid1(VALU_DEP_1)
	v_min_u32_e32 v30, 32, v30
	v_subrev_nc_u32_e32 v86, 29, v30
	v_sub_nc_u32_e32 v30, 30, v30
	s_delay_alu instid0(VALU_DEP_2) | instskip(NEXT) | instid1(VALU_DEP_1)
	v_lshlrev_b64_e32 v[86:87], v86, v[34:35]
	v_and_b32_e32 v86, 3, v86
; %bb.7273:                             ;   in Loop: Header=BB2_7140 Depth=2
	s_or_b32 exec_lo, exec_lo, s41
	v_lshlrev_b32_e32 v87, 24, v11
	s_delay_alu instid0(VALU_DEP_1) | instskip(NEXT) | instid1(VALU_DEP_1)
	v_and_b32_e32 v87, 0x80000000, v87
	v_lshl_add_u32 v30, v30, 23, v87
	s_delay_alu instid0(VALU_DEP_1) | instskip(NEXT) | instid1(VALU_DEP_1)
	v_lshl_or_b32 v30, v86, 21, v30
                                        ; implicit-def: $vgpr86
	v_add_nc_u32_e32 v30, 0x38000000, v30
.LBB2_7274:                             ;   in Loop: Header=BB2_7140 Depth=2
	s_and_not1_saveexec_b32 s40, s40
; %bb.7275:                             ;   in Loop: Header=BB2_7140 Depth=2
	v_bfe_i32 v30, v11, 0, 8
	s_delay_alu instid0(VALU_DEP_1) | instskip(SKIP_2) | instid1(VALU_DEP_2)
	v_cmp_lt_i16_e32 vcc_lo, -1, v30
	v_cndmask_b32_e32 v30, 0xff800000, v103, vcc_lo
	v_cmp_eq_u32_e32 vcc_lo, 0, v86
	v_cndmask_b32_e32 v30, 0x7f800001, v30, vcc_lo
; %bb.7276:                             ;   in Loop: Header=BB2_7140 Depth=2
	s_or_b32 exec_lo, exec_lo, s40
.LBB2_7277:                             ;   in Loop: Header=BB2_7140 Depth=2
	s_delay_alu instid0(SALU_CYCLE_1)
	s_or_b32 exec_lo, exec_lo, s29
.LBB2_7278:                             ;   in Loop: Header=BB2_7140 Depth=2
	s_delay_alu instid0(SALU_CYCLE_1) | instskip(NEXT) | instid1(VALU_DEP_1)
	s_or_b32 exec_lo, exec_lo, s11
	v_dual_mul_f32 v96, s28, v30 :: v_dual_mov_b32 v119, v35
	s_delay_alu instid0(VALU_DEP_1) | instskip(SKIP_2) | instid1(VALU_DEP_2)
	v_dual_mov_b32 v87, v35 :: v_dual_lshrrev_b32 v30, 24, v96
	v_and_b32_e32 v118, 0x7f800000, v96
	v_and_b32_e32 v86, 0x7fffff, v96
	v_cmp_ne_u64_e32 vcc_lo, 0x7f800000, v[118:119]
                                        ; implicit-def: $vgpr118
	s_and_saveexec_b32 s11, vcc_lo
	s_delay_alu instid0(SALU_CYCLE_1)
	s_xor_b32 s29, exec_lo, s11
	s_cbranch_execz .LBB2_7292
; %bb.7279:                             ;   in Loop: Header=BB2_7140 Depth=2
	v_and_b32_e32 v118, 0x7fffffff, v96
	v_mov_b32_e32 v119, v35
	v_and_b32_e32 v30, 0x80, v30
	s_delay_alu instid0(VALU_DEP_2) | instskip(SKIP_1) | instid1(SALU_CYCLE_1)
	v_cmp_gt_u64_e32 vcc_lo, 0x47600001, v[118:119]
                                        ; implicit-def: $vgpr118
	s_and_saveexec_b32 s11, vcc_lo
	s_xor_b32 s40, exec_lo, s11
	s_cbranch_execz .LBB2_7289
; %bb.7280:                             ;   in Loop: Header=BB2_7140 Depth=2
	v_mov_b32_e32 v118, 0
	s_mov_b32 s41, exec_lo
	v_cmpx_ne_u32_e32 0, v96
	s_cbranch_execz .LBB2_7288
; %bb.7281:                             ;   in Loop: Header=BB2_7140 Depth=2
	v_bfe_u32 v118, v96, 23, 8
	v_or_b32_e32 v40, 0x800000, v86
	s_delay_alu instid0(VALU_DEP_2) | instskip(SKIP_1) | instid1(VALU_DEP_2)
	v_sub_nc_u32_e32 v96, 0x71, v118
	v_cmp_gt_u32_e32 vcc_lo, 0x72, v118
	v_cndmask_b32_e32 v96, 0, v96, vcc_lo
	v_cmp_eq_u32_e32 vcc_lo, 0, v118
	s_delay_alu instid0(VALU_DEP_2) | instskip(NEXT) | instid1(VALU_DEP_1)
	v_cndmask_b32_e64 v119, v96, 0x70, vcc_lo
	v_dual_cndmask_b32 v86, v40, v86, vcc_lo :: v_dual_add_nc_u32 v96, 21, v119
	v_add_nc_u32_e32 v41, 20, v119
	s_delay_alu instid0(VALU_DEP_2) | instskip(NEXT) | instid1(VALU_DEP_2)
	v_lshlrev_b64_e64 v[96:97], v96, -1
	v_lshlrev_b64_e64 v[40:41], v41, 1
	s_delay_alu instid0(VALU_DEP_2) | instskip(SKIP_1) | instid1(VALU_DEP_4)
	v_bfi_b32 v96, v96, 0, v86
	v_lshrrev_b64 v[86:87], v119, v[86:87]
	v_bfi_b32 v97, v97, 0, 0
	s_delay_alu instid0(VALU_DEP_1) | instskip(NEXT) | instid1(VALU_DEP_3)
	v_cmp_eq_u64_e64 s11, v[96:97], v[40:41]
	v_mov_b64_e32 v[96:97], v[86:87]
	s_and_saveexec_b32 s42, s11
; %bb.7282:                             ;   in Loop: Header=BB2_7140 Depth=2
	v_bfe_u32 v96, v86, 21, 1
	v_mov_b32_e32 v97, v35
	s_delay_alu instid0(VALU_DEP_1) | instskip(NEXT) | instid1(VALU_DEP_1)
	v_add_nc_u64_e32 v[96:97], v[86:87], v[96:97]
	v_add_nc_u64_e32 v[96:97], -1, v[96:97]
; %bb.7283:                             ;   in Loop: Header=BB2_7140 Depth=2
	s_or_b32 exec_lo, exec_lo, s42
	v_add_nc_u32_e32 v87, 0xffffff81, v118
	v_lshrrev_b32_e32 v97, 23, v86
	s_mov_b32 s11, exec_lo
	s_delay_alu instid0(VALU_DEP_2) | instskip(NEXT) | instid1(VALU_DEP_1)
	v_cndmask_b32_e64 v87, v87, 0xffffff82, vcc_lo
	v_add3_u32 v97, v119, v87, v97
	v_and_b32_e32 v87, 0x1fffff, v96
                                        ; implicit-def: $vgpr96
	s_delay_alu instid0(VALU_DEP_1) | instskip(SKIP_1) | instid1(VALU_DEP_2)
	v_dual_add_nc_u32 v118, 14, v97 :: v_dual_add_nc_u32 v86, v87, v86
	v_mov_b32_e32 v87, v35
	v_cmpx_ne_u32_e32 0, v118
	s_xor_b32 s11, exec_lo, s11
; %bb.7284:                             ;   in Loop: Header=BB2_7140 Depth=2
	s_delay_alu instid0(VALU_DEP_2) | instskip(SKIP_2) | instid1(VALU_DEP_2)
	v_cmp_lt_u64_e32 vcc_lo, 0xffffff, v[86:87]
	v_add_nc_u32_e32 v96, 15, v97
	v_cndmask_b32_e64 v97, 0, 1, vcc_lo
	v_cndmask_b32_e32 v96, v118, v96, vcc_lo
	s_delay_alu instid0(VALU_DEP_2)
	v_lshrrev_b64 v[86:87], v97, v[86:87]
; %bb.7285:                             ;   in Loop: Header=BB2_7140 Depth=2
	s_and_not1_saveexec_b32 s11, s11
; %bb.7286:                             ;   in Loop: Header=BB2_7140 Depth=2
	s_delay_alu instid0(VALU_DEP_1)
	v_bfe_u32 v96, v86, 23, 1
; %bb.7287:                             ;   in Loop: Header=BB2_7140 Depth=2
	s_or_b32 exec_lo, exec_lo, s11
	s_delay_alu instid0(VALU_DEP_2) | instskip(NEXT) | instid1(VALU_DEP_2)
	v_lshrrev_b64 v[86:87], 21, v[86:87]
	v_cmp_gt_i32_e32 vcc_lo, 32, v96
	v_min_i32_e32 v97, 31, v96
	v_cmp_eq_u32_e64 s11, 0, v96
	s_delay_alu instid0(VALU_DEP_2) | instskip(SKIP_1) | instid1(VALU_DEP_2)
	v_dual_cndmask_b32 v87, 0, v87, vcc_lo :: v_dual_lshlrev_b32 v97, 2, v97
	v_cndmask_b32_e32 v86, 3, v86, vcc_lo
	v_and_b32_e32 v97, 0xfc, v97
	s_delay_alu instid0(VALU_DEP_2) | instskip(NEXT) | instid1(VALU_DEP_2)
	v_cmp_eq_u64_e32 vcc_lo, 0, v[86:87]
	v_and_or_b32 v86, v86, 3, v97
	s_and_b32 s11, s11, vcc_lo
	s_delay_alu instid0(VALU_DEP_1) | instid1(SALU_CYCLE_1)
	v_cndmask_b32_e64 v86, v86, 0, s11
	s_delay_alu instid0(VALU_DEP_1)
	v_or_b32_e32 v118, v86, v30
.LBB2_7288:                             ;   in Loop: Header=BB2_7140 Depth=2
	s_or_b32 exec_lo, exec_lo, s41
                                        ; implicit-def: $vgpr30
.LBB2_7289:                             ;   in Loop: Header=BB2_7140 Depth=2
	s_and_not1_saveexec_b32 s11, s40
; %bb.7290:                             ;   in Loop: Header=BB2_7140 Depth=2
	v_or_b32_e32 v118, 0x7b, v30
; %bb.7291:                             ;   in Loop: Header=BB2_7140 Depth=2
	s_or_b32 exec_lo, exec_lo, s11
                                        ; implicit-def: $vgpr96
                                        ; implicit-def: $vgpr86_vgpr87
                                        ; implicit-def: $vgpr30
.LBB2_7292:                             ;   in Loop: Header=BB2_7140 Depth=2
	s_and_not1_saveexec_b32 s11, s29
	s_cbranch_execz .LBB2_7298
; %bb.7293:                             ;   in Loop: Header=BB2_7140 Depth=2
	s_mov_b32 s29, exec_lo
                                        ; implicit-def: $vgpr118
	v_cmpx_ne_u64_e32 0, v[86:87]
	s_xor_b32 s29, exec_lo, s29
; %bb.7294:                             ;   in Loop: Header=BB2_7140 Depth=2
	v_or_b32_e32 v118, 0x7f, v30
                                        ; implicit-def: $vgpr96
; %bb.7295:                             ;   in Loop: Header=BB2_7140 Depth=2
	s_and_not1_saveexec_b32 s29, s29
; %bb.7296:                             ;   in Loop: Header=BB2_7140 Depth=2
	v_cmp_lt_i32_e32 vcc_lo, -1, v96
	v_cndmask_b32_e32 v118, 0xfc, v112, vcc_lo
; %bb.7297:                             ;   in Loop: Header=BB2_7140 Depth=2
	s_or_b32 exec_lo, exec_lo, s29
.LBB2_7298:                             ;   in Loop: Header=BB2_7140 Depth=2
	s_delay_alu instid0(SALU_CYCLE_1) | instskip(SKIP_3) | instid1(VALU_DEP_2)
	s_or_b32 exec_lo, exec_lo, s11
	v_lshrrev_b16 v86, 8, v34
	v_mov_b32_e32 v87, 0
	s_mov_b32 s11, exec_lo
	v_cmpx_ne_u16_e32 0, v86
	s_cbranch_execz .LBB2_7308
; %bb.7299:                             ;   in Loop: Header=BB2_7140 Depth=2
	v_bfrev_b32_e32 v87, 1
	s_mov_b32 s29, exec_lo
	v_cmpx_ne_u16_e32 0x80, v86
	s_cbranch_execz .LBB2_7307
; %bb.7300:                             ;   in Loop: Header=BB2_7140 Depth=2
	v_and_b32_e32 v96, 0xffff, v86
	s_delay_alu instid0(VALU_DEP_1) | instskip(SKIP_1) | instid1(VALU_DEP_2)
	v_and_b32_e32 v87, 0x7c, v96
	v_and_b32_e32 v30, 3, v96
	v_cmp_ne_u32_e32 vcc_lo, 0x7c, v87
                                        ; implicit-def: $vgpr87
	s_and_saveexec_b32 s40, vcc_lo
	s_delay_alu instid0(SALU_CYCLE_1)
	s_xor_b32 s40, exec_lo, s40
	s_cbranch_execz .LBB2_7304
; %bb.7301:                             ;   in Loop: Header=BB2_7140 Depth=2
	v_bfe_u32 v87, v96, 2, 5
	s_mov_b32 s41, exec_lo
	s_delay_alu instid0(VALU_DEP_1)
	v_cmpx_eq_u32_e32 0, v87
	s_cbranch_execz .LBB2_7303
; %bb.7302:                             ;   in Loop: Header=BB2_7140 Depth=2
	v_clz_i32_u32_e32 v30, v30
	v_mov_b32_e32 v87, v35
	s_delay_alu instid0(VALU_DEP_2) | instskip(NEXT) | instid1(VALU_DEP_1)
	v_min_u32_e32 v30, 32, v30
	v_subrev_nc_u32_e32 v96, 29, v30
	s_delay_alu instid0(VALU_DEP_1) | instskip(SKIP_1) | instid1(VALU_DEP_2)
	v_lshlrev_b64_e32 v[86:87], v96, v[86:87]
	v_sub_nc_u32_e32 v87, 30, v30
	v_and_b32_e32 v30, 3, v86
.LBB2_7303:                             ;   in Loop: Header=BB2_7140 Depth=2
	s_or_b32 exec_lo, exec_lo, s41
	v_lshlrev_b32_e32 v34, 16, v34
	s_delay_alu instid0(VALU_DEP_1) | instskip(NEXT) | instid1(VALU_DEP_1)
	v_and_b32_e32 v34, 0x80000000, v34
	v_lshl_add_u32 v34, v87, 23, v34
	s_delay_alu instid0(VALU_DEP_1) | instskip(NEXT) | instid1(VALU_DEP_1)
	v_lshl_or_b32 v30, v30, 21, v34
	v_add_nc_u32_e32 v87, 0x38000000, v30
                                        ; implicit-def: $vgpr30
.LBB2_7304:                             ;   in Loop: Header=BB2_7140 Depth=2
	s_and_not1_saveexec_b32 s40, s40
; %bb.7305:                             ;   in Loop: Header=BB2_7140 Depth=2
	v_cmp_lt_i16_e32 vcc_lo, -1, v34
	v_cndmask_b32_e32 v34, 0xff800000, v103, vcc_lo
	v_cmp_eq_u32_e32 vcc_lo, 0, v30
	s_delay_alu instid0(VALU_DEP_2)
	v_cndmask_b32_e32 v87, 0x7f800001, v34, vcc_lo
; %bb.7306:                             ;   in Loop: Header=BB2_7140 Depth=2
	s_or_b32 exec_lo, exec_lo, s40
.LBB2_7307:                             ;   in Loop: Header=BB2_7140 Depth=2
	s_delay_alu instid0(SALU_CYCLE_1)
	s_or_b32 exec_lo, exec_lo, s29
.LBB2_7308:                             ;   in Loop: Header=BB2_7140 Depth=2
	s_delay_alu instid0(SALU_CYCLE_1) | instskip(NEXT) | instid1(VALU_DEP_1)
	s_or_b32 exec_lo, exec_lo, s11
	v_dual_mul_f32 v86, s28, v87 :: v_dual_mov_b32 v97, v35
                                        ; implicit-def: $vgpr119
	s_mov_b32 s11, exec_lo
	s_delay_alu instid0(VALU_DEP_1) | instskip(SKIP_2) | instid1(VALU_DEP_3)
	v_and_b32_e32 v96, 0x7f800000, v86
	v_and_b32_e32 v34, 0x7fffff, v86
	v_lshrrev_b32_e32 v30, 24, v86
	v_cmpx_ne_u64_e32 0x7f800000, v[96:97]
	s_xor_b32 s29, exec_lo, s11
	s_cbranch_execz .LBB2_7322
; %bb.7309:                             ;   in Loop: Header=BB2_7140 Depth=2
	v_and_b32_e32 v96, 0x7fffffff, v86
	v_mov_b32_e32 v97, v35
	v_and_b32_e32 v30, 0x80, v30
                                        ; implicit-def: $vgpr119
	s_mov_b32 s11, exec_lo
	s_delay_alu instid0(VALU_DEP_2)
	v_cmpx_gt_u64_e32 0x47600001, v[96:97]
	s_xor_b32 s40, exec_lo, s11
	s_cbranch_execz .LBB2_7319
; %bb.7310:                             ;   in Loop: Header=BB2_7140 Depth=2
	v_mov_b32_e32 v119, 0
	s_mov_b32 s41, exec_lo
	v_cmpx_ne_u32_e32 0, v86
	s_cbranch_execz .LBB2_7318
; %bb.7311:                             ;   in Loop: Header=BB2_7140 Depth=2
	v_bfe_u32 v119, v86, 23, 8
	v_or_b32_e32 v96, 0x800000, v34
	s_delay_alu instid0(VALU_DEP_2) | instskip(SKIP_1) | instid1(VALU_DEP_2)
	v_sub_nc_u32_e32 v86, 0x71, v119
	v_cmp_gt_u32_e32 vcc_lo, 0x72, v119
	v_cndmask_b32_e32 v86, 0, v86, vcc_lo
	v_cmp_eq_u32_e32 vcc_lo, 0, v119
	s_delay_alu instid0(VALU_DEP_2) | instskip(NEXT) | instid1(VALU_DEP_1)
	v_cndmask_b32_e64 v40, v86, 0x70, vcc_lo
	v_dual_cndmask_b32 v34, v96, v34, vcc_lo :: v_dual_add_nc_u32 v86, 21, v40
	v_add_nc_u32_e32 v97, 20, v40
	s_delay_alu instid0(VALU_DEP_2) | instskip(NEXT) | instid1(VALU_DEP_2)
	v_lshlrev_b64_e64 v[86:87], v86, -1
	v_lshlrev_b64_e64 v[96:97], v97, 1
	s_delay_alu instid0(VALU_DEP_2) | instskip(NEXT) | instid1(VALU_DEP_3)
	v_bfi_b32 v43, v87, 0, 0
	v_bfi_b32 v42, v86, 0, v34
	v_lshrrev_b64 v[86:87], v40, v[34:35]
	s_delay_alu instid0(VALU_DEP_2) | instskip(NEXT) | instid1(VALU_DEP_2)
	v_cmp_eq_u64_e64 s11, v[42:43], v[96:97]
	v_mov_b64_e32 v[96:97], v[86:87]
	s_and_saveexec_b32 s42, s11
; %bb.7312:                             ;   in Loop: Header=BB2_7140 Depth=2
	v_bfe_u32 v34, v86, 21, 1
	s_delay_alu instid0(VALU_DEP_1) | instskip(NEXT) | instid1(VALU_DEP_1)
	v_add_nc_u64_e32 v[96:97], v[86:87], v[34:35]
	v_add_nc_u64_e32 v[96:97], -1, v[96:97]
; %bb.7313:                             ;   in Loop: Header=BB2_7140 Depth=2
	s_or_b32 exec_lo, exec_lo, s42
	v_add_nc_u32_e32 v34, 0xffffff81, v119
	v_lshrrev_b32_e32 v87, 23, v86
	s_mov_b32 s11, exec_lo
	s_delay_alu instid0(VALU_DEP_2) | instskip(NEXT) | instid1(VALU_DEP_1)
	v_cndmask_b32_e64 v34, v34, 0xffffff82, vcc_lo
	v_add3_u32 v97, v40, v34, v87
	v_and_b32_e32 v34, 0x1fffff, v96
                                        ; implicit-def: $vgpr96
	s_delay_alu instid0(VALU_DEP_1) | instskip(NEXT) | instid1(VALU_DEP_1)
	v_dual_add_nc_u32 v119, 14, v97 :: v_dual_add_nc_u32 v34, v34, v86
                                        ; implicit-def: $vgpr86_vgpr87
	v_cmpx_ne_u32_e32 0, v119
	s_xor_b32 s11, exec_lo, s11
; %bb.7314:                             ;   in Loop: Header=BB2_7140 Depth=2
	s_delay_alu instid0(VALU_DEP_2) | instskip(SKIP_1) | instid1(VALU_DEP_1)
	v_cmp_lt_u64_e32 vcc_lo, 0xffffff, v[34:35]
	v_add_nc_u32_e32 v86, 15, v97
	v_cndmask_b32_e32 v96, v119, v86, vcc_lo
	v_cndmask_b32_e64 v86, 0, 1, vcc_lo
	s_delay_alu instid0(VALU_DEP_1)
	v_lshrrev_b64 v[86:87], v86, v[34:35]
; %bb.7315:                             ;   in Loop: Header=BB2_7140 Depth=2
	s_and_not1_saveexec_b32 s11, s11
; %bb.7316:                             ;   in Loop: Header=BB2_7140 Depth=2
	v_mov_b64_e32 v[86:87], v[34:35]
	v_bfe_u32 v96, v34, 23, 1
; %bb.7317:                             ;   in Loop: Header=BB2_7140 Depth=2
	s_or_b32 exec_lo, exec_lo, s11
	s_delay_alu instid0(VALU_DEP_2) | instskip(NEXT) | instid1(VALU_DEP_2)
	v_lshrrev_b64 v[86:87], 21, v[86:87]
	v_cmp_gt_i32_e32 vcc_lo, 32, v96
	v_min_i32_e32 v34, 31, v96
	v_cmp_eq_u32_e64 s11, 0, v96
	s_delay_alu instid0(VALU_DEP_2) | instskip(SKIP_1) | instid1(VALU_DEP_2)
	v_dual_cndmask_b32 v87, 0, v87 :: v_dual_lshlrev_b32 v34, 2, v34
	v_cndmask_b32_e32 v86, 3, v86, vcc_lo
	v_and_b32_e32 v34, 0xfc, v34
	s_delay_alu instid0(VALU_DEP_2) | instskip(NEXT) | instid1(VALU_DEP_2)
	v_cmp_eq_u64_e32 vcc_lo, 0, v[86:87]
	v_and_or_b32 v34, v86, 3, v34
	s_and_b32 s11, s11, vcc_lo
	s_delay_alu instid0(VALU_DEP_1) | instid1(SALU_CYCLE_1)
	v_cndmask_b32_e64 v34, v34, 0, s11
	s_delay_alu instid0(VALU_DEP_1)
	v_or_b32_e32 v119, v34, v30
.LBB2_7318:                             ;   in Loop: Header=BB2_7140 Depth=2
	s_or_b32 exec_lo, exec_lo, s41
                                        ; implicit-def: $vgpr30
.LBB2_7319:                             ;   in Loop: Header=BB2_7140 Depth=2
	s_and_not1_saveexec_b32 s11, s40
; %bb.7320:                             ;   in Loop: Header=BB2_7140 Depth=2
	v_or_b32_e32 v119, 0x7b, v30
; %bb.7321:                             ;   in Loop: Header=BB2_7140 Depth=2
	s_or_b32 exec_lo, exec_lo, s11
                                        ; implicit-def: $vgpr86
                                        ; implicit-def: $vgpr30
.LBB2_7322:                             ;   in Loop: Header=BB2_7140 Depth=2
	s_and_not1_saveexec_b32 s11, s29
	s_cbranch_execz .LBB2_7328
; %bb.7323:                             ;   in Loop: Header=BB2_7140 Depth=2
	s_mov_b32 s29, exec_lo
                                        ; implicit-def: $vgpr119
	v_cmpx_ne_u64_e32 0, v[34:35]
	s_xor_b32 s29, exec_lo, s29
; %bb.7324:                             ;   in Loop: Header=BB2_7140 Depth=2
	v_or_b32_e32 v119, 0x7f, v30
                                        ; implicit-def: $vgpr86
; %bb.7325:                             ;   in Loop: Header=BB2_7140 Depth=2
	s_and_not1_saveexec_b32 s29, s29
; %bb.7326:                             ;   in Loop: Header=BB2_7140 Depth=2
	v_cmp_lt_i32_e32 vcc_lo, -1, v86
	v_cndmask_b32_e32 v119, 0xfc, v112, vcc_lo
; %bb.7327:                             ;   in Loop: Header=BB2_7140 Depth=2
	s_or_b32 exec_lo, exec_lo, s29
.LBB2_7328:                             ;   in Loop: Header=BB2_7140 Depth=2
	s_delay_alu instid0(SALU_CYCLE_1) | instskip(SKIP_2) | instid1(VALU_DEP_1)
	s_or_b32 exec_lo, exec_lo, s11
	v_dual_lshrrev_b32 v30, 16, v11 :: v_dual_mov_b32 v34, 0
	s_mov_b32 s11, exec_lo
	v_and_b32_e32 v86, 0xff, v30
	s_delay_alu instid0(VALU_DEP_1)
	v_cmpx_ne_u16_e32 0, v86
	s_cbranch_execz .LBB2_7338
; %bb.7329:                             ;   in Loop: Header=BB2_7140 Depth=2
	v_bfrev_b32_e32 v34, 1
	s_mov_b32 s29, exec_lo
	v_cmpx_ne_u16_e32 0x80, v86
	s_cbranch_execz .LBB2_7337
; %bb.7330:                             ;   in Loop: Header=BB2_7140 Depth=2
	v_and_b32_e32 v34, 0x7c0000, v11
	v_bfe_u32 v86, v11, 16, 2
	s_delay_alu instid0(VALU_DEP_2) | instskip(SKIP_1) | instid1(SALU_CYCLE_1)
	v_cmp_ne_u32_e32 vcc_lo, 0x7c0000, v34
                                        ; implicit-def: $vgpr34
	s_and_saveexec_b32 s40, vcc_lo
	s_xor_b32 s40, exec_lo, s40
	s_cbranch_execz .LBB2_7334
; %bb.7331:                             ;   in Loop: Header=BB2_7140 Depth=2
	v_bfe_u32 v34, v11, 18, 5
	s_mov_b32 s41, exec_lo
	s_delay_alu instid0(VALU_DEP_1)
	v_cmpx_eq_u32_e32 0, v34
; %bb.7332:                             ;   in Loop: Header=BB2_7140 Depth=2
	v_clz_i32_u32_e32 v34, v86
	s_delay_alu instid0(VALU_DEP_1) | instskip(NEXT) | instid1(VALU_DEP_1)
	v_min_u32_e32 v34, 32, v34
	v_subrev_nc_u32_e32 v86, 29, v34
	v_sub_nc_u32_e32 v34, 30, v34
	s_delay_alu instid0(VALU_DEP_2) | instskip(NEXT) | instid1(VALU_DEP_1)
	v_lshlrev_b64_e32 v[86:87], v86, v[30:31]
	v_and_b32_e32 v86, 3, v86
; %bb.7333:                             ;   in Loop: Header=BB2_7140 Depth=2
	s_or_b32 exec_lo, exec_lo, s41
	v_lshlrev_b32_e32 v30, 24, v30
	s_delay_alu instid0(VALU_DEP_1) | instskip(NEXT) | instid1(VALU_DEP_1)
	v_and_b32_e32 v30, 0x80000000, v30
	v_lshl_add_u32 v30, v34, 23, v30
	s_delay_alu instid0(VALU_DEP_1) | instskip(NEXT) | instid1(VALU_DEP_1)
	v_lshl_or_b32 v30, v86, 21, v30
                                        ; implicit-def: $vgpr86
	v_add_nc_u32_e32 v34, 0x38000000, v30
                                        ; implicit-def: $vgpr30
.LBB2_7334:                             ;   in Loop: Header=BB2_7140 Depth=2
	s_and_not1_saveexec_b32 s40, s40
; %bb.7335:                             ;   in Loop: Header=BB2_7140 Depth=2
	v_bfe_i32 v30, v30, 0, 8
	s_delay_alu instid0(VALU_DEP_1) | instskip(SKIP_2) | instid1(VALU_DEP_2)
	v_cmp_lt_i16_e32 vcc_lo, -1, v30
	v_cndmask_b32_e32 v30, 0xff800000, v103, vcc_lo
	v_cmp_eq_u32_e32 vcc_lo, 0, v86
	v_cndmask_b32_e32 v34, 0x7f800001, v30, vcc_lo
; %bb.7336:                             ;   in Loop: Header=BB2_7140 Depth=2
	s_or_b32 exec_lo, exec_lo, s40
.LBB2_7337:                             ;   in Loop: Header=BB2_7140 Depth=2
	s_delay_alu instid0(SALU_CYCLE_1)
	s_or_b32 exec_lo, exec_lo, s29
.LBB2_7338:                             ;   in Loop: Header=BB2_7140 Depth=2
	s_delay_alu instid0(SALU_CYCLE_1) | instskip(NEXT) | instid1(VALU_DEP_1)
	s_or_b32 exec_lo, exec_lo, s11
	v_dual_mul_f32 v86, s28, v34 :: v_dual_mov_b32 v97, v35
	s_delay_alu instid0(VALU_DEP_1) | instskip(SKIP_2) | instid1(VALU_DEP_3)
	v_and_b32_e32 v96, 0x7f800000, v86
	v_and_b32_e32 v34, 0x7fffff, v86
	v_lshrrev_b32_e32 v30, 24, v86
	v_cmp_ne_u64_e32 vcc_lo, 0x7f800000, v[96:97]
                                        ; implicit-def: $vgpr96
	s_and_saveexec_b32 s11, vcc_lo
	s_delay_alu instid0(SALU_CYCLE_1)
	s_xor_b32 s29, exec_lo, s11
	s_cbranch_execz .LBB2_7352
; %bb.7339:                             ;   in Loop: Header=BB2_7140 Depth=2
	v_and_b32_e32 v96, 0x7fffffff, v86
	v_mov_b32_e32 v97, v35
	v_and_b32_e32 v30, 0x80, v30
	s_delay_alu instid0(VALU_DEP_2) | instskip(SKIP_1) | instid1(SALU_CYCLE_1)
	v_cmp_gt_u64_e32 vcc_lo, 0x47600001, v[96:97]
                                        ; implicit-def: $vgpr96
	s_and_saveexec_b32 s11, vcc_lo
	s_xor_b32 s40, exec_lo, s11
	s_cbranch_execz .LBB2_7349
; %bb.7340:                             ;   in Loop: Header=BB2_7140 Depth=2
	v_mov_b32_e32 v96, 0
	s_mov_b32 s41, exec_lo
	v_cmpx_ne_u32_e32 0, v86
	s_cbranch_execz .LBB2_7348
; %bb.7341:                             ;   in Loop: Header=BB2_7140 Depth=2
	v_bfe_u32 v40, v86, 23, 8
	v_or_b32_e32 v96, 0x800000, v34
	s_delay_alu instid0(VALU_DEP_2) | instskip(SKIP_1) | instid1(VALU_DEP_2)
	v_sub_nc_u32_e32 v86, 0x71, v40
	v_cmp_gt_u32_e32 vcc_lo, 0x72, v40
	v_cndmask_b32_e32 v86, 0, v86, vcc_lo
	v_cmp_eq_u32_e32 vcc_lo, 0, v40
	s_delay_alu instid0(VALU_DEP_2) | instskip(NEXT) | instid1(VALU_DEP_1)
	v_cndmask_b32_e64 v41, v86, 0x70, vcc_lo
	v_dual_cndmask_b32 v34, v96, v34, vcc_lo :: v_dual_add_nc_u32 v86, 21, v41
	v_add_nc_u32_e32 v97, 20, v41
	s_delay_alu instid0(VALU_DEP_2) | instskip(NEXT) | instid1(VALU_DEP_2)
	v_lshlrev_b64_e64 v[86:87], v86, -1
	v_lshlrev_b64_e64 v[96:97], v97, 1
	s_delay_alu instid0(VALU_DEP_2) | instskip(NEXT) | instid1(VALU_DEP_3)
	v_bfi_b32 v43, v87, 0, 0
	v_bfi_b32 v42, v86, 0, v34
	v_lshrrev_b64 v[86:87], v41, v[34:35]
	s_delay_alu instid0(VALU_DEP_2) | instskip(NEXT) | instid1(VALU_DEP_2)
	v_cmp_eq_u64_e64 s11, v[42:43], v[96:97]
	v_mov_b64_e32 v[96:97], v[86:87]
	s_and_saveexec_b32 s42, s11
; %bb.7342:                             ;   in Loop: Header=BB2_7140 Depth=2
	v_bfe_u32 v34, v86, 21, 1
	s_delay_alu instid0(VALU_DEP_1) | instskip(NEXT) | instid1(VALU_DEP_1)
	v_add_nc_u64_e32 v[96:97], v[86:87], v[34:35]
	v_add_nc_u64_e32 v[96:97], -1, v[96:97]
; %bb.7343:                             ;   in Loop: Header=BB2_7140 Depth=2
	s_or_b32 exec_lo, exec_lo, s42
	v_add_nc_u32_e32 v34, 0xffffff81, v40
	v_lshrrev_b32_e32 v87, 23, v86
	s_mov_b32 s11, exec_lo
	s_delay_alu instid0(VALU_DEP_2) | instskip(NEXT) | instid1(VALU_DEP_1)
	v_cndmask_b32_e64 v34, v34, 0xffffff82, vcc_lo
	v_add3_u32 v97, v41, v34, v87
	v_and_b32_e32 v34, 0x1fffff, v96
                                        ; implicit-def: $vgpr96
	s_delay_alu instid0(VALU_DEP_1) | instskip(NEXT) | instid1(VALU_DEP_1)
	v_dual_add_nc_u32 v40, 14, v97 :: v_dual_add_nc_u32 v34, v34, v86
                                        ; implicit-def: $vgpr86_vgpr87
	v_cmpx_ne_u32_e32 0, v40
	s_xor_b32 s11, exec_lo, s11
; %bb.7344:                             ;   in Loop: Header=BB2_7140 Depth=2
	s_delay_alu instid0(VALU_DEP_2) | instskip(SKIP_1) | instid1(VALU_DEP_1)
	v_cmp_lt_u64_e32 vcc_lo, 0xffffff, v[34:35]
	v_add_nc_u32_e32 v86, 15, v97
	v_cndmask_b32_e32 v96, v40, v86, vcc_lo
	v_cndmask_b32_e64 v86, 0, 1, vcc_lo
	s_delay_alu instid0(VALU_DEP_1)
	v_lshrrev_b64 v[86:87], v86, v[34:35]
; %bb.7345:                             ;   in Loop: Header=BB2_7140 Depth=2
	s_and_not1_saveexec_b32 s11, s11
; %bb.7346:                             ;   in Loop: Header=BB2_7140 Depth=2
	v_mov_b64_e32 v[86:87], v[34:35]
	v_bfe_u32 v96, v34, 23, 1
; %bb.7347:                             ;   in Loop: Header=BB2_7140 Depth=2
	s_or_b32 exec_lo, exec_lo, s11
	s_delay_alu instid0(VALU_DEP_2) | instskip(NEXT) | instid1(VALU_DEP_2)
	v_lshrrev_b64 v[86:87], 21, v[86:87]
	v_cmp_gt_i32_e32 vcc_lo, 32, v96
	v_min_i32_e32 v34, 31, v96
	v_cmp_eq_u32_e64 s11, 0, v96
	s_delay_alu instid0(VALU_DEP_2) | instskip(SKIP_1) | instid1(VALU_DEP_2)
	v_dual_cndmask_b32 v87, 0, v87 :: v_dual_lshlrev_b32 v34, 2, v34
	v_cndmask_b32_e32 v86, 3, v86, vcc_lo
	v_and_b32_e32 v34, 0xfc, v34
	s_delay_alu instid0(VALU_DEP_2) | instskip(NEXT) | instid1(VALU_DEP_2)
	v_cmp_eq_u64_e32 vcc_lo, 0, v[86:87]
	v_and_or_b32 v34, v86, 3, v34
	s_and_b32 s11, s11, vcc_lo
	s_delay_alu instid0(VALU_DEP_1) | instid1(SALU_CYCLE_1)
	v_cndmask_b32_e64 v34, v34, 0, s11
	s_delay_alu instid0(VALU_DEP_1)
	v_or_b32_e32 v96, v34, v30
.LBB2_7348:                             ;   in Loop: Header=BB2_7140 Depth=2
	s_or_b32 exec_lo, exec_lo, s41
                                        ; implicit-def: $vgpr30
.LBB2_7349:                             ;   in Loop: Header=BB2_7140 Depth=2
	s_and_not1_saveexec_b32 s11, s40
; %bb.7350:                             ;   in Loop: Header=BB2_7140 Depth=2
	v_or_b32_e32 v96, 0x7b, v30
; %bb.7351:                             ;   in Loop: Header=BB2_7140 Depth=2
	s_or_b32 exec_lo, exec_lo, s11
                                        ; implicit-def: $vgpr86
                                        ; implicit-def: $vgpr30
.LBB2_7352:                             ;   in Loop: Header=BB2_7140 Depth=2
	s_and_not1_saveexec_b32 s11, s29
	s_cbranch_execz .LBB2_7358
; %bb.7353:                             ;   in Loop: Header=BB2_7140 Depth=2
	s_mov_b32 s29, exec_lo
                                        ; implicit-def: $vgpr96
	v_cmpx_ne_u64_e32 0, v[34:35]
	s_xor_b32 s29, exec_lo, s29
; %bb.7354:                             ;   in Loop: Header=BB2_7140 Depth=2
	v_or_b32_e32 v96, 0x7f, v30
                                        ; implicit-def: $vgpr86
; %bb.7355:                             ;   in Loop: Header=BB2_7140 Depth=2
	s_and_not1_saveexec_b32 s29, s29
; %bb.7356:                             ;   in Loop: Header=BB2_7140 Depth=2
	v_cmp_lt_i32_e32 vcc_lo, -1, v86
	v_cndmask_b32_e32 v96, 0xfc, v112, vcc_lo
; %bb.7357:                             ;   in Loop: Header=BB2_7140 Depth=2
	s_or_b32 exec_lo, exec_lo, s29
.LBB2_7358:                             ;   in Loop: Header=BB2_7140 Depth=2
	s_delay_alu instid0(SALU_CYCLE_1)
	s_or_b32 exec_lo, exec_lo, s11
	v_mov_b32_e32 v34, 0
	s_mov_b32 s11, exec_lo
	v_cmpx_lt_u64_e64 s[12:13], v[10:11]
	s_cbranch_execz .LBB2_7368
; %bb.7359:                             ;   in Loop: Header=BB2_7140 Depth=2
	v_lshrrev_b32_e32 v30, 24, v11
	v_bfrev_b32_e32 v34, 1
	s_mov_b32 s29, exec_lo
	s_delay_alu instid0(VALU_DEP_2)
	v_cmpx_ne_u32_e32 0x80, v30
	s_cbranch_execz .LBB2_7367
; %bb.7360:                             ;   in Loop: Header=BB2_7140 Depth=2
	v_and_b32_e32 v34, 0x7c000000, v11
	v_bfe_u32 v86, v11, 24, 2
	s_delay_alu instid0(VALU_DEP_2) | instskip(SKIP_1) | instid1(SALU_CYCLE_1)
	v_cmp_ne_u32_e32 vcc_lo, 0x7c000000, v34
                                        ; implicit-def: $vgpr34
	s_and_saveexec_b32 s40, vcc_lo
	s_xor_b32 s40, exec_lo, s40
	s_cbranch_execz .LBB2_7364
; %bb.7361:                             ;   in Loop: Header=BB2_7140 Depth=2
	v_bfe_u32 v34, v11, 26, 5
	s_mov_b32 s41, exec_lo
	s_delay_alu instid0(VALU_DEP_1)
	v_cmpx_eq_u32_e32 0, v34
; %bb.7362:                             ;   in Loop: Header=BB2_7140 Depth=2
	v_clz_i32_u32_e32 v34, v86
	s_delay_alu instid0(VALU_DEP_1) | instskip(NEXT) | instid1(VALU_DEP_1)
	v_min_u32_e32 v34, 32, v34
	v_subrev_nc_u32_e32 v86, 29, v34
	v_sub_nc_u32_e32 v34, 30, v34
	s_delay_alu instid0(VALU_DEP_2) | instskip(NEXT) | instid1(VALU_DEP_1)
	v_lshlrev_b64_e32 v[86:87], v86, v[30:31]
	v_and_b32_e32 v86, 3, v86
; %bb.7363:                             ;   in Loop: Header=BB2_7140 Depth=2
	s_or_b32 exec_lo, exec_lo, s41
	v_and_b32_e32 v30, 0x80000000, v11
	s_delay_alu instid0(VALU_DEP_1) | instskip(NEXT) | instid1(VALU_DEP_1)
	v_lshl_add_u32 v30, v34, 23, v30
	v_lshl_or_b32 v30, v86, 21, v30
                                        ; implicit-def: $vgpr86
	s_delay_alu instid0(VALU_DEP_1)
	v_add_nc_u32_e32 v34, 0x38000000, v30
.LBB2_7364:                             ;   in Loop: Header=BB2_7140 Depth=2
	s_and_not1_saveexec_b32 s40, s40
; %bb.7365:                             ;   in Loop: Header=BB2_7140 Depth=2
	v_cmp_lt_i64_e32 vcc_lo, -1, v[10:11]
	v_cndmask_b32_e32 v10, 0xff800000, v103, vcc_lo
	v_cmp_eq_u32_e32 vcc_lo, 0, v86
	s_delay_alu instid0(VALU_DEP_2)
	v_cndmask_b32_e32 v34, 0x7f800001, v10, vcc_lo
; %bb.7366:                             ;   in Loop: Header=BB2_7140 Depth=2
	s_or_b32 exec_lo, exec_lo, s40
.LBB2_7367:                             ;   in Loop: Header=BB2_7140 Depth=2
	s_delay_alu instid0(SALU_CYCLE_1)
	s_or_b32 exec_lo, exec_lo, s29
.LBB2_7368:                             ;   in Loop: Header=BB2_7140 Depth=2
	s_delay_alu instid0(SALU_CYCLE_1) | instskip(NEXT) | instid1(VALU_DEP_1)
	s_or_b32 exec_lo, exec_lo, s11
	v_dual_mul_f32 v10, s28, v34 :: v_dual_mov_b32 v87, v35
                                        ; implicit-def: $vgpr30
	s_mov_b32 s11, exec_lo
	s_delay_alu instid0(VALU_DEP_1) | instskip(SKIP_2) | instid1(VALU_DEP_3)
	v_and_b32_e32 v86, 0x7f800000, v10
	v_and_b32_e32 v34, 0x7fffff, v10
	v_lshrrev_b32_e32 v11, 24, v10
	v_cmpx_ne_u64_e32 0x7f800000, v[86:87]
	s_xor_b32 s29, exec_lo, s11
	s_cbranch_execz .LBB2_7382
; %bb.7369:                             ;   in Loop: Header=BB2_7140 Depth=2
	v_and_b32_e32 v86, 0x7fffffff, v10
	v_mov_b32_e32 v87, v35
	v_and_b32_e32 v97, 0x80, v11
                                        ; implicit-def: $vgpr30
	s_mov_b32 s11, exec_lo
	s_delay_alu instid0(VALU_DEP_2)
	v_cmpx_gt_u64_e32 0x47600001, v[86:87]
	s_xor_b32 s40, exec_lo, s11
	s_cbranch_execz .LBB2_7379
; %bb.7370:                             ;   in Loop: Header=BB2_7140 Depth=2
	v_mov_b32_e32 v30, 0
	s_mov_b32 s41, exec_lo
	v_cmpx_ne_u32_e32 0, v10
	s_cbranch_execz .LBB2_7378
; %bb.7371:                             ;   in Loop: Header=BB2_7140 Depth=2
	v_bfe_u32 v30, v10, 23, 8
	v_or_b32_e32 v86, 0x800000, v34
	s_delay_alu instid0(VALU_DEP_2) | instskip(SKIP_1) | instid1(VALU_DEP_2)
	v_sub_nc_u32_e32 v10, 0x71, v30
	v_cmp_gt_u32_e32 vcc_lo, 0x72, v30
	v_cndmask_b32_e32 v10, 0, v10, vcc_lo
	v_cmp_eq_u32_e32 vcc_lo, 0, v30
	s_delay_alu instid0(VALU_DEP_2) | instskip(NEXT) | instid1(VALU_DEP_1)
	v_cndmask_b32_e64 v40, v10, 0x70, vcc_lo
	v_dual_cndmask_b32 v34, v86, v34, vcc_lo :: v_dual_add_nc_u32 v10, 21, v40
	v_add_nc_u32_e32 v87, 20, v40
	s_delay_alu instid0(VALU_DEP_2) | instskip(NEXT) | instid1(VALU_DEP_2)
	v_lshlrev_b64_e64 v[10:11], v10, -1
	v_lshlrev_b64_e64 v[86:87], v87, 1
	s_delay_alu instid0(VALU_DEP_2) | instskip(NEXT) | instid1(VALU_DEP_3)
	v_bfi_b32 v43, v11, 0, 0
	v_bfi_b32 v42, v10, 0, v34
	v_lshrrev_b64 v[10:11], v40, v[34:35]
	s_delay_alu instid0(VALU_DEP_2) | instskip(NEXT) | instid1(VALU_DEP_2)
	v_cmp_eq_u64_e64 s11, v[42:43], v[86:87]
	v_mov_b64_e32 v[86:87], v[10:11]
	s_and_saveexec_b32 s42, s11
; %bb.7372:                             ;   in Loop: Header=BB2_7140 Depth=2
	v_bfe_u32 v34, v10, 21, 1
	s_delay_alu instid0(VALU_DEP_1) | instskip(NEXT) | instid1(VALU_DEP_1)
	v_add_nc_u64_e32 v[86:87], v[10:11], v[34:35]
	v_add_nc_u64_e32 v[86:87], -1, v[86:87]
; %bb.7373:                             ;   in Loop: Header=BB2_7140 Depth=2
	s_or_b32 exec_lo, exec_lo, s42
	v_add_nc_u32_e32 v11, 0xffffff81, v30
	v_lshrrev_b32_e32 v30, 23, v10
	s_mov_b32 s11, exec_lo
	s_delay_alu instid0(VALU_DEP_2) | instskip(NEXT) | instid1(VALU_DEP_1)
	v_cndmask_b32_e64 v11, v11, 0xffffff82, vcc_lo
	v_add3_u32 v87, v40, v11, v30
	v_and_b32_e32 v11, 0x1fffff, v86
                                        ; implicit-def: $vgpr30
	s_delay_alu instid0(VALU_DEP_1) | instskip(NEXT) | instid1(VALU_DEP_1)
	v_dual_add_nc_u32 v86, 14, v87 :: v_dual_add_nc_u32 v34, v11, v10
                                        ; implicit-def: $vgpr10_vgpr11
	v_cmpx_ne_u32_e32 0, v86
	s_xor_b32 s11, exec_lo, s11
; %bb.7374:                             ;   in Loop: Header=BB2_7140 Depth=2
	s_delay_alu instid0(VALU_DEP_2) | instskip(SKIP_1) | instid1(VALU_DEP_1)
	v_cmp_lt_u64_e32 vcc_lo, 0xffffff, v[34:35]
	v_add_nc_u32_e32 v10, 15, v87
	v_cndmask_b32_e32 v30, v86, v10, vcc_lo
	v_cndmask_b32_e64 v10, 0, 1, vcc_lo
	s_delay_alu instid0(VALU_DEP_1)
	v_lshrrev_b64 v[10:11], v10, v[34:35]
; %bb.7375:                             ;   in Loop: Header=BB2_7140 Depth=2
	s_and_not1_saveexec_b32 s11, s11
; %bb.7376:                             ;   in Loop: Header=BB2_7140 Depth=2
	v_mov_b64_e32 v[10:11], v[34:35]
	v_bfe_u32 v30, v34, 23, 1
; %bb.7377:                             ;   in Loop: Header=BB2_7140 Depth=2
	s_or_b32 exec_lo, exec_lo, s11
	s_delay_alu instid0(VALU_DEP_2) | instskip(NEXT) | instid1(VALU_DEP_2)
	v_lshrrev_b64 v[10:11], 21, v[10:11]
	v_cmp_gt_i32_e32 vcc_lo, 32, v30
	v_min_i32_e32 v34, 31, v30
	v_cmp_eq_u32_e64 s11, 0, v30
	s_delay_alu instid0(VALU_DEP_2) | instskip(SKIP_1) | instid1(VALU_DEP_2)
	v_dual_cndmask_b32 v11, 0, v11 :: v_dual_lshlrev_b32 v34, 2, v34
	v_cndmask_b32_e32 v10, 3, v10, vcc_lo
	v_and_b32_e32 v34, 0xfc, v34
	s_delay_alu instid0(VALU_DEP_2) | instskip(NEXT) | instid1(VALU_DEP_2)
	v_cmp_eq_u64_e32 vcc_lo, 0, v[10:11]
	v_and_or_b32 v10, v10, 3, v34
	s_and_b32 s11, s11, vcc_lo
	s_delay_alu instid0(VALU_DEP_1) | instid1(SALU_CYCLE_1)
	v_cndmask_b32_e64 v10, v10, 0, s11
	s_delay_alu instid0(VALU_DEP_1)
	v_or_b32_e32 v30, v10, v97
.LBB2_7378:                             ;   in Loop: Header=BB2_7140 Depth=2
	s_or_b32 exec_lo, exec_lo, s41
                                        ; implicit-def: $vgpr97
.LBB2_7379:                             ;   in Loop: Header=BB2_7140 Depth=2
	s_and_not1_saveexec_b32 s11, s40
; %bb.7380:                             ;   in Loop: Header=BB2_7140 Depth=2
	v_or_b32_e32 v30, 0x7b, v97
; %bb.7381:                             ;   in Loop: Header=BB2_7140 Depth=2
	s_or_b32 exec_lo, exec_lo, s11
                                        ; implicit-def: $vgpr10
                                        ; implicit-def: $vgpr11
.LBB2_7382:                             ;   in Loop: Header=BB2_7140 Depth=2
	s_and_not1_saveexec_b32 s11, s29
	s_cbranch_execz .LBB2_7388
; %bb.7383:                             ;   in Loop: Header=BB2_7140 Depth=2
	s_mov_b32 s29, exec_lo
                                        ; implicit-def: $vgpr30
	v_cmpx_ne_u64_e32 0, v[34:35]
	s_xor_b32 s29, exec_lo, s29
; %bb.7384:                             ;   in Loop: Header=BB2_7140 Depth=2
	v_or_b32_e32 v30, 0x7f, v11
                                        ; implicit-def: $vgpr10
; %bb.7385:                             ;   in Loop: Header=BB2_7140 Depth=2
	s_and_not1_saveexec_b32 s29, s29
; %bb.7386:                             ;   in Loop: Header=BB2_7140 Depth=2
	v_cmp_lt_i32_e32 vcc_lo, -1, v10
	v_cndmask_b32_e32 v30, 0xfc, v112, vcc_lo
; %bb.7387:                             ;   in Loop: Header=BB2_7140 Depth=2
	s_or_b32 exec_lo, exec_lo, s29
.LBB2_7388:                             ;   in Loop: Header=BB2_7140 Depth=2
	s_delay_alu instid0(SALU_CYCLE_1) | instskip(SKIP_1) | instid1(VALU_DEP_1)
	s_or_b32 exec_lo, exec_lo, s11
	v_and_b32_e32 v10, 0xff, v12
	v_cmp_ne_u16_e32 vcc_lo, 0, v10
	v_mov_b32_e32 v10, 0
	s_and_saveexec_b32 s11, vcc_lo
	s_cbranch_execz .LBB2_7398
; %bb.7389:                             ;   in Loop: Header=BB2_7140 Depth=2
	v_bfe_i32 v34, v12, 0, 8
	v_bfrev_b32_e32 v10, 1
	s_mov_b32 s29, exec_lo
	s_delay_alu instid0(VALU_DEP_2)
	v_cmpx_ne_u16_e32 0xff80, v34
	s_cbranch_execz .LBB2_7397
; %bb.7390:                             ;   in Loop: Header=BB2_7140 Depth=2
	v_and_b32_e32 v10, 0x7c, v12
	v_and_b32_e32 v11, 3, v12
	s_delay_alu instid0(VALU_DEP_2) | instskip(SKIP_1) | instid1(SALU_CYCLE_1)
	v_cmp_ne_u32_e32 vcc_lo, 0x7c, v10
                                        ; implicit-def: $vgpr10
	s_and_saveexec_b32 s40, vcc_lo
	s_xor_b32 s40, exec_lo, s40
	s_cbranch_execz .LBB2_7394
; %bb.7391:                             ;   in Loop: Header=BB2_7140 Depth=2
	v_bfe_u32 v10, v12, 2, 5
	s_mov_b32 s41, exec_lo
	s_delay_alu instid0(VALU_DEP_1)
	v_cmpx_eq_u32_e32 0, v10
; %bb.7392:                             ;   in Loop: Header=BB2_7140 Depth=2
	v_clz_i32_u32_e32 v10, v11
	s_delay_alu instid0(VALU_DEP_1) | instskip(NEXT) | instid1(VALU_DEP_1)
	v_min_u32_e32 v10, 32, v10
	v_subrev_nc_u32_e32 v11, 29, v10
	v_sub_nc_u32_e32 v10, 30, v10
	s_delay_alu instid0(VALU_DEP_2) | instskip(NEXT) | instid1(VALU_DEP_1)
	v_lshlrev_b64_e32 v[86:87], v11, v[12:13]
	v_and_b32_e32 v11, 3, v86
; %bb.7393:                             ;   in Loop: Header=BB2_7140 Depth=2
	s_or_b32 exec_lo, exec_lo, s41
	v_lshlrev_b32_e32 v34, 24, v12
	s_delay_alu instid0(VALU_DEP_1) | instskip(NEXT) | instid1(VALU_DEP_1)
	v_and_b32_e32 v34, 0x80000000, v34
	v_lshl_add_u32 v10, v10, 23, v34
                                        ; implicit-def: $vgpr34
	s_delay_alu instid0(VALU_DEP_1) | instskip(NEXT) | instid1(VALU_DEP_1)
	v_lshl_or_b32 v10, v11, 21, v10
                                        ; implicit-def: $vgpr11
	v_add_nc_u32_e32 v10, 0x38000000, v10
.LBB2_7394:                             ;   in Loop: Header=BB2_7140 Depth=2
	s_and_not1_saveexec_b32 s40, s40
; %bb.7395:                             ;   in Loop: Header=BB2_7140 Depth=2
	v_cmp_lt_i16_e32 vcc_lo, -1, v34
	v_cndmask_b32_e32 v10, 0xff800000, v103, vcc_lo
	v_cmp_eq_u32_e32 vcc_lo, 0, v11
	s_delay_alu instid0(VALU_DEP_2)
	v_cndmask_b32_e32 v10, 0x7f800001, v10, vcc_lo
; %bb.7396:                             ;   in Loop: Header=BB2_7140 Depth=2
	s_or_b32 exec_lo, exec_lo, s40
.LBB2_7397:                             ;   in Loop: Header=BB2_7140 Depth=2
	s_delay_alu instid0(SALU_CYCLE_1)
	s_or_b32 exec_lo, exec_lo, s29
.LBB2_7398:                             ;   in Loop: Header=BB2_7140 Depth=2
	s_delay_alu instid0(SALU_CYCLE_1) | instskip(NEXT) | instid1(VALU_DEP_1)
	s_or_b32 exec_lo, exec_lo, s11
	v_dual_mul_f32 v10, s28, v10 :: v_dual_mov_b32 v87, v35
                                        ; implicit-def: $vgpr97
	s_mov_b32 s11, exec_lo
	s_delay_alu instid0(VALU_DEP_1) | instskip(SKIP_2) | instid1(VALU_DEP_3)
	v_and_b32_e32 v86, 0x7f800000, v10
	v_and_b32_e32 v34, 0x7fffff, v10
	v_lshrrev_b32_e32 v11, 24, v10
	v_cmpx_ne_u64_e32 0x7f800000, v[86:87]
	s_xor_b32 s29, exec_lo, s11
	s_cbranch_execz .LBB2_7412
; %bb.7399:                             ;   in Loop: Header=BB2_7140 Depth=2
	v_and_b32_e32 v86, 0x7fffffff, v10
	v_mov_b32_e32 v87, v35
	v_and_b32_e32 v40, 0x80, v11
                                        ; implicit-def: $vgpr97
	s_mov_b32 s11, exec_lo
	s_delay_alu instid0(VALU_DEP_2)
	v_cmpx_gt_u64_e32 0x47600001, v[86:87]
	s_xor_b32 s40, exec_lo, s11
	s_cbranch_execz .LBB2_7409
; %bb.7400:                             ;   in Loop: Header=BB2_7140 Depth=2
	v_mov_b32_e32 v97, 0
	s_mov_b32 s41, exec_lo
	v_cmpx_ne_u32_e32 0, v10
	s_cbranch_execz .LBB2_7408
; %bb.7401:                             ;   in Loop: Header=BB2_7140 Depth=2
	v_bfe_u32 v97, v10, 23, 8
	v_or_b32_e32 v86, 0x800000, v34
	s_delay_alu instid0(VALU_DEP_2) | instskip(SKIP_1) | instid1(VALU_DEP_2)
	v_sub_nc_u32_e32 v10, 0x71, v97
	v_cmp_gt_u32_e32 vcc_lo, 0x72, v97
	v_cndmask_b32_e32 v10, 0, v10, vcc_lo
	v_cmp_eq_u32_e32 vcc_lo, 0, v97
	s_delay_alu instid0(VALU_DEP_2) | instskip(NEXT) | instid1(VALU_DEP_1)
	v_cndmask_b32_e64 v41, v10, 0x70, vcc_lo
	v_dual_cndmask_b32 v34, v86, v34, vcc_lo :: v_dual_add_nc_u32 v10, 21, v41
	v_add_nc_u32_e32 v87, 20, v41
	s_delay_alu instid0(VALU_DEP_2) | instskip(NEXT) | instid1(VALU_DEP_2)
	v_lshlrev_b64_e64 v[10:11], v10, -1
	v_lshlrev_b64_e64 v[86:87], v87, 1
	s_delay_alu instid0(VALU_DEP_2) | instskip(NEXT) | instid1(VALU_DEP_3)
	v_bfi_b32 v43, v11, 0, 0
	v_bfi_b32 v42, v10, 0, v34
	v_lshrrev_b64 v[10:11], v41, v[34:35]
	s_delay_alu instid0(VALU_DEP_2) | instskip(NEXT) | instid1(VALU_DEP_2)
	v_cmp_eq_u64_e64 s11, v[42:43], v[86:87]
	v_mov_b64_e32 v[86:87], v[10:11]
	s_and_saveexec_b32 s42, s11
; %bb.7402:                             ;   in Loop: Header=BB2_7140 Depth=2
	v_bfe_u32 v34, v10, 21, 1
	s_delay_alu instid0(VALU_DEP_1) | instskip(NEXT) | instid1(VALU_DEP_1)
	v_add_nc_u64_e32 v[86:87], v[10:11], v[34:35]
	v_add_nc_u64_e32 v[86:87], -1, v[86:87]
; %bb.7403:                             ;   in Loop: Header=BB2_7140 Depth=2
	s_or_b32 exec_lo, exec_lo, s42
	v_add_nc_u32_e32 v11, 0xffffff81, v97
	v_lshrrev_b32_e32 v34, 23, v10
	s_mov_b32 s11, exec_lo
	s_delay_alu instid0(VALU_DEP_2) | instskip(NEXT) | instid1(VALU_DEP_1)
	v_cndmask_b32_e64 v11, v11, 0xffffff82, vcc_lo
	v_add3_u32 v87, v41, v11, v34
	v_and_b32_e32 v11, 0x1fffff, v86
                                        ; implicit-def: $vgpr86
	s_delay_alu instid0(VALU_DEP_1) | instskip(NEXT) | instid1(VALU_DEP_1)
	v_dual_add_nc_u32 v97, 14, v87 :: v_dual_add_nc_u32 v34, v11, v10
                                        ; implicit-def: $vgpr10_vgpr11
	v_cmpx_ne_u32_e32 0, v97
	s_xor_b32 s11, exec_lo, s11
; %bb.7404:                             ;   in Loop: Header=BB2_7140 Depth=2
	s_delay_alu instid0(VALU_DEP_2) | instskip(SKIP_1) | instid1(VALU_DEP_1)
	v_cmp_lt_u64_e32 vcc_lo, 0xffffff, v[34:35]
	v_add_nc_u32_e32 v10, 15, v87
	v_cndmask_b32_e32 v86, v97, v10, vcc_lo
	v_cndmask_b32_e64 v10, 0, 1, vcc_lo
	s_delay_alu instid0(VALU_DEP_1)
	v_lshrrev_b64 v[10:11], v10, v[34:35]
; %bb.7405:                             ;   in Loop: Header=BB2_7140 Depth=2
	s_and_not1_saveexec_b32 s11, s11
; %bb.7406:                             ;   in Loop: Header=BB2_7140 Depth=2
	v_mov_b64_e32 v[10:11], v[34:35]
	v_bfe_u32 v86, v34, 23, 1
; %bb.7407:                             ;   in Loop: Header=BB2_7140 Depth=2
	s_or_b32 exec_lo, exec_lo, s11
	s_delay_alu instid0(VALU_DEP_2) | instskip(NEXT) | instid1(VALU_DEP_2)
	v_lshrrev_b64 v[10:11], 21, v[10:11]
	v_cmp_gt_i32_e32 vcc_lo, 32, v86
	v_min_i32_e32 v34, 31, v86
	v_cmp_eq_u32_e64 s11, 0, v86
	s_delay_alu instid0(VALU_DEP_2) | instskip(SKIP_1) | instid1(VALU_DEP_2)
	v_dual_cndmask_b32 v11, 0, v11 :: v_dual_lshlrev_b32 v34, 2, v34
	v_cndmask_b32_e32 v10, 3, v10, vcc_lo
	v_and_b32_e32 v34, 0xfc, v34
	s_delay_alu instid0(VALU_DEP_2) | instskip(NEXT) | instid1(VALU_DEP_2)
	v_cmp_eq_u64_e32 vcc_lo, 0, v[10:11]
	v_and_or_b32 v10, v10, 3, v34
	s_and_b32 s11, s11, vcc_lo
	s_delay_alu instid0(VALU_DEP_1) | instid1(SALU_CYCLE_1)
	v_cndmask_b32_e64 v10, v10, 0, s11
	s_delay_alu instid0(VALU_DEP_1)
	v_or_b32_e32 v97, v10, v40
.LBB2_7408:                             ;   in Loop: Header=BB2_7140 Depth=2
	s_or_b32 exec_lo, exec_lo, s41
                                        ; implicit-def: $vgpr40
.LBB2_7409:                             ;   in Loop: Header=BB2_7140 Depth=2
	s_and_not1_saveexec_b32 s11, s40
; %bb.7410:                             ;   in Loop: Header=BB2_7140 Depth=2
	v_or_b32_e32 v97, 0x7b, v40
; %bb.7411:                             ;   in Loop: Header=BB2_7140 Depth=2
	s_or_b32 exec_lo, exec_lo, s11
                                        ; implicit-def: $vgpr10
                                        ; implicit-def: $vgpr11
.LBB2_7412:                             ;   in Loop: Header=BB2_7140 Depth=2
	s_and_not1_saveexec_b32 s11, s29
	s_cbranch_execz .LBB2_7418
; %bb.7413:                             ;   in Loop: Header=BB2_7140 Depth=2
	s_mov_b32 s29, exec_lo
                                        ; implicit-def: $vgpr97
	v_cmpx_ne_u64_e32 0, v[34:35]
	s_xor_b32 s29, exec_lo, s29
; %bb.7414:                             ;   in Loop: Header=BB2_7140 Depth=2
	v_or_b32_e32 v97, 0x7f, v11
                                        ; implicit-def: $vgpr10
; %bb.7415:                             ;   in Loop: Header=BB2_7140 Depth=2
	s_and_not1_saveexec_b32 s29, s29
; %bb.7416:                             ;   in Loop: Header=BB2_7140 Depth=2
	v_cmp_lt_i32_e32 vcc_lo, -1, v10
	v_cndmask_b32_e32 v97, 0xfc, v112, vcc_lo
; %bb.7417:                             ;   in Loop: Header=BB2_7140 Depth=2
	s_or_b32 exec_lo, exec_lo, s29
.LBB2_7418:                             ;   in Loop: Header=BB2_7140 Depth=2
	s_delay_alu instid0(SALU_CYCLE_1) | instskip(SKIP_3) | instid1(VALU_DEP_2)
	s_or_b32 exec_lo, exec_lo, s11
	v_lshrrev_b16 v34, 8, v12
	v_mov_b32_e32 v11, 0
	s_mov_b32 s11, exec_lo
	v_cmpx_ne_u16_e32 0, v34
	s_cbranch_execz .LBB2_7428
; %bb.7419:                             ;   in Loop: Header=BB2_7140 Depth=2
	v_bfrev_b32_e32 v11, 1
	s_mov_b32 s29, exec_lo
	v_cmpx_ne_u16_e32 0x80, v34
	s_cbranch_execz .LBB2_7427
; %bb.7420:                             ;   in Loop: Header=BB2_7140 Depth=2
	v_and_b32_e32 v86, 0xffff, v34
	s_delay_alu instid0(VALU_DEP_1) | instskip(SKIP_1) | instid1(VALU_DEP_2)
	v_and_b32_e32 v11, 0x7c, v86
	v_and_b32_e32 v10, 3, v86
	v_cmp_ne_u32_e32 vcc_lo, 0x7c, v11
                                        ; implicit-def: $vgpr11
	s_and_saveexec_b32 s40, vcc_lo
	s_delay_alu instid0(SALU_CYCLE_1)
	s_xor_b32 s40, exec_lo, s40
	s_cbranch_execz .LBB2_7424
; %bb.7421:                             ;   in Loop: Header=BB2_7140 Depth=2
	v_bfe_u32 v11, v86, 2, 5
	s_mov_b32 s41, exec_lo
	s_delay_alu instid0(VALU_DEP_1)
	v_cmpx_eq_u32_e32 0, v11
; %bb.7422:                             ;   in Loop: Header=BB2_7140 Depth=2
	v_clz_i32_u32_e32 v10, v10
	s_delay_alu instid0(VALU_DEP_1) | instskip(NEXT) | instid1(VALU_DEP_1)
	v_min_u32_e32 v86, 32, v10
	v_subrev_nc_u32_e32 v10, 29, v86
	s_delay_alu instid0(VALU_DEP_1) | instskip(SKIP_1) | instid1(VALU_DEP_2)
	v_lshlrev_b64_e32 v[10:11], v10, v[34:35]
	v_sub_nc_u32_e32 v11, 30, v86
	v_and_b32_e32 v10, 3, v10
; %bb.7423:                             ;   in Loop: Header=BB2_7140 Depth=2
	s_or_b32 exec_lo, exec_lo, s41
	v_lshlrev_b32_e32 v34, 16, v12
	s_delay_alu instid0(VALU_DEP_1) | instskip(NEXT) | instid1(VALU_DEP_1)
	v_and_b32_e32 v34, 0x80000000, v34
	v_lshl_add_u32 v11, v11, 23, v34
	s_delay_alu instid0(VALU_DEP_1) | instskip(NEXT) | instid1(VALU_DEP_1)
	v_lshl_or_b32 v10, v10, 21, v11
	v_add_nc_u32_e32 v11, 0x38000000, v10
                                        ; implicit-def: $vgpr10
.LBB2_7424:                             ;   in Loop: Header=BB2_7140 Depth=2
	s_and_not1_saveexec_b32 s40, s40
; %bb.7425:                             ;   in Loop: Header=BB2_7140 Depth=2
	v_cmp_lt_i16_e32 vcc_lo, -1, v12
	v_cndmask_b32_e32 v11, 0xff800000, v103, vcc_lo
	v_cmp_eq_u32_e32 vcc_lo, 0, v10
	s_delay_alu instid0(VALU_DEP_2)
	v_cndmask_b32_e32 v11, 0x7f800001, v11, vcc_lo
; %bb.7426:                             ;   in Loop: Header=BB2_7140 Depth=2
	s_or_b32 exec_lo, exec_lo, s40
.LBB2_7427:                             ;   in Loop: Header=BB2_7140 Depth=2
	s_delay_alu instid0(SALU_CYCLE_1)
	s_or_b32 exec_lo, exec_lo, s29
.LBB2_7428:                             ;   in Loop: Header=BB2_7140 Depth=2
	s_delay_alu instid0(SALU_CYCLE_1) | instskip(NEXT) | instid1(VALU_DEP_1)
	s_or_b32 exec_lo, exec_lo, s11
	v_dual_mul_f32 v10, s28, v11 :: v_dual_mov_b32 v87, v35
                                        ; implicit-def: $vgpr40
	s_mov_b32 s11, exec_lo
	s_delay_alu instid0(VALU_DEP_1) | instskip(SKIP_2) | instid1(VALU_DEP_3)
	v_and_b32_e32 v86, 0x7f800000, v10
	v_and_b32_e32 v34, 0x7fffff, v10
	v_lshrrev_b32_e32 v11, 24, v10
	v_cmpx_ne_u64_e32 0x7f800000, v[86:87]
	s_xor_b32 s29, exec_lo, s11
	s_cbranch_execz .LBB2_7442
; %bb.7429:                             ;   in Loop: Header=BB2_7140 Depth=2
	v_and_b32_e32 v86, 0x7fffffff, v10
	v_mov_b32_e32 v87, v35
	v_and_b32_e32 v41, 0x80, v11
                                        ; implicit-def: $vgpr40
	s_mov_b32 s11, exec_lo
	s_delay_alu instid0(VALU_DEP_2)
	v_cmpx_gt_u64_e32 0x47600001, v[86:87]
	s_xor_b32 s40, exec_lo, s11
	s_cbranch_execz .LBB2_7439
; %bb.7430:                             ;   in Loop: Header=BB2_7140 Depth=2
	v_mov_b32_e32 v40, 0
	s_mov_b32 s41, exec_lo
	v_cmpx_ne_u32_e32 0, v10
	s_cbranch_execz .LBB2_7438
; %bb.7431:                             ;   in Loop: Header=BB2_7140 Depth=2
	v_bfe_u32 v40, v10, 23, 8
	v_or_b32_e32 v86, 0x800000, v34
	s_delay_alu instid0(VALU_DEP_2) | instskip(SKIP_1) | instid1(VALU_DEP_2)
	v_sub_nc_u32_e32 v10, 0x71, v40
	v_cmp_gt_u32_e32 vcc_lo, 0x72, v40
	v_cndmask_b32_e32 v10, 0, v10, vcc_lo
	v_cmp_eq_u32_e32 vcc_lo, 0, v40
	s_delay_alu instid0(VALU_DEP_2) | instskip(SKIP_1) | instid1(VALU_DEP_2)
	v_cndmask_b32_e64 v42, v10, 0x70, vcc_lo
	v_cndmask_b32_e32 v34, v86, v34, vcc_lo
	v_dual_add_nc_u32 v10, 21, v42 :: v_dual_add_nc_u32 v87, 20, v42
	s_delay_alu instid0(VALU_DEP_1) | instskip(NEXT) | instid1(VALU_DEP_2)
	v_lshlrev_b64_e64 v[10:11], v10, -1
	v_lshlrev_b64_e64 v[86:87], v87, 1
	s_delay_alu instid0(VALU_DEP_2) | instskip(NEXT) | instid1(VALU_DEP_3)
	v_bfi_b32 v45, v11, 0, 0
	v_bfi_b32 v44, v10, 0, v34
	v_lshrrev_b64 v[10:11], v42, v[34:35]
	s_delay_alu instid0(VALU_DEP_2) | instskip(NEXT) | instid1(VALU_DEP_2)
	v_cmp_eq_u64_e64 s11, v[44:45], v[86:87]
	v_mov_b64_e32 v[86:87], v[10:11]
	s_and_saveexec_b32 s42, s11
; %bb.7432:                             ;   in Loop: Header=BB2_7140 Depth=2
	v_bfe_u32 v34, v10, 21, 1
	s_delay_alu instid0(VALU_DEP_1) | instskip(NEXT) | instid1(VALU_DEP_1)
	v_add_nc_u64_e32 v[86:87], v[10:11], v[34:35]
	v_add_nc_u64_e32 v[86:87], -1, v[86:87]
; %bb.7433:                             ;   in Loop: Header=BB2_7140 Depth=2
	s_or_b32 exec_lo, exec_lo, s42
	v_add_nc_u32_e32 v11, 0xffffff81, v40
	v_lshrrev_b32_e32 v34, 23, v10
	s_mov_b32 s11, exec_lo
	s_delay_alu instid0(VALU_DEP_2) | instskip(NEXT) | instid1(VALU_DEP_1)
	v_cndmask_b32_e64 v11, v11, 0xffffff82, vcc_lo
	v_add3_u32 v87, v42, v11, v34
	v_and_b32_e32 v11, 0x1fffff, v86
                                        ; implicit-def: $vgpr86
	s_delay_alu instid0(VALU_DEP_1) | instskip(NEXT) | instid1(VALU_DEP_1)
	v_dual_add_nc_u32 v40, 14, v87 :: v_dual_add_nc_u32 v34, v11, v10
                                        ; implicit-def: $vgpr10_vgpr11
	v_cmpx_ne_u32_e32 0, v40
	s_xor_b32 s11, exec_lo, s11
; %bb.7434:                             ;   in Loop: Header=BB2_7140 Depth=2
	s_delay_alu instid0(VALU_DEP_2) | instskip(SKIP_1) | instid1(VALU_DEP_1)
	v_cmp_lt_u64_e32 vcc_lo, 0xffffff, v[34:35]
	v_add_nc_u32_e32 v10, 15, v87
	v_cndmask_b32_e32 v86, v40, v10, vcc_lo
	v_cndmask_b32_e64 v10, 0, 1, vcc_lo
	s_delay_alu instid0(VALU_DEP_1)
	v_lshrrev_b64 v[10:11], v10, v[34:35]
; %bb.7435:                             ;   in Loop: Header=BB2_7140 Depth=2
	s_and_not1_saveexec_b32 s11, s11
; %bb.7436:                             ;   in Loop: Header=BB2_7140 Depth=2
	v_mov_b64_e32 v[10:11], v[34:35]
	v_bfe_u32 v86, v34, 23, 1
; %bb.7437:                             ;   in Loop: Header=BB2_7140 Depth=2
	s_or_b32 exec_lo, exec_lo, s11
	s_delay_alu instid0(VALU_DEP_2) | instskip(NEXT) | instid1(VALU_DEP_2)
	v_lshrrev_b64 v[10:11], 21, v[10:11]
	v_cmp_gt_i32_e32 vcc_lo, 32, v86
	v_min_i32_e32 v34, 31, v86
	v_cmp_eq_u32_e64 s11, 0, v86
	s_delay_alu instid0(VALU_DEP_2) | instskip(SKIP_1) | instid1(VALU_DEP_2)
	v_dual_cndmask_b32 v11, 0, v11 :: v_dual_lshlrev_b32 v34, 2, v34
	v_cndmask_b32_e32 v10, 3, v10, vcc_lo
	v_and_b32_e32 v34, 0xfc, v34
	s_delay_alu instid0(VALU_DEP_2) | instskip(NEXT) | instid1(VALU_DEP_2)
	v_cmp_eq_u64_e32 vcc_lo, 0, v[10:11]
	v_and_or_b32 v10, v10, 3, v34
	s_and_b32 s11, s11, vcc_lo
	s_delay_alu instid0(VALU_DEP_1) | instid1(SALU_CYCLE_1)
	v_cndmask_b32_e64 v10, v10, 0, s11
	s_delay_alu instid0(VALU_DEP_1)
	v_or_b32_e32 v40, v10, v41
.LBB2_7438:                             ;   in Loop: Header=BB2_7140 Depth=2
	s_or_b32 exec_lo, exec_lo, s41
                                        ; implicit-def: $vgpr41
.LBB2_7439:                             ;   in Loop: Header=BB2_7140 Depth=2
	s_and_not1_saveexec_b32 s11, s40
; %bb.7440:                             ;   in Loop: Header=BB2_7140 Depth=2
	v_or_b32_e32 v40, 0x7b, v41
; %bb.7441:                             ;   in Loop: Header=BB2_7140 Depth=2
	s_or_b32 exec_lo, exec_lo, s11
                                        ; implicit-def: $vgpr10
                                        ; implicit-def: $vgpr11
.LBB2_7442:                             ;   in Loop: Header=BB2_7140 Depth=2
	s_and_not1_saveexec_b32 s11, s29
	s_cbranch_execz .LBB2_7448
; %bb.7443:                             ;   in Loop: Header=BB2_7140 Depth=2
	s_mov_b32 s29, exec_lo
                                        ; implicit-def: $vgpr40
	v_cmpx_ne_u64_e32 0, v[34:35]
	s_xor_b32 s29, exec_lo, s29
; %bb.7444:                             ;   in Loop: Header=BB2_7140 Depth=2
	v_or_b32_e32 v40, 0x7f, v11
                                        ; implicit-def: $vgpr10
; %bb.7445:                             ;   in Loop: Header=BB2_7140 Depth=2
	s_and_not1_saveexec_b32 s29, s29
; %bb.7446:                             ;   in Loop: Header=BB2_7140 Depth=2
	v_cmp_lt_i32_e32 vcc_lo, -1, v10
	v_cndmask_b32_e32 v40, 0xfc, v112, vcc_lo
; %bb.7447:                             ;   in Loop: Header=BB2_7140 Depth=2
	s_or_b32 exec_lo, exec_lo, s29
.LBB2_7448:                             ;   in Loop: Header=BB2_7140 Depth=2
	s_delay_alu instid0(SALU_CYCLE_1) | instskip(SKIP_2) | instid1(VALU_DEP_1)
	s_or_b32 exec_lo, exec_lo, s11
	v_dual_mov_b32 v11, 0 :: v_dual_lshrrev_b32 v10, 16, v12
	s_mov_b32 s11, exec_lo
	v_and_b32_e32 v34, 0xff, v10
	s_delay_alu instid0(VALU_DEP_1)
	v_cmpx_ne_u16_e32 0, v34
	s_cbranch_execz .LBB2_7458
; %bb.7449:                             ;   in Loop: Header=BB2_7140 Depth=2
	v_bfrev_b32_e32 v11, 1
	s_mov_b32 s29, exec_lo
	v_cmpx_ne_u16_e32 0x80, v34
	s_cbranch_execz .LBB2_7457
; %bb.7450:                             ;   in Loop: Header=BB2_7140 Depth=2
	v_and_b32_e32 v11, 0x7c0000, v12
	v_bfe_u32 v34, v12, 16, 2
	s_delay_alu instid0(VALU_DEP_2) | instskip(SKIP_1) | instid1(SALU_CYCLE_1)
	v_cmp_ne_u32_e32 vcc_lo, 0x7c0000, v11
                                        ; implicit-def: $vgpr11
	s_and_saveexec_b32 s40, vcc_lo
	s_xor_b32 s40, exec_lo, s40
	s_cbranch_execz .LBB2_7454
; %bb.7451:                             ;   in Loop: Header=BB2_7140 Depth=2
	v_bfe_u32 v11, v12, 18, 5
	s_mov_b32 s41, exec_lo
	s_delay_alu instid0(VALU_DEP_1)
	v_cmpx_eq_u32_e32 0, v11
; %bb.7452:                             ;   in Loop: Header=BB2_7140 Depth=2
	v_clz_i32_u32_e32 v11, v34
	s_delay_alu instid0(VALU_DEP_1) | instskip(NEXT) | instid1(VALU_DEP_1)
	v_min_u32_e32 v11, 32, v11
	v_subrev_nc_u32_e32 v34, 29, v11
	s_delay_alu instid0(VALU_DEP_1) | instskip(NEXT) | instid1(VALU_DEP_1)
	v_lshlrev_b64_e32 v[86:87], v34, v[10:11]
	v_dual_sub_nc_u32 v11, 30, v11 :: v_dual_bitop2_b32 v34, 3, v86 bitop3:0x40
; %bb.7453:                             ;   in Loop: Header=BB2_7140 Depth=2
	s_or_b32 exec_lo, exec_lo, s41
	v_lshlrev_b32_e32 v10, 24, v10
	s_delay_alu instid0(VALU_DEP_1) | instskip(NEXT) | instid1(VALU_DEP_1)
	v_and_b32_e32 v10, 0x80000000, v10
	v_lshl_add_u32 v10, v11, 23, v10
	s_delay_alu instid0(VALU_DEP_1) | instskip(NEXT) | instid1(VALU_DEP_1)
	v_lshl_or_b32 v10, v34, 21, v10
                                        ; implicit-def: $vgpr34
	v_add_nc_u32_e32 v11, 0x38000000, v10
                                        ; implicit-def: $vgpr10
.LBB2_7454:                             ;   in Loop: Header=BB2_7140 Depth=2
	s_and_not1_saveexec_b32 s40, s40
; %bb.7455:                             ;   in Loop: Header=BB2_7140 Depth=2
	v_bfe_i32 v10, v10, 0, 8
	s_delay_alu instid0(VALU_DEP_1) | instskip(SKIP_2) | instid1(VALU_DEP_2)
	v_cmp_lt_i16_e32 vcc_lo, -1, v10
	v_cndmask_b32_e32 v10, 0xff800000, v103, vcc_lo
	v_cmp_eq_u32_e32 vcc_lo, 0, v34
	v_cndmask_b32_e32 v11, 0x7f800001, v10, vcc_lo
; %bb.7456:                             ;   in Loop: Header=BB2_7140 Depth=2
	s_or_b32 exec_lo, exec_lo, s40
.LBB2_7457:                             ;   in Loop: Header=BB2_7140 Depth=2
	s_delay_alu instid0(SALU_CYCLE_1)
	s_or_b32 exec_lo, exec_lo, s29
.LBB2_7458:                             ;   in Loop: Header=BB2_7140 Depth=2
	s_delay_alu instid0(SALU_CYCLE_1) | instskip(NEXT) | instid1(VALU_DEP_1)
	s_or_b32 exec_lo, exec_lo, s11
	v_dual_mul_f32 v10, s28, v11 :: v_dual_mov_b32 v87, v35
                                        ; implicit-def: $vgpr41
	s_mov_b32 s11, exec_lo
	s_delay_alu instid0(VALU_DEP_1) | instskip(SKIP_2) | instid1(VALU_DEP_3)
	v_and_b32_e32 v86, 0x7f800000, v10
	v_and_b32_e32 v34, 0x7fffff, v10
	v_lshrrev_b32_e32 v11, 24, v10
	v_cmpx_ne_u64_e32 0x7f800000, v[86:87]
	s_xor_b32 s29, exec_lo, s11
	s_cbranch_execz .LBB2_7472
; %bb.7459:                             ;   in Loop: Header=BB2_7140 Depth=2
	v_and_b32_e32 v86, 0x7fffffff, v10
	v_mov_b32_e32 v87, v35
	v_and_b32_e32 v42, 0x80, v11
                                        ; implicit-def: $vgpr41
	s_mov_b32 s11, exec_lo
	s_delay_alu instid0(VALU_DEP_2)
	v_cmpx_gt_u64_e32 0x47600001, v[86:87]
	s_xor_b32 s40, exec_lo, s11
	s_cbranch_execz .LBB2_7469
; %bb.7460:                             ;   in Loop: Header=BB2_7140 Depth=2
	v_mov_b32_e32 v41, 0
	s_mov_b32 s41, exec_lo
	v_cmpx_ne_u32_e32 0, v10
	s_cbranch_execz .LBB2_7468
; %bb.7461:                             ;   in Loop: Header=BB2_7140 Depth=2
	v_bfe_u32 v41, v10, 23, 8
	v_or_b32_e32 v86, 0x800000, v34
	s_delay_alu instid0(VALU_DEP_2) | instskip(SKIP_1) | instid1(VALU_DEP_2)
	v_sub_nc_u32_e32 v10, 0x71, v41
	v_cmp_gt_u32_e32 vcc_lo, 0x72, v41
	v_cndmask_b32_e32 v10, 0, v10, vcc_lo
	v_cmp_eq_u32_e32 vcc_lo, 0, v41
	s_delay_alu instid0(VALU_DEP_2) | instskip(NEXT) | instid1(VALU_DEP_1)
	v_cndmask_b32_e64 v43, v10, 0x70, vcc_lo
	v_dual_cndmask_b32 v34, v86, v34, vcc_lo :: v_dual_add_nc_u32 v10, 21, v43
	v_add_nc_u32_e32 v87, 20, v43
	s_delay_alu instid0(VALU_DEP_2) | instskip(NEXT) | instid1(VALU_DEP_2)
	v_lshlrev_b64_e64 v[10:11], v10, -1
	v_lshlrev_b64_e64 v[86:87], v87, 1
	s_delay_alu instid0(VALU_DEP_2) | instskip(NEXT) | instid1(VALU_DEP_3)
	v_bfi_b32 v45, v11, 0, 0
	v_bfi_b32 v44, v10, 0, v34
	v_lshrrev_b64 v[10:11], v43, v[34:35]
	s_delay_alu instid0(VALU_DEP_2) | instskip(NEXT) | instid1(VALU_DEP_2)
	v_cmp_eq_u64_e64 s11, v[44:45], v[86:87]
	v_mov_b64_e32 v[86:87], v[10:11]
	s_and_saveexec_b32 s42, s11
; %bb.7462:                             ;   in Loop: Header=BB2_7140 Depth=2
	v_bfe_u32 v34, v10, 21, 1
	s_delay_alu instid0(VALU_DEP_1) | instskip(NEXT) | instid1(VALU_DEP_1)
	v_add_nc_u64_e32 v[86:87], v[10:11], v[34:35]
	v_add_nc_u64_e32 v[86:87], -1, v[86:87]
; %bb.7463:                             ;   in Loop: Header=BB2_7140 Depth=2
	s_or_b32 exec_lo, exec_lo, s42
	v_add_nc_u32_e32 v11, 0xffffff81, v41
	v_lshrrev_b32_e32 v34, 23, v10
	s_mov_b32 s11, exec_lo
	s_delay_alu instid0(VALU_DEP_2) | instskip(NEXT) | instid1(VALU_DEP_1)
	v_cndmask_b32_e64 v11, v11, 0xffffff82, vcc_lo
	v_add3_u32 v87, v43, v11, v34
	v_and_b32_e32 v11, 0x1fffff, v86
                                        ; implicit-def: $vgpr86
	s_delay_alu instid0(VALU_DEP_1) | instskip(NEXT) | instid1(VALU_DEP_1)
	v_dual_add_nc_u32 v41, 14, v87 :: v_dual_add_nc_u32 v34, v11, v10
                                        ; implicit-def: $vgpr10_vgpr11
	v_cmpx_ne_u32_e32 0, v41
	s_xor_b32 s11, exec_lo, s11
; %bb.7464:                             ;   in Loop: Header=BB2_7140 Depth=2
	s_delay_alu instid0(VALU_DEP_2) | instskip(SKIP_1) | instid1(VALU_DEP_1)
	v_cmp_lt_u64_e32 vcc_lo, 0xffffff, v[34:35]
	v_add_nc_u32_e32 v10, 15, v87
	v_cndmask_b32_e32 v86, v41, v10, vcc_lo
	v_cndmask_b32_e64 v10, 0, 1, vcc_lo
	s_delay_alu instid0(VALU_DEP_1)
	v_lshrrev_b64 v[10:11], v10, v[34:35]
; %bb.7465:                             ;   in Loop: Header=BB2_7140 Depth=2
	s_and_not1_saveexec_b32 s11, s11
; %bb.7466:                             ;   in Loop: Header=BB2_7140 Depth=2
	v_mov_b64_e32 v[10:11], v[34:35]
	v_bfe_u32 v86, v34, 23, 1
; %bb.7467:                             ;   in Loop: Header=BB2_7140 Depth=2
	s_or_b32 exec_lo, exec_lo, s11
	s_delay_alu instid0(VALU_DEP_2) | instskip(NEXT) | instid1(VALU_DEP_2)
	v_lshrrev_b64 v[10:11], 21, v[10:11]
	v_cmp_gt_i32_e32 vcc_lo, 32, v86
	v_min_i32_e32 v34, 31, v86
	v_cmp_eq_u32_e64 s11, 0, v86
	s_delay_alu instid0(VALU_DEP_2) | instskip(SKIP_1) | instid1(VALU_DEP_2)
	v_dual_cndmask_b32 v11, 0, v11 :: v_dual_lshlrev_b32 v34, 2, v34
	v_cndmask_b32_e32 v10, 3, v10, vcc_lo
	v_and_b32_e32 v34, 0xfc, v34
	s_delay_alu instid0(VALU_DEP_2) | instskip(NEXT) | instid1(VALU_DEP_2)
	v_cmp_eq_u64_e32 vcc_lo, 0, v[10:11]
	v_and_or_b32 v10, v10, 3, v34
	s_and_b32 s11, s11, vcc_lo
	s_delay_alu instid0(VALU_DEP_1) | instid1(SALU_CYCLE_1)
	v_cndmask_b32_e64 v10, v10, 0, s11
	s_delay_alu instid0(VALU_DEP_1)
	v_or_b32_e32 v41, v10, v42
.LBB2_7468:                             ;   in Loop: Header=BB2_7140 Depth=2
	s_or_b32 exec_lo, exec_lo, s41
                                        ; implicit-def: $vgpr42
.LBB2_7469:                             ;   in Loop: Header=BB2_7140 Depth=2
	s_and_not1_saveexec_b32 s11, s40
; %bb.7470:                             ;   in Loop: Header=BB2_7140 Depth=2
	v_or_b32_e32 v41, 0x7b, v42
; %bb.7471:                             ;   in Loop: Header=BB2_7140 Depth=2
	s_or_b32 exec_lo, exec_lo, s11
                                        ; implicit-def: $vgpr10
                                        ; implicit-def: $vgpr11
.LBB2_7472:                             ;   in Loop: Header=BB2_7140 Depth=2
	s_and_not1_saveexec_b32 s11, s29
	s_cbranch_execz .LBB2_7478
; %bb.7473:                             ;   in Loop: Header=BB2_7140 Depth=2
	s_mov_b32 s29, exec_lo
                                        ; implicit-def: $vgpr41
	v_cmpx_ne_u64_e32 0, v[34:35]
	s_xor_b32 s29, exec_lo, s29
; %bb.7474:                             ;   in Loop: Header=BB2_7140 Depth=2
	v_or_b32_e32 v41, 0x7f, v11
                                        ; implicit-def: $vgpr10
; %bb.7475:                             ;   in Loop: Header=BB2_7140 Depth=2
	s_and_not1_saveexec_b32 s29, s29
; %bb.7476:                             ;   in Loop: Header=BB2_7140 Depth=2
	v_cmp_lt_i32_e32 vcc_lo, -1, v10
	v_cndmask_b32_e32 v41, 0xfc, v112, vcc_lo
; %bb.7477:                             ;   in Loop: Header=BB2_7140 Depth=2
	s_or_b32 exec_lo, exec_lo, s29
.LBB2_7478:                             ;   in Loop: Header=BB2_7140 Depth=2
	s_delay_alu instid0(SALU_CYCLE_1)
	s_or_b32 exec_lo, exec_lo, s11
	v_mov_b32_e32 v11, 0
	s_mov_b32 s11, exec_lo
	v_cmpx_lt_u32_e32 0xffffff, v12
	s_cbranch_execz .LBB2_7488
; %bb.7479:                             ;   in Loop: Header=BB2_7140 Depth=2
	v_lshrrev_b32_e32 v10, 24, v12
	v_bfrev_b32_e32 v11, 1
	s_mov_b32 s29, exec_lo
	s_delay_alu instid0(VALU_DEP_2)
	v_cmpx_ne_u32_e32 0x80, v10
	s_cbranch_execz .LBB2_7487
; %bb.7480:                             ;   in Loop: Header=BB2_7140 Depth=2
	v_and_b32_e32 v11, 0x7c000000, v12
	v_bfe_u32 v34, v12, 24, 2
	s_delay_alu instid0(VALU_DEP_2) | instskip(SKIP_1) | instid1(SALU_CYCLE_1)
	v_cmp_ne_u32_e32 vcc_lo, 0x7c000000, v11
                                        ; implicit-def: $vgpr11
	s_and_saveexec_b32 s40, vcc_lo
	s_xor_b32 s40, exec_lo, s40
	s_cbranch_execz .LBB2_7484
; %bb.7481:                             ;   in Loop: Header=BB2_7140 Depth=2
	v_bfe_u32 v11, v12, 26, 5
	s_mov_b32 s41, exec_lo
	s_delay_alu instid0(VALU_DEP_1)
	v_cmpx_eq_u32_e32 0, v11
; %bb.7482:                             ;   in Loop: Header=BB2_7140 Depth=2
	v_clz_i32_u32_e32 v11, v34
	s_delay_alu instid0(VALU_DEP_1) | instskip(NEXT) | instid1(VALU_DEP_1)
	v_min_u32_e32 v34, 32, v11
	v_subrev_nc_u32_e32 v11, 29, v34
	s_delay_alu instid0(VALU_DEP_1) | instskip(SKIP_1) | instid1(VALU_DEP_2)
	v_lshlrev_b64_e32 v[10:11], v11, v[10:11]
	v_sub_nc_u32_e32 v11, 30, v34
	v_and_b32_e32 v34, 3, v10
; %bb.7483:                             ;   in Loop: Header=BB2_7140 Depth=2
	s_or_b32 exec_lo, exec_lo, s41
	v_and_b32_e32 v10, 0x80000000, v12
	s_delay_alu instid0(VALU_DEP_1) | instskip(NEXT) | instid1(VALU_DEP_1)
	v_lshl_add_u32 v10, v11, 23, v10
	v_lshl_or_b32 v10, v34, 21, v10
                                        ; implicit-def: $vgpr34
	s_delay_alu instid0(VALU_DEP_1)
	v_add_nc_u32_e32 v11, 0x38000000, v10
.LBB2_7484:                             ;   in Loop: Header=BB2_7140 Depth=2
	s_and_not1_saveexec_b32 s40, s40
; %bb.7485:                             ;   in Loop: Header=BB2_7140 Depth=2
	v_cmp_lt_i32_e32 vcc_lo, -1, v12
	v_cndmask_b32_e32 v10, 0xff800000, v103, vcc_lo
	v_cmp_eq_u32_e32 vcc_lo, 0, v34
	s_delay_alu instid0(VALU_DEP_2)
	v_cndmask_b32_e32 v11, 0x7f800001, v10, vcc_lo
; %bb.7486:                             ;   in Loop: Header=BB2_7140 Depth=2
	s_or_b32 exec_lo, exec_lo, s40
.LBB2_7487:                             ;   in Loop: Header=BB2_7140 Depth=2
	s_delay_alu instid0(SALU_CYCLE_1)
	s_or_b32 exec_lo, exec_lo, s29
.LBB2_7488:                             ;   in Loop: Header=BB2_7140 Depth=2
	s_delay_alu instid0(SALU_CYCLE_1) | instskip(NEXT) | instid1(VALU_DEP_1)
	s_or_b32 exec_lo, exec_lo, s11
	v_dual_mul_f32 v10, s28, v11 :: v_dual_mov_b32 v87, v35
                                        ; implicit-def: $vgpr42
	s_mov_b32 s11, exec_lo
	s_delay_alu instid0(VALU_DEP_1) | instskip(SKIP_2) | instid1(VALU_DEP_3)
	v_and_b32_e32 v86, 0x7f800000, v10
	v_and_b32_e32 v34, 0x7fffff, v10
	v_lshrrev_b32_e32 v11, 24, v10
	v_cmpx_ne_u64_e32 0x7f800000, v[86:87]
	s_xor_b32 s29, exec_lo, s11
	s_cbranch_execz .LBB2_7502
; %bb.7489:                             ;   in Loop: Header=BB2_7140 Depth=2
	v_and_b32_e32 v86, 0x7fffffff, v10
	v_mov_b32_e32 v87, v35
	v_and_b32_e32 v43, 0x80, v11
                                        ; implicit-def: $vgpr42
	s_mov_b32 s11, exec_lo
	s_delay_alu instid0(VALU_DEP_2)
	v_cmpx_gt_u64_e32 0x47600001, v[86:87]
	s_xor_b32 s40, exec_lo, s11
	s_cbranch_execz .LBB2_7499
; %bb.7490:                             ;   in Loop: Header=BB2_7140 Depth=2
	v_mov_b32_e32 v42, 0
	s_mov_b32 s41, exec_lo
	v_cmpx_ne_u32_e32 0, v10
	s_cbranch_execz .LBB2_7498
; %bb.7491:                             ;   in Loop: Header=BB2_7140 Depth=2
	v_bfe_u32 v42, v10, 23, 8
	v_or_b32_e32 v86, 0x800000, v34
	s_delay_alu instid0(VALU_DEP_2) | instskip(SKIP_1) | instid1(VALU_DEP_2)
	v_sub_nc_u32_e32 v10, 0x71, v42
	v_cmp_gt_u32_e32 vcc_lo, 0x72, v42
	v_cndmask_b32_e32 v10, 0, v10, vcc_lo
	v_cmp_eq_u32_e32 vcc_lo, 0, v42
	s_delay_alu instid0(VALU_DEP_2) | instskip(NEXT) | instid1(VALU_DEP_1)
	v_cndmask_b32_e64 v44, v10, 0x70, vcc_lo
	v_dual_cndmask_b32 v34, v86, v34, vcc_lo :: v_dual_add_nc_u32 v10, 21, v44
	v_add_nc_u32_e32 v87, 20, v44
	s_delay_alu instid0(VALU_DEP_2) | instskip(NEXT) | instid1(VALU_DEP_2)
	v_lshlrev_b64_e64 v[10:11], v10, -1
	v_lshlrev_b64_e64 v[86:87], v87, 1
	s_delay_alu instid0(VALU_DEP_2) | instskip(NEXT) | instid1(VALU_DEP_3)
	v_bfi_b32 v47, v11, 0, 0
	v_bfi_b32 v46, v10, 0, v34
	v_lshrrev_b64 v[10:11], v44, v[34:35]
	s_delay_alu instid0(VALU_DEP_2) | instskip(NEXT) | instid1(VALU_DEP_2)
	v_cmp_eq_u64_e64 s11, v[46:47], v[86:87]
	v_mov_b64_e32 v[86:87], v[10:11]
	s_and_saveexec_b32 s42, s11
; %bb.7492:                             ;   in Loop: Header=BB2_7140 Depth=2
	v_bfe_u32 v34, v10, 21, 1
	s_delay_alu instid0(VALU_DEP_1) | instskip(NEXT) | instid1(VALU_DEP_1)
	v_add_nc_u64_e32 v[86:87], v[10:11], v[34:35]
	v_add_nc_u64_e32 v[86:87], -1, v[86:87]
; %bb.7493:                             ;   in Loop: Header=BB2_7140 Depth=2
	s_or_b32 exec_lo, exec_lo, s42
	v_add_nc_u32_e32 v11, 0xffffff81, v42
	v_lshrrev_b32_e32 v34, 23, v10
	s_mov_b32 s11, exec_lo
	s_delay_alu instid0(VALU_DEP_2) | instskip(NEXT) | instid1(VALU_DEP_1)
	v_cndmask_b32_e64 v11, v11, 0xffffff82, vcc_lo
	v_add3_u32 v87, v44, v11, v34
	v_and_b32_e32 v11, 0x1fffff, v86
                                        ; implicit-def: $vgpr86
	s_delay_alu instid0(VALU_DEP_1) | instskip(NEXT) | instid1(VALU_DEP_1)
	v_dual_add_nc_u32 v42, 14, v87 :: v_dual_add_nc_u32 v34, v11, v10
                                        ; implicit-def: $vgpr10_vgpr11
	v_cmpx_ne_u32_e32 0, v42
	s_xor_b32 s11, exec_lo, s11
; %bb.7494:                             ;   in Loop: Header=BB2_7140 Depth=2
	s_delay_alu instid0(VALU_DEP_2) | instskip(SKIP_1) | instid1(VALU_DEP_1)
	v_cmp_lt_u64_e32 vcc_lo, 0xffffff, v[34:35]
	v_add_nc_u32_e32 v10, 15, v87
	v_cndmask_b32_e32 v86, v42, v10, vcc_lo
	v_cndmask_b32_e64 v10, 0, 1, vcc_lo
	s_delay_alu instid0(VALU_DEP_1)
	v_lshrrev_b64 v[10:11], v10, v[34:35]
; %bb.7495:                             ;   in Loop: Header=BB2_7140 Depth=2
	s_and_not1_saveexec_b32 s11, s11
; %bb.7496:                             ;   in Loop: Header=BB2_7140 Depth=2
	v_mov_b64_e32 v[10:11], v[34:35]
	v_bfe_u32 v86, v34, 23, 1
; %bb.7497:                             ;   in Loop: Header=BB2_7140 Depth=2
	s_or_b32 exec_lo, exec_lo, s11
	s_delay_alu instid0(VALU_DEP_2) | instskip(NEXT) | instid1(VALU_DEP_2)
	v_lshrrev_b64 v[10:11], 21, v[10:11]
	v_cmp_gt_i32_e32 vcc_lo, 32, v86
	v_min_i32_e32 v34, 31, v86
	v_cmp_eq_u32_e64 s11, 0, v86
	s_delay_alu instid0(VALU_DEP_2) | instskip(SKIP_1) | instid1(VALU_DEP_2)
	v_dual_cndmask_b32 v11, 0, v11 :: v_dual_lshlrev_b32 v34, 2, v34
	v_cndmask_b32_e32 v10, 3, v10, vcc_lo
	v_and_b32_e32 v34, 0xfc, v34
	s_delay_alu instid0(VALU_DEP_2) | instskip(NEXT) | instid1(VALU_DEP_2)
	v_cmp_eq_u64_e32 vcc_lo, 0, v[10:11]
	v_and_or_b32 v10, v10, 3, v34
	s_and_b32 s11, s11, vcc_lo
	s_delay_alu instid0(VALU_DEP_1) | instid1(SALU_CYCLE_1)
	v_cndmask_b32_e64 v10, v10, 0, s11
	s_delay_alu instid0(VALU_DEP_1)
	v_or_b32_e32 v42, v10, v43
.LBB2_7498:                             ;   in Loop: Header=BB2_7140 Depth=2
	s_or_b32 exec_lo, exec_lo, s41
                                        ; implicit-def: $vgpr43
.LBB2_7499:                             ;   in Loop: Header=BB2_7140 Depth=2
	s_and_not1_saveexec_b32 s11, s40
; %bb.7500:                             ;   in Loop: Header=BB2_7140 Depth=2
	v_or_b32_e32 v42, 0x7b, v43
; %bb.7501:                             ;   in Loop: Header=BB2_7140 Depth=2
	s_or_b32 exec_lo, exec_lo, s11
                                        ; implicit-def: $vgpr10
                                        ; implicit-def: $vgpr11
.LBB2_7502:                             ;   in Loop: Header=BB2_7140 Depth=2
	s_and_not1_saveexec_b32 s11, s29
	s_cbranch_execz .LBB2_7508
; %bb.7503:                             ;   in Loop: Header=BB2_7140 Depth=2
	s_mov_b32 s29, exec_lo
                                        ; implicit-def: $vgpr42
	v_cmpx_ne_u64_e32 0, v[34:35]
	s_xor_b32 s29, exec_lo, s29
; %bb.7504:                             ;   in Loop: Header=BB2_7140 Depth=2
	v_or_b32_e32 v42, 0x7f, v11
                                        ; implicit-def: $vgpr10
; %bb.7505:                             ;   in Loop: Header=BB2_7140 Depth=2
	s_and_not1_saveexec_b32 s29, s29
; %bb.7506:                             ;   in Loop: Header=BB2_7140 Depth=2
	v_cmp_lt_i32_e32 vcc_lo, -1, v10
	v_cndmask_b32_e32 v42, 0xfc, v112, vcc_lo
; %bb.7507:                             ;   in Loop: Header=BB2_7140 Depth=2
	s_or_b32 exec_lo, exec_lo, s29
.LBB2_7508:                             ;   in Loop: Header=BB2_7140 Depth=2
	s_delay_alu instid0(SALU_CYCLE_1) | instskip(SKIP_3) | instid1(VALU_DEP_2)
	s_or_b32 exec_lo, exec_lo, s11
	v_and_b32_e32 v11, 0xff, v13
	v_dual_mov_b32 v34, v13 :: v_dual_mov_b32 v10, 0
	s_mov_b32 s11, exec_lo
	v_cmpx_ne_u16_e32 0, v11
	s_cbranch_execz .LBB2_7518
; %bb.7509:                             ;   in Loop: Header=BB2_7140 Depth=2
	v_bfrev_b32_e32 v10, 1
	s_mov_b32 s29, exec_lo
	v_cmpx_ne_u16_e32 0x80, v11
	s_cbranch_execz .LBB2_7517
; %bb.7510:                             ;   in Loop: Header=BB2_7140 Depth=2
	v_and_b32_e32 v10, 0x7c, v13
	v_and_b32_e32 v11, 3, v13
	s_delay_alu instid0(VALU_DEP_2) | instskip(SKIP_1) | instid1(SALU_CYCLE_1)
	v_cmp_ne_u32_e32 vcc_lo, 0x7c, v10
                                        ; implicit-def: $vgpr10
	s_and_saveexec_b32 s40, vcc_lo
	s_xor_b32 s40, exec_lo, s40
	s_cbranch_execz .LBB2_7514
; %bb.7511:                             ;   in Loop: Header=BB2_7140 Depth=2
	v_bfe_u32 v10, v13, 2, 5
	s_mov_b32 s41, exec_lo
	s_delay_alu instid0(VALU_DEP_1)
	v_cmpx_eq_u32_e32 0, v10
; %bb.7512:                             ;   in Loop: Header=BB2_7140 Depth=2
	v_clz_i32_u32_e32 v10, v11
	s_delay_alu instid0(VALU_DEP_1) | instskip(NEXT) | instid1(VALU_DEP_1)
	v_min_u32_e32 v10, 32, v10
	v_subrev_nc_u32_e32 v11, 29, v10
	v_sub_nc_u32_e32 v10, 30, v10
	s_delay_alu instid0(VALU_DEP_2) | instskip(NEXT) | instid1(VALU_DEP_1)
	v_lshlrev_b64_e32 v[86:87], v11, v[34:35]
	v_and_b32_e32 v11, 3, v86
; %bb.7513:                             ;   in Loop: Header=BB2_7140 Depth=2
	s_or_b32 exec_lo, exec_lo, s41
	v_lshlrev_b32_e32 v86, 24, v13
	s_delay_alu instid0(VALU_DEP_1) | instskip(NEXT) | instid1(VALU_DEP_1)
	v_and_b32_e32 v86, 0x80000000, v86
	v_lshl_add_u32 v10, v10, 23, v86
	s_delay_alu instid0(VALU_DEP_1) | instskip(NEXT) | instid1(VALU_DEP_1)
	v_lshl_or_b32 v10, v11, 21, v10
                                        ; implicit-def: $vgpr11
	v_add_nc_u32_e32 v10, 0x38000000, v10
.LBB2_7514:                             ;   in Loop: Header=BB2_7140 Depth=2
	s_and_not1_saveexec_b32 s40, s40
; %bb.7515:                             ;   in Loop: Header=BB2_7140 Depth=2
	v_bfe_i32 v10, v13, 0, 8
	s_delay_alu instid0(VALU_DEP_1) | instskip(SKIP_2) | instid1(VALU_DEP_2)
	v_cmp_lt_i16_e32 vcc_lo, -1, v10
	v_cndmask_b32_e32 v10, 0xff800000, v103, vcc_lo
	v_cmp_eq_u32_e32 vcc_lo, 0, v11
	v_cndmask_b32_e32 v10, 0x7f800001, v10, vcc_lo
; %bb.7516:                             ;   in Loop: Header=BB2_7140 Depth=2
	s_or_b32 exec_lo, exec_lo, s40
.LBB2_7517:                             ;   in Loop: Header=BB2_7140 Depth=2
	s_delay_alu instid0(SALU_CYCLE_1)
	s_or_b32 exec_lo, exec_lo, s29
.LBB2_7518:                             ;   in Loop: Header=BB2_7140 Depth=2
	s_delay_alu instid0(SALU_CYCLE_1) | instskip(NEXT) | instid1(VALU_DEP_1)
	s_or_b32 exec_lo, exec_lo, s11
	v_dual_mul_f32 v86, s28, v10 :: v_dual_mov_b32 v45, v35
	v_mov_b32_e32 v11, v35
                                        ; implicit-def: $vgpr43
	s_mov_b32 s11, exec_lo
	s_delay_alu instid0(VALU_DEP_2) | instskip(SKIP_2) | instid1(VALU_DEP_3)
	v_and_b32_e32 v44, 0x7f800000, v86
	v_and_b32_e32 v10, 0x7fffff, v86
	v_lshrrev_b32_e32 v87, 24, v86
	v_cmpx_ne_u64_e32 0x7f800000, v[44:45]
	s_xor_b32 s29, exec_lo, s11
	s_cbranch_execz .LBB2_7532
; %bb.7519:                             ;   in Loop: Header=BB2_7140 Depth=2
	v_and_b32_e32 v44, 0x7fffffff, v86
	v_mov_b32_e32 v45, v35
                                        ; implicit-def: $vgpr43
	s_delay_alu instid0(VALU_DEP_1) | instskip(SKIP_2) | instid1(SALU_CYCLE_1)
	v_cmp_gt_u64_e32 vcc_lo, 0x47600001, v[44:45]
	v_and_b32_e32 v44, 0x80, v87
	s_and_saveexec_b32 s11, vcc_lo
	s_xor_b32 s40, exec_lo, s11
	s_cbranch_execz .LBB2_7529
; %bb.7520:                             ;   in Loop: Header=BB2_7140 Depth=2
	v_mov_b32_e32 v43, 0
	s_mov_b32 s41, exec_lo
	v_cmpx_ne_u32_e32 0, v86
	s_cbranch_execz .LBB2_7528
; %bb.7521:                             ;   in Loop: Header=BB2_7140 Depth=2
	v_bfe_u32 v43, v86, 23, 8
	v_or_b32_e32 v46, 0x800000, v10
	s_delay_alu instid0(VALU_DEP_2) | instskip(SKIP_1) | instid1(VALU_DEP_2)
	v_sub_nc_u32_e32 v86, 0x71, v43
	v_cmp_gt_u32_e32 vcc_lo, 0x72, v43
	v_cndmask_b32_e32 v86, 0, v86, vcc_lo
	v_cmp_eq_u32_e32 vcc_lo, 0, v43
	s_delay_alu instid0(VALU_DEP_2) | instskip(NEXT) | instid1(VALU_DEP_1)
	v_cndmask_b32_e64 v45, v86, 0x70, vcc_lo
	v_dual_cndmask_b32 v10, v46, v10, vcc_lo :: v_dual_add_nc_u32 v86, 21, v45
	v_add_nc_u32_e32 v47, 20, v45
	s_delay_alu instid0(VALU_DEP_2) | instskip(NEXT) | instid1(VALU_DEP_2)
	v_lshlrev_b64_e64 v[86:87], v86, -1
	v_lshlrev_b64_e64 v[46:47], v47, 1
	s_delay_alu instid0(VALU_DEP_2) | instskip(SKIP_1) | instid1(VALU_DEP_4)
	v_bfi_b32 v86, v86, 0, v10
	v_lshrrev_b64 v[10:11], v45, v[10:11]
	v_bfi_b32 v87, v87, 0, 0
	s_delay_alu instid0(VALU_DEP_1) | instskip(NEXT) | instid1(VALU_DEP_3)
	v_cmp_eq_u64_e64 s11, v[86:87], v[46:47]
	v_mov_b64_e32 v[86:87], v[10:11]
	s_and_saveexec_b32 s42, s11
; %bb.7522:                             ;   in Loop: Header=BB2_7140 Depth=2
	v_bfe_u32 v86, v10, 21, 1
	v_mov_b32_e32 v87, v35
	s_delay_alu instid0(VALU_DEP_1) | instskip(NEXT) | instid1(VALU_DEP_1)
	v_add_nc_u64_e32 v[86:87], v[10:11], v[86:87]
	v_add_nc_u64_e32 v[86:87], -1, v[86:87]
; %bb.7523:                             ;   in Loop: Header=BB2_7140 Depth=2
	s_or_b32 exec_lo, exec_lo, s42
	v_add_nc_u32_e32 v11, 0xffffff81, v43
	v_lshrrev_b32_e32 v87, 23, v10
	s_mov_b32 s11, exec_lo
	s_delay_alu instid0(VALU_DEP_2) | instskip(NEXT) | instid1(VALU_DEP_1)
	v_cndmask_b32_e64 v11, v11, 0xffffff82, vcc_lo
	v_add3_u32 v87, v45, v11, v87
	v_and_b32_e32 v11, 0x1fffff, v86
                                        ; implicit-def: $vgpr86
	s_delay_alu instid0(VALU_DEP_1) | instskip(SKIP_1) | instid1(VALU_DEP_2)
	v_dual_add_nc_u32 v43, 14, v87 :: v_dual_add_nc_u32 v10, v11, v10
	v_mov_b32_e32 v11, v35
	v_cmpx_ne_u32_e32 0, v43
	s_xor_b32 s11, exec_lo, s11
; %bb.7524:                             ;   in Loop: Header=BB2_7140 Depth=2
	s_delay_alu instid0(VALU_DEP_2) | instskip(SKIP_2) | instid1(VALU_DEP_2)
	v_cmp_lt_u64_e32 vcc_lo, 0xffffff, v[10:11]
	v_add_nc_u32_e32 v86, 15, v87
	v_cndmask_b32_e64 v87, 0, 1, vcc_lo
	v_cndmask_b32_e32 v86, v43, v86, vcc_lo
	s_delay_alu instid0(VALU_DEP_2)
	v_lshrrev_b64 v[10:11], v87, v[10:11]
; %bb.7525:                             ;   in Loop: Header=BB2_7140 Depth=2
	s_and_not1_saveexec_b32 s11, s11
; %bb.7526:                             ;   in Loop: Header=BB2_7140 Depth=2
	s_delay_alu instid0(VALU_DEP_1)
	v_bfe_u32 v86, v10, 23, 1
; %bb.7527:                             ;   in Loop: Header=BB2_7140 Depth=2
	s_or_b32 exec_lo, exec_lo, s11
	s_delay_alu instid0(VALU_DEP_2) | instskip(NEXT) | instid1(VALU_DEP_2)
	v_lshrrev_b64 v[10:11], 21, v[10:11]
	v_cmp_gt_i32_e32 vcc_lo, 32, v86
	v_min_i32_e32 v87, 31, v86
	v_cmp_eq_u32_e64 s11, 0, v86
	s_delay_alu instid0(VALU_DEP_4) | instskip(NEXT) | instid1(VALU_DEP_3)
	v_cndmask_b32_e32 v11, 0, v11, vcc_lo
	v_dual_cndmask_b32 v10, 3, v10 :: v_dual_lshlrev_b32 v87, 2, v87
	s_delay_alu instid0(VALU_DEP_1) | instskip(NEXT) | instid1(VALU_DEP_2)
	v_and_b32_e32 v87, 0xfc, v87
	v_cmp_eq_u64_e32 vcc_lo, 0, v[10:11]
	s_delay_alu instid0(VALU_DEP_2)
	v_and_or_b32 v10, v10, 3, v87
	s_and_b32 s11, s11, vcc_lo
	s_delay_alu instid0(VALU_DEP_1) | instid1(SALU_CYCLE_1)
	v_cndmask_b32_e64 v10, v10, 0, s11
	s_delay_alu instid0(VALU_DEP_1)
	v_or_b32_e32 v43, v10, v44
.LBB2_7528:                             ;   in Loop: Header=BB2_7140 Depth=2
	s_or_b32 exec_lo, exec_lo, s41
                                        ; implicit-def: $vgpr44
.LBB2_7529:                             ;   in Loop: Header=BB2_7140 Depth=2
	s_and_not1_saveexec_b32 s11, s40
; %bb.7530:                             ;   in Loop: Header=BB2_7140 Depth=2
	v_or_b32_e32 v43, 0x7b, v44
; %bb.7531:                             ;   in Loop: Header=BB2_7140 Depth=2
	s_or_b32 exec_lo, exec_lo, s11
                                        ; implicit-def: $vgpr86
                                        ; implicit-def: $vgpr10_vgpr11
                                        ; implicit-def: $vgpr87
.LBB2_7532:                             ;   in Loop: Header=BB2_7140 Depth=2
	s_and_not1_saveexec_b32 s11, s29
	s_cbranch_execz .LBB2_7538
; %bb.7533:                             ;   in Loop: Header=BB2_7140 Depth=2
	s_mov_b32 s29, exec_lo
                                        ; implicit-def: $vgpr43
	v_cmpx_ne_u64_e32 0, v[10:11]
	s_xor_b32 s29, exec_lo, s29
; %bb.7534:                             ;   in Loop: Header=BB2_7140 Depth=2
	v_or_b32_e32 v43, 0x7f, v87
                                        ; implicit-def: $vgpr86
; %bb.7535:                             ;   in Loop: Header=BB2_7140 Depth=2
	s_and_not1_saveexec_b32 s29, s29
; %bb.7536:                             ;   in Loop: Header=BB2_7140 Depth=2
	v_cmp_lt_i32_e32 vcc_lo, -1, v86
	v_cndmask_b32_e32 v43, 0xfc, v112, vcc_lo
; %bb.7537:                             ;   in Loop: Header=BB2_7140 Depth=2
	s_or_b32 exec_lo, exec_lo, s29
.LBB2_7538:                             ;   in Loop: Header=BB2_7140 Depth=2
	s_delay_alu instid0(SALU_CYCLE_1) | instskip(SKIP_3) | instid1(VALU_DEP_2)
	s_or_b32 exec_lo, exec_lo, s11
	v_lshrrev_b16 v10, 8, v34
	v_mov_b32_e32 v86, 0
	s_mov_b32 s11, exec_lo
	v_cmpx_ne_u16_e32 0, v10
	s_cbranch_execz .LBB2_7548
; %bb.7539:                             ;   in Loop: Header=BB2_7140 Depth=2
	v_bfrev_b32_e32 v86, 1
	s_mov_b32 s29, exec_lo
	v_cmpx_ne_u16_e32 0x80, v10
	s_cbranch_execz .LBB2_7547
; %bb.7540:                             ;   in Loop: Header=BB2_7140 Depth=2
	v_and_b32_e32 v87, 0xffff, v10
	s_delay_alu instid0(VALU_DEP_1) | instskip(SKIP_1) | instid1(VALU_DEP_2)
	v_and_b32_e32 v86, 0x7c, v87
	v_and_b32_e32 v11, 3, v87
	v_cmp_ne_u32_e32 vcc_lo, 0x7c, v86
                                        ; implicit-def: $vgpr86
	s_and_saveexec_b32 s40, vcc_lo
	s_delay_alu instid0(SALU_CYCLE_1)
	s_xor_b32 s40, exec_lo, s40
	s_cbranch_execz .LBB2_7544
; %bb.7541:                             ;   in Loop: Header=BB2_7140 Depth=2
	v_bfe_u32 v86, v87, 2, 5
	s_mov_b32 s41, exec_lo
	s_delay_alu instid0(VALU_DEP_1)
	v_cmpx_eq_u32_e32 0, v86
	s_cbranch_execz .LBB2_7543
; %bb.7542:                             ;   in Loop: Header=BB2_7140 Depth=2
	v_clz_i32_u32_e32 v11, v11
	s_delay_alu instid0(VALU_DEP_1) | instskip(SKIP_1) | instid1(VALU_DEP_2)
	v_min_u32_e32 v86, 32, v11
	v_mov_b32_e32 v11, v35
	v_subrev_nc_u32_e32 v87, 29, v86
	v_sub_nc_u32_e32 v86, 30, v86
	s_delay_alu instid0(VALU_DEP_2) | instskip(NEXT) | instid1(VALU_DEP_1)
	v_lshlrev_b64_e32 v[10:11], v87, v[10:11]
	v_and_b32_e32 v11, 3, v10
.LBB2_7543:                             ;   in Loop: Header=BB2_7140 Depth=2
	s_or_b32 exec_lo, exec_lo, s41
	v_lshlrev_b32_e32 v10, 16, v34
	s_delay_alu instid0(VALU_DEP_1) | instskip(NEXT) | instid1(VALU_DEP_1)
	v_and_b32_e32 v10, 0x80000000, v10
	v_lshl_add_u32 v10, v86, 23, v10
	s_delay_alu instid0(VALU_DEP_1) | instskip(NEXT) | instid1(VALU_DEP_1)
	v_lshl_or_b32 v10, v11, 21, v10
                                        ; implicit-def: $vgpr11
	v_add_nc_u32_e32 v86, 0x38000000, v10
.LBB2_7544:                             ;   in Loop: Header=BB2_7140 Depth=2
	s_and_not1_saveexec_b32 s40, s40
; %bb.7545:                             ;   in Loop: Header=BB2_7140 Depth=2
	v_cmp_lt_i16_e32 vcc_lo, -1, v34
	v_cndmask_b32_e32 v10, 0xff800000, v103, vcc_lo
	v_cmp_eq_u32_e32 vcc_lo, 0, v11
	s_delay_alu instid0(VALU_DEP_2)
	v_cndmask_b32_e32 v86, 0x7f800001, v10, vcc_lo
; %bb.7546:                             ;   in Loop: Header=BB2_7140 Depth=2
	s_or_b32 exec_lo, exec_lo, s40
.LBB2_7547:                             ;   in Loop: Header=BB2_7140 Depth=2
	s_delay_alu instid0(SALU_CYCLE_1)
	s_or_b32 exec_lo, exec_lo, s29
.LBB2_7548:                             ;   in Loop: Header=BB2_7140 Depth=2
	s_delay_alu instid0(SALU_CYCLE_1) | instskip(NEXT) | instid1(VALU_DEP_1)
	s_or_b32 exec_lo, exec_lo, s11
	v_dual_mul_f32 v10, s28, v86 :: v_dual_mov_b32 v87, v35
                                        ; implicit-def: $vgpr44
	s_mov_b32 s11, exec_lo
	s_delay_alu instid0(VALU_DEP_1) | instskip(SKIP_2) | instid1(VALU_DEP_3)
	v_and_b32_e32 v86, 0x7f800000, v10
	v_and_b32_e32 v34, 0x7fffff, v10
	v_lshrrev_b32_e32 v11, 24, v10
	v_cmpx_ne_u64_e32 0x7f800000, v[86:87]
	s_xor_b32 s29, exec_lo, s11
	s_cbranch_execz .LBB2_7562
; %bb.7549:                             ;   in Loop: Header=BB2_7140 Depth=2
	v_and_b32_e32 v86, 0x7fffffff, v10
	v_mov_b32_e32 v87, v35
	v_and_b32_e32 v45, 0x80, v11
                                        ; implicit-def: $vgpr44
	s_mov_b32 s11, exec_lo
	s_delay_alu instid0(VALU_DEP_2)
	v_cmpx_gt_u64_e32 0x47600001, v[86:87]
	s_xor_b32 s40, exec_lo, s11
	s_cbranch_execz .LBB2_7559
; %bb.7550:                             ;   in Loop: Header=BB2_7140 Depth=2
	v_mov_b32_e32 v44, 0
	s_mov_b32 s41, exec_lo
	v_cmpx_ne_u32_e32 0, v10
	s_cbranch_execz .LBB2_7558
; %bb.7551:                             ;   in Loop: Header=BB2_7140 Depth=2
	v_bfe_u32 v44, v10, 23, 8
	v_or_b32_e32 v86, 0x800000, v34
	s_delay_alu instid0(VALU_DEP_2) | instskip(SKIP_1) | instid1(VALU_DEP_2)
	v_sub_nc_u32_e32 v10, 0x71, v44
	v_cmp_gt_u32_e32 vcc_lo, 0x72, v44
	v_cndmask_b32_e32 v10, 0, v10, vcc_lo
	v_cmp_eq_u32_e32 vcc_lo, 0, v44
	s_delay_alu instid0(VALU_DEP_2) | instskip(SKIP_1) | instid1(VALU_DEP_2)
	v_cndmask_b32_e64 v46, v10, 0x70, vcc_lo
	v_cndmask_b32_e32 v34, v86, v34, vcc_lo
	v_dual_add_nc_u32 v10, 21, v46 :: v_dual_add_nc_u32 v87, 20, v46
	s_delay_alu instid0(VALU_DEP_1) | instskip(NEXT) | instid1(VALU_DEP_2)
	v_lshlrev_b64_e64 v[10:11], v10, -1
	v_lshlrev_b64_e64 v[86:87], v87, 1
	s_delay_alu instid0(VALU_DEP_2) | instskip(NEXT) | instid1(VALU_DEP_3)
	v_bfi_b32 v59, v11, 0, 0
	v_bfi_b32 v58, v10, 0, v34
	v_lshrrev_b64 v[10:11], v46, v[34:35]
	s_delay_alu instid0(VALU_DEP_2) | instskip(NEXT) | instid1(VALU_DEP_2)
	v_cmp_eq_u64_e64 s11, v[58:59], v[86:87]
	v_mov_b64_e32 v[86:87], v[10:11]
	s_and_saveexec_b32 s42, s11
; %bb.7552:                             ;   in Loop: Header=BB2_7140 Depth=2
	v_bfe_u32 v34, v10, 21, 1
	s_delay_alu instid0(VALU_DEP_1) | instskip(NEXT) | instid1(VALU_DEP_1)
	v_add_nc_u64_e32 v[86:87], v[10:11], v[34:35]
	v_add_nc_u64_e32 v[86:87], -1, v[86:87]
; %bb.7553:                             ;   in Loop: Header=BB2_7140 Depth=2
	s_or_b32 exec_lo, exec_lo, s42
	v_add_nc_u32_e32 v11, 0xffffff81, v44
	v_lshrrev_b32_e32 v34, 23, v10
	s_mov_b32 s11, exec_lo
	s_delay_alu instid0(VALU_DEP_2) | instskip(NEXT) | instid1(VALU_DEP_1)
	v_cndmask_b32_e64 v11, v11, 0xffffff82, vcc_lo
	v_add3_u32 v87, v46, v11, v34
	v_and_b32_e32 v11, 0x1fffff, v86
                                        ; implicit-def: $vgpr86
	s_delay_alu instid0(VALU_DEP_1) | instskip(NEXT) | instid1(VALU_DEP_1)
	v_dual_add_nc_u32 v44, 14, v87 :: v_dual_add_nc_u32 v34, v11, v10
                                        ; implicit-def: $vgpr10_vgpr11
	v_cmpx_ne_u32_e32 0, v44
	s_xor_b32 s11, exec_lo, s11
; %bb.7554:                             ;   in Loop: Header=BB2_7140 Depth=2
	s_delay_alu instid0(VALU_DEP_2) | instskip(SKIP_1) | instid1(VALU_DEP_1)
	v_cmp_lt_u64_e32 vcc_lo, 0xffffff, v[34:35]
	v_add_nc_u32_e32 v10, 15, v87
	v_cndmask_b32_e32 v86, v44, v10, vcc_lo
	v_cndmask_b32_e64 v10, 0, 1, vcc_lo
	s_delay_alu instid0(VALU_DEP_1)
	v_lshrrev_b64 v[10:11], v10, v[34:35]
; %bb.7555:                             ;   in Loop: Header=BB2_7140 Depth=2
	s_and_not1_saveexec_b32 s11, s11
; %bb.7556:                             ;   in Loop: Header=BB2_7140 Depth=2
	v_mov_b64_e32 v[10:11], v[34:35]
	v_bfe_u32 v86, v34, 23, 1
; %bb.7557:                             ;   in Loop: Header=BB2_7140 Depth=2
	s_or_b32 exec_lo, exec_lo, s11
	s_delay_alu instid0(VALU_DEP_2) | instskip(NEXT) | instid1(VALU_DEP_2)
	v_lshrrev_b64 v[10:11], 21, v[10:11]
	v_cmp_gt_i32_e32 vcc_lo, 32, v86
	v_min_i32_e32 v34, 31, v86
	v_cmp_eq_u32_e64 s11, 0, v86
	s_delay_alu instid0(VALU_DEP_2) | instskip(SKIP_1) | instid1(VALU_DEP_2)
	v_dual_cndmask_b32 v11, 0, v11 :: v_dual_lshlrev_b32 v34, 2, v34
	v_cndmask_b32_e32 v10, 3, v10, vcc_lo
	v_and_b32_e32 v34, 0xfc, v34
	s_delay_alu instid0(VALU_DEP_2) | instskip(NEXT) | instid1(VALU_DEP_2)
	v_cmp_eq_u64_e32 vcc_lo, 0, v[10:11]
	v_and_or_b32 v10, v10, 3, v34
	s_and_b32 s11, s11, vcc_lo
	s_delay_alu instid0(VALU_DEP_1) | instid1(SALU_CYCLE_1)
	v_cndmask_b32_e64 v10, v10, 0, s11
	s_delay_alu instid0(VALU_DEP_1)
	v_or_b32_e32 v44, v10, v45
.LBB2_7558:                             ;   in Loop: Header=BB2_7140 Depth=2
	s_or_b32 exec_lo, exec_lo, s41
                                        ; implicit-def: $vgpr45
.LBB2_7559:                             ;   in Loop: Header=BB2_7140 Depth=2
	s_and_not1_saveexec_b32 s11, s40
; %bb.7560:                             ;   in Loop: Header=BB2_7140 Depth=2
	v_or_b32_e32 v44, 0x7b, v45
; %bb.7561:                             ;   in Loop: Header=BB2_7140 Depth=2
	s_or_b32 exec_lo, exec_lo, s11
                                        ; implicit-def: $vgpr10
                                        ; implicit-def: $vgpr11
.LBB2_7562:                             ;   in Loop: Header=BB2_7140 Depth=2
	s_and_not1_saveexec_b32 s11, s29
	s_cbranch_execz .LBB2_7568
; %bb.7563:                             ;   in Loop: Header=BB2_7140 Depth=2
	s_mov_b32 s29, exec_lo
                                        ; implicit-def: $vgpr44
	v_cmpx_ne_u64_e32 0, v[34:35]
	s_xor_b32 s29, exec_lo, s29
; %bb.7564:                             ;   in Loop: Header=BB2_7140 Depth=2
	v_or_b32_e32 v44, 0x7f, v11
                                        ; implicit-def: $vgpr10
; %bb.7565:                             ;   in Loop: Header=BB2_7140 Depth=2
	s_and_not1_saveexec_b32 s29, s29
; %bb.7566:                             ;   in Loop: Header=BB2_7140 Depth=2
	v_cmp_lt_i32_e32 vcc_lo, -1, v10
	v_cndmask_b32_e32 v44, 0xfc, v112, vcc_lo
; %bb.7567:                             ;   in Loop: Header=BB2_7140 Depth=2
	s_or_b32 exec_lo, exec_lo, s29
.LBB2_7568:                             ;   in Loop: Header=BB2_7140 Depth=2
	s_delay_alu instid0(SALU_CYCLE_1) | instskip(SKIP_2) | instid1(VALU_DEP_1)
	s_or_b32 exec_lo, exec_lo, s11
	v_dual_mov_b32 v11, 0 :: v_dual_lshrrev_b32 v10, 16, v13
	s_mov_b32 s11, exec_lo
	v_and_b32_e32 v34, 0xff, v10
	s_delay_alu instid0(VALU_DEP_1)
	v_cmpx_ne_u16_e32 0, v34
	s_cbranch_execz .LBB2_7578
; %bb.7569:                             ;   in Loop: Header=BB2_7140 Depth=2
	v_bfrev_b32_e32 v11, 1
	s_mov_b32 s29, exec_lo
	v_cmpx_ne_u16_e32 0x80, v34
	s_cbranch_execz .LBB2_7577
; %bb.7570:                             ;   in Loop: Header=BB2_7140 Depth=2
	v_and_b32_e32 v11, 0x7c0000, v13
	v_bfe_u32 v34, v13, 16, 2
	s_delay_alu instid0(VALU_DEP_2) | instskip(SKIP_1) | instid1(SALU_CYCLE_1)
	v_cmp_ne_u32_e32 vcc_lo, 0x7c0000, v11
                                        ; implicit-def: $vgpr11
	s_and_saveexec_b32 s40, vcc_lo
	s_xor_b32 s40, exec_lo, s40
	s_cbranch_execz .LBB2_7574
; %bb.7571:                             ;   in Loop: Header=BB2_7140 Depth=2
	v_bfe_u32 v11, v13, 18, 5
	s_mov_b32 s41, exec_lo
	s_delay_alu instid0(VALU_DEP_1)
	v_cmpx_eq_u32_e32 0, v11
; %bb.7572:                             ;   in Loop: Header=BB2_7140 Depth=2
	v_clz_i32_u32_e32 v11, v34
	s_delay_alu instid0(VALU_DEP_1) | instskip(NEXT) | instid1(VALU_DEP_1)
	v_min_u32_e32 v11, 32, v11
	v_subrev_nc_u32_e32 v34, 29, v11
	s_delay_alu instid0(VALU_DEP_1) | instskip(NEXT) | instid1(VALU_DEP_1)
	v_lshlrev_b64_e32 v[86:87], v34, v[10:11]
	v_dual_sub_nc_u32 v11, 30, v11 :: v_dual_bitop2_b32 v34, 3, v86 bitop3:0x40
; %bb.7573:                             ;   in Loop: Header=BB2_7140 Depth=2
	s_or_b32 exec_lo, exec_lo, s41
	v_lshlrev_b32_e32 v10, 24, v10
	s_delay_alu instid0(VALU_DEP_1) | instskip(NEXT) | instid1(VALU_DEP_1)
	v_and_b32_e32 v10, 0x80000000, v10
	v_lshl_add_u32 v10, v11, 23, v10
	s_delay_alu instid0(VALU_DEP_1) | instskip(NEXT) | instid1(VALU_DEP_1)
	v_lshl_or_b32 v10, v34, 21, v10
                                        ; implicit-def: $vgpr34
	v_add_nc_u32_e32 v11, 0x38000000, v10
                                        ; implicit-def: $vgpr10
.LBB2_7574:                             ;   in Loop: Header=BB2_7140 Depth=2
	s_and_not1_saveexec_b32 s40, s40
; %bb.7575:                             ;   in Loop: Header=BB2_7140 Depth=2
	v_bfe_i32 v10, v10, 0, 8
	s_delay_alu instid0(VALU_DEP_1) | instskip(SKIP_2) | instid1(VALU_DEP_2)
	v_cmp_lt_i16_e32 vcc_lo, -1, v10
	v_cndmask_b32_e32 v10, 0xff800000, v103, vcc_lo
	v_cmp_eq_u32_e32 vcc_lo, 0, v34
	v_cndmask_b32_e32 v11, 0x7f800001, v10, vcc_lo
; %bb.7576:                             ;   in Loop: Header=BB2_7140 Depth=2
	s_or_b32 exec_lo, exec_lo, s40
.LBB2_7577:                             ;   in Loop: Header=BB2_7140 Depth=2
	s_delay_alu instid0(SALU_CYCLE_1)
	s_or_b32 exec_lo, exec_lo, s29
.LBB2_7578:                             ;   in Loop: Header=BB2_7140 Depth=2
	s_delay_alu instid0(SALU_CYCLE_1) | instskip(NEXT) | instid1(VALU_DEP_1)
	s_or_b32 exec_lo, exec_lo, s11
	v_dual_mul_f32 v10, s28, v11 :: v_dual_mov_b32 v87, v35
	s_delay_alu instid0(VALU_DEP_1) | instskip(SKIP_2) | instid1(VALU_DEP_3)
	v_and_b32_e32 v86, 0x7f800000, v10
	v_and_b32_e32 v34, 0x7fffff, v10
	v_lshrrev_b32_e32 v11, 24, v10
	v_cmp_ne_u64_e32 vcc_lo, 0x7f800000, v[86:87]
                                        ; implicit-def: $vgpr86
	s_and_saveexec_b32 s11, vcc_lo
	s_delay_alu instid0(SALU_CYCLE_1)
	s_xor_b32 s29, exec_lo, s11
	s_cbranch_execz .LBB2_7592
; %bb.7579:                             ;   in Loop: Header=BB2_7140 Depth=2
	v_and_b32_e32 v86, 0x7fffffff, v10
	v_mov_b32_e32 v87, v35
	v_and_b32_e32 v45, 0x80, v11
	s_delay_alu instid0(VALU_DEP_2) | instskip(SKIP_1) | instid1(SALU_CYCLE_1)
	v_cmp_gt_u64_e32 vcc_lo, 0x47600001, v[86:87]
                                        ; implicit-def: $vgpr86
	s_and_saveexec_b32 s11, vcc_lo
	s_xor_b32 s40, exec_lo, s11
	s_cbranch_execz .LBB2_7589
; %bb.7580:                             ;   in Loop: Header=BB2_7140 Depth=2
	v_mov_b32_e32 v86, 0
	s_mov_b32 s41, exec_lo
	v_cmpx_ne_u32_e32 0, v10
	s_cbranch_execz .LBB2_7588
; %bb.7581:                             ;   in Loop: Header=BB2_7140 Depth=2
	v_bfe_u32 v46, v10, 23, 8
	v_or_b32_e32 v86, 0x800000, v34
	s_delay_alu instid0(VALU_DEP_2) | instskip(SKIP_1) | instid1(VALU_DEP_2)
	v_sub_nc_u32_e32 v10, 0x71, v46
	v_cmp_gt_u32_e32 vcc_lo, 0x72, v46
	v_cndmask_b32_e32 v10, 0, v10, vcc_lo
	v_cmp_eq_u32_e32 vcc_lo, 0, v46
	s_delay_alu instid0(VALU_DEP_2) | instskip(NEXT) | instid1(VALU_DEP_1)
	v_cndmask_b32_e64 v47, v10, 0x70, vcc_lo
	v_dual_cndmask_b32 v34, v86, v34, vcc_lo :: v_dual_add_nc_u32 v10, 21, v47
	v_add_nc_u32_e32 v87, 20, v47
	s_delay_alu instid0(VALU_DEP_2) | instskip(NEXT) | instid1(VALU_DEP_2)
	v_lshlrev_b64_e64 v[10:11], v10, -1
	v_lshlrev_b64_e64 v[86:87], v87, 1
	s_delay_alu instid0(VALU_DEP_2) | instskip(NEXT) | instid1(VALU_DEP_3)
	v_bfi_b32 v59, v11, 0, 0
	v_bfi_b32 v58, v10, 0, v34
	v_lshrrev_b64 v[10:11], v47, v[34:35]
	s_delay_alu instid0(VALU_DEP_2) | instskip(NEXT) | instid1(VALU_DEP_2)
	v_cmp_eq_u64_e64 s11, v[58:59], v[86:87]
	v_mov_b64_e32 v[86:87], v[10:11]
	s_and_saveexec_b32 s42, s11
; %bb.7582:                             ;   in Loop: Header=BB2_7140 Depth=2
	v_bfe_u32 v34, v10, 21, 1
	s_delay_alu instid0(VALU_DEP_1) | instskip(NEXT) | instid1(VALU_DEP_1)
	v_add_nc_u64_e32 v[86:87], v[10:11], v[34:35]
	v_add_nc_u64_e32 v[86:87], -1, v[86:87]
; %bb.7583:                             ;   in Loop: Header=BB2_7140 Depth=2
	s_or_b32 exec_lo, exec_lo, s42
	v_add_nc_u32_e32 v11, 0xffffff81, v46
	v_lshrrev_b32_e32 v34, 23, v10
	s_mov_b32 s11, exec_lo
	s_delay_alu instid0(VALU_DEP_2) | instskip(NEXT) | instid1(VALU_DEP_1)
	v_cndmask_b32_e64 v11, v11, 0xffffff82, vcc_lo
	v_add3_u32 v87, v47, v11, v34
	v_and_b32_e32 v11, 0x1fffff, v86
                                        ; implicit-def: $vgpr86
	s_delay_alu instid0(VALU_DEP_1) | instskip(NEXT) | instid1(VALU_DEP_1)
	v_dual_add_nc_u32 v46, 14, v87 :: v_dual_add_nc_u32 v34, v11, v10
                                        ; implicit-def: $vgpr10_vgpr11
	v_cmpx_ne_u32_e32 0, v46
	s_xor_b32 s11, exec_lo, s11
; %bb.7584:                             ;   in Loop: Header=BB2_7140 Depth=2
	s_delay_alu instid0(VALU_DEP_2) | instskip(SKIP_1) | instid1(VALU_DEP_1)
	v_cmp_lt_u64_e32 vcc_lo, 0xffffff, v[34:35]
	v_add_nc_u32_e32 v10, 15, v87
	v_cndmask_b32_e32 v86, v46, v10, vcc_lo
	v_cndmask_b32_e64 v10, 0, 1, vcc_lo
	s_delay_alu instid0(VALU_DEP_1)
	v_lshrrev_b64 v[10:11], v10, v[34:35]
; %bb.7585:                             ;   in Loop: Header=BB2_7140 Depth=2
	s_and_not1_saveexec_b32 s11, s11
; %bb.7586:                             ;   in Loop: Header=BB2_7140 Depth=2
	v_mov_b64_e32 v[10:11], v[34:35]
	v_bfe_u32 v86, v34, 23, 1
; %bb.7587:                             ;   in Loop: Header=BB2_7140 Depth=2
	s_or_b32 exec_lo, exec_lo, s11
	s_delay_alu instid0(VALU_DEP_2) | instskip(NEXT) | instid1(VALU_DEP_2)
	v_lshrrev_b64 v[10:11], 21, v[10:11]
	v_cmp_gt_i32_e32 vcc_lo, 32, v86
	v_min_i32_e32 v34, 31, v86
	v_cmp_eq_u32_e64 s11, 0, v86
	s_delay_alu instid0(VALU_DEP_2) | instskip(SKIP_1) | instid1(VALU_DEP_2)
	v_dual_cndmask_b32 v11, 0, v11 :: v_dual_lshlrev_b32 v34, 2, v34
	v_cndmask_b32_e32 v10, 3, v10, vcc_lo
	v_and_b32_e32 v34, 0xfc, v34
	s_delay_alu instid0(VALU_DEP_2) | instskip(NEXT) | instid1(VALU_DEP_2)
	v_cmp_eq_u64_e32 vcc_lo, 0, v[10:11]
	v_and_or_b32 v10, v10, 3, v34
	s_and_b32 s11, s11, vcc_lo
	s_delay_alu instid0(VALU_DEP_1) | instid1(SALU_CYCLE_1)
	v_cndmask_b32_e64 v10, v10, 0, s11
	s_delay_alu instid0(VALU_DEP_1)
	v_or_b32_e32 v86, v10, v45
.LBB2_7588:                             ;   in Loop: Header=BB2_7140 Depth=2
	s_or_b32 exec_lo, exec_lo, s41
                                        ; implicit-def: $vgpr45
.LBB2_7589:                             ;   in Loop: Header=BB2_7140 Depth=2
	s_and_not1_saveexec_b32 s11, s40
; %bb.7590:                             ;   in Loop: Header=BB2_7140 Depth=2
	v_or_b32_e32 v86, 0x7b, v45
; %bb.7591:                             ;   in Loop: Header=BB2_7140 Depth=2
	s_or_b32 exec_lo, exec_lo, s11
                                        ; implicit-def: $vgpr10
                                        ; implicit-def: $vgpr11
.LBB2_7592:                             ;   in Loop: Header=BB2_7140 Depth=2
	s_and_not1_saveexec_b32 s11, s29
	s_cbranch_execz .LBB2_7598
; %bb.7593:                             ;   in Loop: Header=BB2_7140 Depth=2
	s_mov_b32 s29, exec_lo
                                        ; implicit-def: $vgpr86
	v_cmpx_ne_u64_e32 0, v[34:35]
	s_xor_b32 s29, exec_lo, s29
; %bb.7594:                             ;   in Loop: Header=BB2_7140 Depth=2
	v_or_b32_e32 v86, 0x7f, v11
                                        ; implicit-def: $vgpr10
; %bb.7595:                             ;   in Loop: Header=BB2_7140 Depth=2
	s_and_not1_saveexec_b32 s29, s29
; %bb.7596:                             ;   in Loop: Header=BB2_7140 Depth=2
	v_cmp_lt_i32_e32 vcc_lo, -1, v10
	v_cndmask_b32_e32 v86, 0xfc, v112, vcc_lo
; %bb.7597:                             ;   in Loop: Header=BB2_7140 Depth=2
	s_or_b32 exec_lo, exec_lo, s29
.LBB2_7598:                             ;   in Loop: Header=BB2_7140 Depth=2
	s_delay_alu instid0(SALU_CYCLE_1)
	s_or_b32 exec_lo, exec_lo, s11
	v_mov_b32_e32 v11, 0
	s_mov_b32 s11, exec_lo
	v_cmpx_lt_u64_e64 s[12:13], v[12:13]
	s_cbranch_execz .LBB2_7608
; %bb.7599:                             ;   in Loop: Header=BB2_7140 Depth=2
	v_lshrrev_b32_e32 v10, 24, v13
	v_bfrev_b32_e32 v11, 1
	s_mov_b32 s29, exec_lo
	s_delay_alu instid0(VALU_DEP_2)
	v_cmpx_ne_u32_e32 0x80, v10
	s_cbranch_execz .LBB2_7607
; %bb.7600:                             ;   in Loop: Header=BB2_7140 Depth=2
	v_and_b32_e32 v11, 0x7c000000, v13
	v_bfe_u32 v34, v13, 24, 2
	s_delay_alu instid0(VALU_DEP_2) | instskip(SKIP_1) | instid1(SALU_CYCLE_1)
	v_cmp_ne_u32_e32 vcc_lo, 0x7c000000, v11
                                        ; implicit-def: $vgpr11
	s_and_saveexec_b32 s40, vcc_lo
	s_xor_b32 s40, exec_lo, s40
	s_cbranch_execz .LBB2_7604
; %bb.7601:                             ;   in Loop: Header=BB2_7140 Depth=2
	v_bfe_u32 v11, v13, 26, 5
	s_mov_b32 s41, exec_lo
	s_delay_alu instid0(VALU_DEP_1)
	v_cmpx_eq_u32_e32 0, v11
; %bb.7602:                             ;   in Loop: Header=BB2_7140 Depth=2
	v_clz_i32_u32_e32 v11, v34
	s_delay_alu instid0(VALU_DEP_1) | instskip(NEXT) | instid1(VALU_DEP_1)
	v_min_u32_e32 v12, 32, v11
	v_subrev_nc_u32_e32 v11, 29, v12
	s_delay_alu instid0(VALU_DEP_1) | instskip(NEXT) | instid1(VALU_DEP_1)
	v_lshlrev_b64_e32 v[10:11], v11, v[10:11]
	v_dual_sub_nc_u32 v11, 30, v12 :: v_dual_bitop2_b32 v34, 3, v10 bitop3:0x40
; %bb.7603:                             ;   in Loop: Header=BB2_7140 Depth=2
	s_or_b32 exec_lo, exec_lo, s41
	v_and_b32_e32 v10, 0x80000000, v13
                                        ; implicit-def: $vgpr12_vgpr13
	s_delay_alu instid0(VALU_DEP_1) | instskip(NEXT) | instid1(VALU_DEP_1)
	v_lshl_add_u32 v10, v11, 23, v10
	v_lshl_or_b32 v10, v34, 21, v10
                                        ; implicit-def: $vgpr34
	s_delay_alu instid0(VALU_DEP_1)
	v_add_nc_u32_e32 v11, 0x38000000, v10
.LBB2_7604:                             ;   in Loop: Header=BB2_7140 Depth=2
	s_and_not1_saveexec_b32 s40, s40
; %bb.7605:                             ;   in Loop: Header=BB2_7140 Depth=2
	v_cmp_lt_i64_e32 vcc_lo, -1, v[12:13]
	v_cndmask_b32_e32 v10, 0xff800000, v103, vcc_lo
	v_cmp_eq_u32_e32 vcc_lo, 0, v34
	s_delay_alu instid0(VALU_DEP_2)
	v_cndmask_b32_e32 v11, 0x7f800001, v10, vcc_lo
; %bb.7606:                             ;   in Loop: Header=BB2_7140 Depth=2
	s_or_b32 exec_lo, exec_lo, s40
.LBB2_7607:                             ;   in Loop: Header=BB2_7140 Depth=2
	s_delay_alu instid0(SALU_CYCLE_1)
	s_or_b32 exec_lo, exec_lo, s29
.LBB2_7608:                             ;   in Loop: Header=BB2_7140 Depth=2
	s_delay_alu instid0(SALU_CYCLE_1) | instskip(NEXT) | instid1(VALU_DEP_1)
	s_or_b32 exec_lo, exec_lo, s11
	v_dual_mul_f32 v11, s28, v11 :: v_dual_mov_b32 v13, v35
                                        ; implicit-def: $vgpr10
	s_delay_alu instid0(VALU_DEP_1) | instskip(SKIP_1) | instid1(VALU_DEP_2)
	v_and_b32_e32 v12, 0x7f800000, v11
	v_and_b32_e32 v34, 0x7fffff, v11
	v_cmp_ne_u64_e32 vcc_lo, 0x7f800000, v[12:13]
	v_lshrrev_b32_e32 v12, 24, v11
	s_and_saveexec_b32 s11, vcc_lo
	s_delay_alu instid0(SALU_CYCLE_1)
	s_xor_b32 s28, exec_lo, s11
	s_cbranch_execz .LBB2_7622
; %bb.7609:                             ;   in Loop: Header=BB2_7140 Depth=2
	v_and_b32_e32 v46, 0x7fffffff, v11
	v_mov_b32_e32 v47, v35
	v_and_b32_e32 v87, 0x80, v12
                                        ; implicit-def: $vgpr10
	s_mov_b32 s11, exec_lo
	s_delay_alu instid0(VALU_DEP_2)
	v_cmpx_gt_u64_e32 0x47600001, v[46:47]
	s_xor_b32 s29, exec_lo, s11
	s_cbranch_execz .LBB2_7619
; %bb.7610:                             ;   in Loop: Header=BB2_7140 Depth=2
	v_mov_b32_e32 v10, 0
	s_mov_b32 s40, exec_lo
	v_cmpx_ne_u32_e32 0, v11
	s_cbranch_execz .LBB2_7618
; %bb.7611:                             ;   in Loop: Header=BB2_7140 Depth=2
	v_bfe_u32 v45, v11, 23, 8
	v_or_b32_e32 v12, 0x800000, v34
	s_delay_alu instid0(VALU_DEP_2) | instskip(SKIP_1) | instid1(VALU_DEP_2)
	v_sub_nc_u32_e32 v10, 0x71, v45
	v_cmp_gt_u32_e32 vcc_lo, 0x72, v45
	v_cndmask_b32_e32 v10, 0, v10, vcc_lo
	v_cmp_eq_u32_e32 vcc_lo, 0, v45
	s_delay_alu instid0(VALU_DEP_2) | instskip(SKIP_1) | instid1(VALU_DEP_2)
	v_cndmask_b32_e64 v46, v10, 0x70, vcc_lo
	v_cndmask_b32_e32 v34, v12, v34, vcc_lo
	v_dual_add_nc_u32 v10, 21, v46 :: v_dual_add_nc_u32 v13, 20, v46
	s_delay_alu instid0(VALU_DEP_1) | instskip(NEXT) | instid1(VALU_DEP_2)
	v_lshlrev_b64_e64 v[10:11], v10, -1
	v_lshlrev_b64_e64 v[12:13], v13, 1
	s_delay_alu instid0(VALU_DEP_2) | instskip(NEXT) | instid1(VALU_DEP_3)
	v_bfi_b32 v59, v11, 0, 0
	v_bfi_b32 v58, v10, 0, v34
	v_lshrrev_b64 v[10:11], v46, v[34:35]
	s_delay_alu instid0(VALU_DEP_2) | instskip(NEXT) | instid1(VALU_DEP_2)
	v_cmp_eq_u64_e64 s11, v[58:59], v[12:13]
	v_mov_b64_e32 v[12:13], v[10:11]
	s_and_saveexec_b32 s41, s11
; %bb.7612:                             ;   in Loop: Header=BB2_7140 Depth=2
	v_bfe_u32 v34, v10, 21, 1
	s_delay_alu instid0(VALU_DEP_1) | instskip(NEXT) | instid1(VALU_DEP_1)
	v_add_nc_u64_e32 v[12:13], v[10:11], v[34:35]
	v_add_nc_u64_e32 v[12:13], -1, v[12:13]
; %bb.7613:                             ;   in Loop: Header=BB2_7140 Depth=2
	s_or_b32 exec_lo, exec_lo, s41
	v_add_nc_u32_e32 v11, 0xffffff81, v45
	v_lshrrev_b32_e32 v13, 23, v10
	s_mov_b32 s11, exec_lo
	s_delay_alu instid0(VALU_DEP_2) | instskip(NEXT) | instid1(VALU_DEP_1)
	v_cndmask_b32_e64 v11, v11, 0xffffff82, vcc_lo
	v_add3_u32 v13, v46, v11, v13
	v_and_b32_e32 v11, 0x1fffff, v12
                                        ; implicit-def: $vgpr12
	s_delay_alu instid0(VALU_DEP_1) | instskip(NEXT) | instid1(VALU_DEP_1)
	v_dual_add_nc_u32 v45, 14, v13 :: v_dual_add_nc_u32 v34, v11, v10
                                        ; implicit-def: $vgpr10_vgpr11
	v_cmpx_ne_u32_e32 0, v45
	s_xor_b32 s11, exec_lo, s11
; %bb.7614:                             ;   in Loop: Header=BB2_7140 Depth=2
	s_delay_alu instid0(VALU_DEP_2) | instskip(SKIP_1) | instid1(VALU_DEP_1)
	v_cmp_lt_u64_e32 vcc_lo, 0xffffff, v[34:35]
	v_add_nc_u32_e32 v10, 15, v13
	v_cndmask_b32_e32 v12, v45, v10, vcc_lo
	v_cndmask_b32_e64 v10, 0, 1, vcc_lo
	s_delay_alu instid0(VALU_DEP_1)
	v_lshrrev_b64 v[10:11], v10, v[34:35]
; %bb.7615:                             ;   in Loop: Header=BB2_7140 Depth=2
	s_and_not1_saveexec_b32 s11, s11
; %bb.7616:                             ;   in Loop: Header=BB2_7140 Depth=2
	v_mov_b64_e32 v[10:11], v[34:35]
	v_bfe_u32 v12, v34, 23, 1
; %bb.7617:                             ;   in Loop: Header=BB2_7140 Depth=2
	s_or_b32 exec_lo, exec_lo, s11
	s_delay_alu instid0(VALU_DEP_2) | instskip(NEXT) | instid1(VALU_DEP_2)
	v_lshrrev_b64 v[10:11], 21, v[10:11]
	v_cmp_gt_i32_e32 vcc_lo, 32, v12
	v_min_i32_e32 v13, 31, v12
	v_cmp_eq_u32_e64 s11, 0, v12
	s_delay_alu instid0(VALU_DEP_2) | instskip(SKIP_1) | instid1(VALU_DEP_2)
	v_dual_cndmask_b32 v11, 0, v11, vcc_lo :: v_dual_lshlrev_b32 v13, 2, v13
	v_cndmask_b32_e32 v10, 3, v10, vcc_lo
	v_and_b32_e32 v13, 0xfc, v13
	s_delay_alu instid0(VALU_DEP_2) | instskip(NEXT) | instid1(VALU_DEP_2)
	v_cmp_eq_u64_e32 vcc_lo, 0, v[10:11]
	v_and_or_b32 v10, v10, 3, v13
	s_and_b32 s11, s11, vcc_lo
	s_delay_alu instid0(VALU_DEP_1) | instid1(SALU_CYCLE_1)
	v_cndmask_b32_e64 v10, v10, 0, s11
	s_delay_alu instid0(VALU_DEP_1)
	v_or_b32_e32 v10, v10, v87
.LBB2_7618:                             ;   in Loop: Header=BB2_7140 Depth=2
	s_or_b32 exec_lo, exec_lo, s40
                                        ; implicit-def: $vgpr87
.LBB2_7619:                             ;   in Loop: Header=BB2_7140 Depth=2
	s_and_not1_saveexec_b32 s11, s29
; %bb.7620:                             ;   in Loop: Header=BB2_7140 Depth=2
	v_or_b32_e32 v10, 0x7b, v87
; %bb.7621:                             ;   in Loop: Header=BB2_7140 Depth=2
	s_or_b32 exec_lo, exec_lo, s11
                                        ; implicit-def: $vgpr11
                                        ; implicit-def: $vgpr12
.LBB2_7622:                             ;   in Loop: Header=BB2_7140 Depth=2
	s_and_not1_saveexec_b32 s11, s28
	s_cbranch_execz .LBB2_7139
; %bb.7623:                             ;   in Loop: Header=BB2_7140 Depth=2
	s_mov_b32 s28, exec_lo
                                        ; implicit-def: $vgpr10
	v_cmpx_ne_u64_e32 0, v[34:35]
	s_xor_b32 s28, exec_lo, s28
; %bb.7624:                             ;   in Loop: Header=BB2_7140 Depth=2
	v_or_b32_e32 v10, 0x7f, v12
                                        ; implicit-def: $vgpr11
; %bb.7625:                             ;   in Loop: Header=BB2_7140 Depth=2
	s_and_not1_saveexec_b32 s28, s28
	s_cbranch_execz .LBB2_7138
; %bb.7626:                             ;   in Loop: Header=BB2_7140 Depth=2
	v_cmp_lt_i32_e32 vcc_lo, -1, v11
	v_cndmask_b32_e32 v10, 0xfc, v112, vcc_lo
	s_branch .LBB2_7138
.LBB2_7627:                             ;   in Loop: Header=BB2_6091 Depth=1
	s_or_b32 exec_lo, exec_lo, s25
.LBB2_7628:                             ;   in Loop: Header=BB2_6091 Depth=1
	s_delay_alu instid0(SALU_CYCLE_1) | instskip(SKIP_3) | instid1(VALU_DEP_2)
	s_or_b32 exec_lo, exec_lo, s24
	v_cmp_lt_i32_e32 vcc_lo, 0, v99
	v_and_b32_e32 v10, 15, v69
	v_and_b32_e32 v11, 0x1f0, v69
	v_dual_cndmask_b32 v12, 0, v36, vcc_lo :: v_dual_cndmask_b32 v96, v98, v10, s10
	s_delay_alu instid0(VALU_DEP_2) | instskip(NEXT) | instid1(VALU_DEP_2)
	v_cndmask_b32_e64 v10, 0, v11, s10
	v_sub_nc_u32_e32 v11, v12, v99
	s_delay_alu instid0(VALU_DEP_3) | instskip(NEXT) | instid1(VALU_DEP_3)
	v_cmp_ne_u32_e32 vcc_lo, 0, v96
	v_and_or_b32 v30, 0x3ffffe00, v69, v10
	s_delay_alu instid0(VALU_DEP_3)
	v_lshl_add_u32 v97, v11, 5, v71
	s_and_b32 s10, vcc_lo, exec_lo
.LBB2_7629:                             ;   in Loop: Header=BB2_6091 Depth=1
	s_or_b32 exec_lo, exec_lo, s23
	s_and_saveexec_b32 s23, s10
	s_cbranch_execz .LBB2_7960
.LBB2_7630:                             ;   in Loop: Header=BB2_6091 Depth=1
	v_dual_ashrrev_i32 v10, 31, v97 :: v_dual_lshrrev_b32 v11, 8, v96
	s_mov_b32 s24, exec_lo
	s_delay_alu instid0(VALU_DEP_1) | instskip(NEXT) | instid1(VALU_DEP_1)
	v_lshrrev_b32_e32 v10, 27, v10
	v_add_nc_u32_e32 v10, v97, v10
	s_delay_alu instid0(VALU_DEP_1) | instskip(NEXT) | instid1(VALU_DEP_1)
	v_ashrrev_i32_e32 v71, 5, v10
	v_sub_nc_u32_e32 v98, v11, v71
	s_delay_alu instid0(VALU_DEP_1)
	v_cmpx_lt_i32_e32 0, v98
	s_cbranch_execz .LBB2_7914
; %bb.7631:                             ;   in Loop: Header=BB2_6091 Depth=1
	v_and_b32_e32 v10, 0xffffffe0, v10
	s_mov_b32 s25, 0
	s_delay_alu instid0(VALU_DEP_1) | instskip(NEXT) | instid1(VALU_DEP_1)
	v_dual_lshlrev_b32 v11, 8, v71 :: v_dual_sub_nc_u32 v10, v97, v10
	v_add3_u32 v10, v30, v10, v11
	s_delay_alu instid0(VALU_DEP_1)
	v_ashrrev_i32_e32 v11, 31, v10
	s_branch .LBB2_7634
.LBB2_7632:                             ;   in Loop: Header=BB2_7634 Depth=2
	s_or_b32 exec_lo, exec_lo, s11
.LBB2_7633:                             ;   in Loop: Header=BB2_7634 Depth=2
	s_delay_alu instid0(SALU_CYCLE_1)
	s_or_b32 exec_lo, exec_lo, s10
	v_sub_nc_u32_e32 v98, v98, v36
	v_add_nc_u64_e32 v[84:85], v[10:11], v[82:83]
	v_add_nc_u64_e32 v[80:81], v[80:81], v[50:51]
	;; [unrolled: 1-line block ×3, first 2 shown]
	s_clause 0x7
	flat_store_b8 v[84:85], v99 th:TH_STORE_NT
	flat_store_b8 v[84:85], v113 offset:32 th:TH_STORE_NT
	flat_store_b8 v[84:85], v114 offset:64 th:TH_STORE_NT
	;; [unrolled: 1-line block ×7, first 2 shown]
	v_cmp_gt_i32_e32 vcc_lo, 1, v98
	s_or_b32 s25, vcc_lo, s25
	s_wait_xcnt 0x0
	s_and_not1_b32 exec_lo, exec_lo, s25
	s_cbranch_execz .LBB2_7913
.LBB2_7634:                             ;   Parent Loop BB2_6091 Depth=1
                                        ; =>  This Inner Loop Header: Depth=2
	s_trap 2
	ds_load_b64 v[12:13], v0
	s_mov_b32 s26, 0
	s_wait_dscnt 0x0
	v_and_b32_e32 v34, 0xff, v12
	v_readfirstlane_b32 s10, v12
	v_readfirstlane_b32 s11, v13
	s_delay_alu instid0(VALU_DEP_3)
	v_cmp_eq_u32_e32 vcc_lo, 0, v34
	s_cbranch_vccnz .LBB2_7642
; %bb.7635:                             ;   in Loop: Header=BB2_7634 Depth=2
	s_bfe_i32 s28, s10, 0x80000
	s_delay_alu instid0(SALU_CYCLE_1) | instskip(NEXT) | instid1(SALU_CYCLE_1)
	s_and_b32 s26, 0xffff, s28
	s_cmp_eq_u32 s26, 0xff80
	s_brev_b32 s26, 1
	s_cbranch_scc1 .LBB2_7642
; %bb.7636:                             ;   in Loop: Header=BB2_7634 Depth=2
	s_and_b32 s26, s10, 0x7c
	s_and_b32 s27, s10, 3
	s_mov_b32 s29, -1
	s_cmp_lg_u32 s26, 0x7c
	s_sext_i32_i16 s28, s28
                                        ; implicit-def: $sgpr26
	s_cbranch_scc0 .LBB2_7640
; %bb.7637:                             ;   in Loop: Header=BB2_7634 Depth=2
	s_bfe_u32 s26, s10, 0x50002
	s_mov_b32 s29, s27
	s_cmp_lg_u32 s26, 0
	s_cbranch_scc1 .LBB2_7639
; %bb.7638:                             ;   in Loop: Header=BB2_7634 Depth=2
	s_clz_i32_u32 s26, s27
	s_delay_alu instid0(SALU_CYCLE_1) | instskip(NEXT) | instid1(SALU_CYCLE_1)
	s_min_u32 s26, s26, 32
	s_sub_co_i32 s29, s26, 29
	s_sub_co_i32 s26, 30, s26
	s_lshl_b64 s[10:11], s[10:11], s29
	s_delay_alu instid0(SALU_CYCLE_1)
	s_and_b32 s29, s10, 3
.LBB2_7639:                             ;   in Loop: Header=BB2_7634 Depth=2
	s_and_b32 s10, s28, 0x80000000
	s_lshl_b32 s11, s26, 23
	s_lshl_b32 s26, s29, 21
	s_add_co_i32 s11, s11, s10
	s_mov_b32 s29, 0
	s_or_b32 s10, s11, s26
	s_delay_alu instid0(SALU_CYCLE_1)
	s_add_co_i32 s26, s10, 0x38000000
.LBB2_7640:                             ;   in Loop: Header=BB2_7634 Depth=2
	s_and_b32 vcc_lo, exec_lo, s29
	s_cbranch_vccz .LBB2_7642
; %bb.7641:                             ;   in Loop: Header=BB2_7634 Depth=2
	s_cmp_gt_i32 s28, -1
	s_cselect_b32 s10, s20, 0xff800000
	s_cmp_eq_u32 s27, 0
	s_cselect_b32 s26, s10, 0x7f800001
.LBB2_7642:                             ;   in Loop: Header=BB2_7634 Depth=2
	v_add_nc_u64_e32 v[12:13], v[10:11], v[80:81]
	v_mov_b32_e32 v85, 0
	s_mov_b32 s10, exec_lo
	flat_load_i8 v34, v[12:13] th:TH_LOAD_NT
	s_wait_loadcnt_dscnt 0x0
	v_cmpx_ne_u16_e32 0, v34
	s_cbranch_execz .LBB2_7652
; %bb.7643:                             ;   in Loop: Header=BB2_7634 Depth=2
	v_bfrev_b32_e32 v85, 1
	s_mov_b32 s11, exec_lo
	v_cmpx_ne_u16_e32 0xff80, v34
	s_cbranch_execz .LBB2_7651
; %bb.7644:                             ;   in Loop: Header=BB2_7634 Depth=2
	v_and_b32_e32 v85, 0x7c, v34
	v_and_b32_e32 v84, 3, v34
	s_delay_alu instid0(VALU_DEP_2) | instskip(SKIP_1) | instid1(SALU_CYCLE_1)
	v_cmp_ne_u32_e32 vcc_lo, 0x7c, v85
                                        ; implicit-def: $vgpr85
	s_and_saveexec_b32 s27, vcc_lo
	s_xor_b32 s27, exec_lo, s27
	s_cbranch_execz .LBB2_7648
; %bb.7645:                             ;   in Loop: Header=BB2_7634 Depth=2
	v_and_b32_e32 v85, 0xff, v34
	s_mov_b32 s28, exec_lo
	s_delay_alu instid0(VALU_DEP_1) | instskip(NEXT) | instid1(VALU_DEP_1)
	v_bfe_u32 v85, v85, 2, 5
	v_cmpx_eq_u32_e32 0, v85
; %bb.7646:                             ;   in Loop: Header=BB2_7634 Depth=2
	v_clz_i32_u32_e32 v84, v84
	s_delay_alu instid0(VALU_DEP_1) | instskip(NEXT) | instid1(VALU_DEP_1)
	v_min_u32_e32 v86, 32, v84
	v_subrev_nc_u32_e32 v84, 29, v86
	s_delay_alu instid0(VALU_DEP_1) | instskip(NEXT) | instid1(VALU_DEP_1)
	v_lshlrev_b64_e32 v[84:85], v84, v[34:35]
	v_dual_sub_nc_u32 v85, 30, v86 :: v_dual_bitop2_b32 v84, 3, v84 bitop3:0x40
; %bb.7647:                             ;   in Loop: Header=BB2_7634 Depth=2
	s_or_b32 exec_lo, exec_lo, s28
	v_bfe_i32 v34, v34, 0, 16
	s_delay_alu instid0(VALU_DEP_1) | instskip(NEXT) | instid1(VALU_DEP_1)
	v_and_b32_e32 v34, 0x80000000, v34
	v_lshl_add_u32 v34, v85, 23, v34
	s_delay_alu instid0(VALU_DEP_1) | instskip(NEXT) | instid1(VALU_DEP_1)
	v_lshl_or_b32 v34, v84, 21, v34
                                        ; implicit-def: $vgpr84
	v_add_nc_u32_e32 v85, 0x38000000, v34
.LBB2_7648:                             ;   in Loop: Header=BB2_7634 Depth=2
	s_and_not1_saveexec_b32 s27, s27
; %bb.7649:                             ;   in Loop: Header=BB2_7634 Depth=2
	v_cmp_lt_i16_e32 vcc_lo, -1, v34
	v_cndmask_b32_e32 v34, 0xff800000, v103, vcc_lo
	v_cmp_eq_u32_e32 vcc_lo, 0, v84
	s_delay_alu instid0(VALU_DEP_2)
	v_cndmask_b32_e32 v85, 0x7f800001, v34, vcc_lo
; %bb.7650:                             ;   in Loop: Header=BB2_7634 Depth=2
	s_or_b32 exec_lo, exec_lo, s27
.LBB2_7651:                             ;   in Loop: Header=BB2_7634 Depth=2
	s_delay_alu instid0(SALU_CYCLE_1)
	s_or_b32 exec_lo, exec_lo, s11
.LBB2_7652:                             ;   in Loop: Header=BB2_7634 Depth=2
	s_delay_alu instid0(SALU_CYCLE_1) | instskip(NEXT) | instid1(VALU_DEP_1)
	s_or_b32 exec_lo, exec_lo, s10
	v_dual_mul_f32 v84, s26, v85 :: v_dual_mov_b32 v87, v35
                                        ; implicit-def: $vgpr99
	s_mov_b32 s10, exec_lo
	s_delay_alu instid0(VALU_DEP_1) | instskip(SKIP_1) | instid1(VALU_DEP_2)
	v_and_b32_e32 v86, 0x7f800000, v84
	v_and_b32_e32 v34, 0x7fffff, v84
	v_cmpx_ne_u64_e32 0x7f800000, v[86:87]
	s_xor_b32 s11, exec_lo, s10
	s_cbranch_execz .LBB2_7670
; %bb.7653:                             ;   in Loop: Header=BB2_7634 Depth=2
	v_dual_mov_b32 v87, v35 :: v_dual_lshrrev_b32 v85, 24, v84
	v_and_b32_e32 v86, 0x7fffffff, v84
                                        ; implicit-def: $vgpr99
	s_mov_b32 s10, exec_lo
	s_delay_alu instid0(VALU_DEP_2) | instskip(NEXT) | instid1(VALU_DEP_2)
	v_and_b32_e32 v113, 0x80, v85
	v_cmpx_gt_u64_e32 0x47600001, v[86:87]
	s_xor_b32 s27, exec_lo, s10
	s_cbranch_execz .LBB2_7667
; %bb.7654:                             ;   in Loop: Header=BB2_7634 Depth=2
	v_mov_b32_e32 v99, 0
	s_mov_b32 s28, exec_lo
	v_cmpx_ne_u32_e32 0, v84
	s_cbranch_execz .LBB2_7666
; %bb.7655:                             ;   in Loop: Header=BB2_7634 Depth=2
	v_bfe_u32 v99, v84, 23, 8
	v_or_b32_e32 v86, 0x800000, v34
	s_delay_alu instid0(VALU_DEP_2) | instskip(SKIP_1) | instid1(VALU_DEP_2)
	v_sub_nc_u32_e32 v84, 0x71, v99
	v_cmp_gt_u32_e32 vcc_lo, 0x72, v99
	v_cndmask_b32_e32 v84, 0, v84, vcc_lo
	v_cmp_eq_u32_e32 vcc_lo, 0, v99
	s_delay_alu instid0(VALU_DEP_2) | instskip(SKIP_1) | instid1(VALU_DEP_2)
	v_cndmask_b32_e64 v114, v84, 0x70, vcc_lo
	v_cndmask_b32_e32 v34, v86, v34, vcc_lo
	v_dual_add_nc_u32 v84, 21, v114 :: v_dual_add_nc_u32 v87, 20, v114
	s_delay_alu instid0(VALU_DEP_1) | instskip(NEXT) | instid1(VALU_DEP_2)
	v_lshlrev_b64_e64 v[84:85], v84, -1
	v_lshlrev_b64_e64 v[86:87], v87, 1
	s_delay_alu instid0(VALU_DEP_2) | instskip(NEXT) | instid1(VALU_DEP_3)
	v_bfi_b32 v117, v85, 0, 0
	v_bfi_b32 v116, v84, 0, v34
	v_lshrrev_b64 v[84:85], v114, v[34:35]
	s_delay_alu instid0(VALU_DEP_2) | instskip(NEXT) | instid1(VALU_DEP_2)
	v_cmp_eq_u64_e64 s10, v[116:117], v[86:87]
	v_mov_b64_e32 v[86:87], v[84:85]
	s_and_saveexec_b32 s29, s10
; %bb.7656:                             ;   in Loop: Header=BB2_7634 Depth=2
	v_bfe_u32 v34, v84, 21, 1
	s_delay_alu instid0(VALU_DEP_1) | instskip(NEXT) | instid1(VALU_DEP_1)
	v_add_nc_u64_e32 v[86:87], v[84:85], v[34:35]
	v_add_nc_u64_e32 v[86:87], -1, v[86:87]
; %bb.7657:                             ;   in Loop: Header=BB2_7634 Depth=2
	s_or_b32 exec_lo, exec_lo, s29
	v_add_nc_u32_e32 v34, 0xffffff81, v99
	v_lshrrev_b32_e32 v85, 23, v84
	s_mov_b32 s10, exec_lo
	s_delay_alu instid0(VALU_DEP_2) | instskip(NEXT) | instid1(VALU_DEP_1)
	v_cndmask_b32_e64 v34, v34, 0xffffff82, vcc_lo
	v_add3_u32 v87, v114, v34, v85
	v_and_b32_e32 v34, 0x1fffff, v86
                                        ; implicit-def: $vgpr86
	s_delay_alu instid0(VALU_DEP_1) | instskip(NEXT) | instid1(VALU_DEP_1)
	v_dual_add_nc_u32 v99, 14, v87 :: v_dual_add_nc_u32 v34, v34, v84
                                        ; implicit-def: $vgpr84_vgpr85
	v_cmpx_ne_u32_e32 0, v99
	s_xor_b32 s10, exec_lo, s10
; %bb.7658:                             ;   in Loop: Header=BB2_7634 Depth=2
	s_delay_alu instid0(VALU_DEP_2) | instskip(SKIP_1) | instid1(VALU_DEP_1)
	v_cmp_lt_u64_e32 vcc_lo, 0xffffff, v[34:35]
	v_add_nc_u32_e32 v84, 15, v87
	v_cndmask_b32_e32 v86, v99, v84, vcc_lo
	v_cndmask_b32_e64 v84, 0, 1, vcc_lo
	s_delay_alu instid0(VALU_DEP_1)
	v_lshrrev_b64 v[84:85], v84, v[34:35]
; %bb.7659:                             ;   in Loop: Header=BB2_7634 Depth=2
	s_and_not1_saveexec_b32 s10, s10
; %bb.7660:                             ;   in Loop: Header=BB2_7634 Depth=2
	v_mov_b64_e32 v[84:85], v[34:35]
	v_bfe_u32 v86, v34, 23, 1
; %bb.7661:                             ;   in Loop: Header=BB2_7634 Depth=2
	s_or_b32 exec_lo, exec_lo, s10
	s_delay_alu instid0(VALU_DEP_2) | instskip(NEXT) | instid1(VALU_DEP_2)
	v_lshrrev_b64 v[84:85], 21, v[84:85]
	v_cmp_gt_i32_e32 vcc_lo, 32, v86
	v_cmp_ne_u32_e64 s10, 0, v86
                                        ; implicit-def: $vgpr99
	s_delay_alu instid0(VALU_DEP_3) | instskip(NEXT) | instid1(VALU_DEP_1)
	v_dual_cndmask_b32 v85, 0, v85 :: v_dual_cndmask_b32 v84, 3, v84
	v_cmp_ne_u64_e32 vcc_lo, 0, v[84:85]
	s_or_b32 s10, s10, vcc_lo
	s_delay_alu instid0(SALU_CYCLE_1) | instskip(NEXT) | instid1(SALU_CYCLE_1)
	s_and_saveexec_b32 s29, s10
	s_xor_b32 s10, exec_lo, s29
; %bb.7662:                             ;   in Loop: Header=BB2_7634 Depth=2
	v_min_i32_e32 v34, 31, v86
	s_delay_alu instid0(VALU_DEP_1) | instskip(NEXT) | instid1(VALU_DEP_1)
	v_lshl_or_b32 v34, v34, 2, v113
                                        ; implicit-def: $vgpr113
	v_and_or_b32 v99, v84, 3, v34
; %bb.7663:                             ;   in Loop: Header=BB2_7634 Depth=2
	s_and_not1_saveexec_b32 s10, s10
; %bb.7664:                             ;   in Loop: Header=BB2_7634 Depth=2
	v_mov_b32_e32 v99, v113
; %bb.7665:                             ;   in Loop: Header=BB2_7634 Depth=2
	s_or_b32 exec_lo, exec_lo, s10
.LBB2_7666:                             ;   in Loop: Header=BB2_7634 Depth=2
	s_delay_alu instid0(SALU_CYCLE_1)
	s_or_b32 exec_lo, exec_lo, s28
                                        ; implicit-def: $vgpr113
.LBB2_7667:                             ;   in Loop: Header=BB2_7634 Depth=2
	s_and_not1_saveexec_b32 s10, s27
; %bb.7668:                             ;   in Loop: Header=BB2_7634 Depth=2
	v_or_b32_e32 v99, 0x7b, v113
; %bb.7669:                             ;   in Loop: Header=BB2_7634 Depth=2
	s_or_b32 exec_lo, exec_lo, s10
                                        ; implicit-def: $vgpr84
.LBB2_7670:                             ;   in Loop: Header=BB2_7634 Depth=2
	s_and_not1_saveexec_b32 s10, s11
	s_cbranch_execz .LBB2_7676
; %bb.7671:                             ;   in Loop: Header=BB2_7634 Depth=2
	s_mov_b32 s11, exec_lo
                                        ; implicit-def: $vgpr99
	v_cmpx_ne_u64_e32 0, v[34:35]
	s_xor_b32 s11, exec_lo, s11
; %bb.7672:                             ;   in Loop: Header=BB2_7634 Depth=2
	v_lshrrev_b32_e32 v34, 24, v84
                                        ; implicit-def: $vgpr84
	s_delay_alu instid0(VALU_DEP_1)
	v_or_b32_e32 v99, 0x7f, v34
; %bb.7673:                             ;   in Loop: Header=BB2_7634 Depth=2
	s_and_not1_saveexec_b32 s11, s11
; %bb.7674:                             ;   in Loop: Header=BB2_7634 Depth=2
	v_cmp_lt_i32_e32 vcc_lo, -1, v84
	v_cndmask_b32_e64 v99, -4, 0x7c, vcc_lo
; %bb.7675:                             ;   in Loop: Header=BB2_7634 Depth=2
	s_or_b32 exec_lo, exec_lo, s11
.LBB2_7676:                             ;   in Loop: Header=BB2_7634 Depth=2
	s_delay_alu instid0(SALU_CYCLE_1)
	s_or_b32 exec_lo, exec_lo, s10
	flat_load_i8 v34, v[12:13] offset:32 th:TH_LOAD_NT
	v_mov_b32_e32 v85, 0
	s_mov_b32 s10, exec_lo
	s_wait_loadcnt_dscnt 0x0
	v_cmpx_ne_u16_e32 0, v34
	s_cbranch_execz .LBB2_7686
; %bb.7677:                             ;   in Loop: Header=BB2_7634 Depth=2
	v_bfrev_b32_e32 v85, 1
	s_mov_b32 s11, exec_lo
	v_cmpx_ne_u16_e32 0xff80, v34
	s_cbranch_execz .LBB2_7685
; %bb.7678:                             ;   in Loop: Header=BB2_7634 Depth=2
	v_and_b32_e32 v85, 0x7c, v34
	v_and_b32_e32 v84, 3, v34
	s_delay_alu instid0(VALU_DEP_2) | instskip(SKIP_1) | instid1(SALU_CYCLE_1)
	v_cmp_ne_u32_e32 vcc_lo, 0x7c, v85
                                        ; implicit-def: $vgpr85
	s_and_saveexec_b32 s27, vcc_lo
	s_xor_b32 s27, exec_lo, s27
	s_cbranch_execz .LBB2_7682
; %bb.7679:                             ;   in Loop: Header=BB2_7634 Depth=2
	v_and_b32_e32 v85, 0xff, v34
	s_mov_b32 s28, exec_lo
	s_delay_alu instid0(VALU_DEP_1) | instskip(NEXT) | instid1(VALU_DEP_1)
	v_bfe_u32 v85, v85, 2, 5
	v_cmpx_eq_u32_e32 0, v85
; %bb.7680:                             ;   in Loop: Header=BB2_7634 Depth=2
	v_clz_i32_u32_e32 v84, v84
	s_delay_alu instid0(VALU_DEP_1) | instskip(NEXT) | instid1(VALU_DEP_1)
	v_min_u32_e32 v86, 32, v84
	v_subrev_nc_u32_e32 v84, 29, v86
	s_delay_alu instid0(VALU_DEP_1) | instskip(NEXT) | instid1(VALU_DEP_1)
	v_lshlrev_b64_e32 v[84:85], v84, v[34:35]
	v_dual_sub_nc_u32 v85, 30, v86 :: v_dual_bitop2_b32 v84, 3, v84 bitop3:0x40
; %bb.7681:                             ;   in Loop: Header=BB2_7634 Depth=2
	s_or_b32 exec_lo, exec_lo, s28
	v_bfe_i32 v34, v34, 0, 16
	s_delay_alu instid0(VALU_DEP_1) | instskip(NEXT) | instid1(VALU_DEP_1)
	v_and_b32_e32 v34, 0x80000000, v34
	v_lshl_add_u32 v34, v85, 23, v34
	s_delay_alu instid0(VALU_DEP_1) | instskip(NEXT) | instid1(VALU_DEP_1)
	v_lshl_or_b32 v34, v84, 21, v34
                                        ; implicit-def: $vgpr84
	v_add_nc_u32_e32 v85, 0x38000000, v34
.LBB2_7682:                             ;   in Loop: Header=BB2_7634 Depth=2
	s_and_not1_saveexec_b32 s27, s27
; %bb.7683:                             ;   in Loop: Header=BB2_7634 Depth=2
	v_cmp_lt_i16_e32 vcc_lo, -1, v34
	v_cndmask_b32_e32 v34, 0xff800000, v103, vcc_lo
	v_cmp_eq_u32_e32 vcc_lo, 0, v84
	s_delay_alu instid0(VALU_DEP_2)
	v_cndmask_b32_e32 v85, 0x7f800001, v34, vcc_lo
; %bb.7684:                             ;   in Loop: Header=BB2_7634 Depth=2
	s_or_b32 exec_lo, exec_lo, s27
.LBB2_7685:                             ;   in Loop: Header=BB2_7634 Depth=2
	s_delay_alu instid0(SALU_CYCLE_1)
	s_or_b32 exec_lo, exec_lo, s11
.LBB2_7686:                             ;   in Loop: Header=BB2_7634 Depth=2
	s_delay_alu instid0(SALU_CYCLE_1) | instskip(NEXT) | instid1(VALU_DEP_1)
	s_or_b32 exec_lo, exec_lo, s10
	v_dual_mul_f32 v84, s26, v85 :: v_dual_mov_b32 v87, v35
                                        ; implicit-def: $vgpr113
	s_mov_b32 s10, exec_lo
	s_delay_alu instid0(VALU_DEP_1) | instskip(SKIP_1) | instid1(VALU_DEP_2)
	v_and_b32_e32 v86, 0x7f800000, v84
	v_and_b32_e32 v34, 0x7fffff, v84
	v_cmpx_ne_u64_e32 0x7f800000, v[86:87]
	s_xor_b32 s11, exec_lo, s10
	s_cbranch_execz .LBB2_7704
; %bb.7687:                             ;   in Loop: Header=BB2_7634 Depth=2
	v_dual_mov_b32 v87, v35 :: v_dual_lshrrev_b32 v85, 24, v84
	v_and_b32_e32 v86, 0x7fffffff, v84
                                        ; implicit-def: $vgpr113
	s_mov_b32 s10, exec_lo
	s_delay_alu instid0(VALU_DEP_2) | instskip(NEXT) | instid1(VALU_DEP_2)
	v_and_b32_e32 v114, 0x80, v85
	v_cmpx_gt_u64_e32 0x47600001, v[86:87]
	s_xor_b32 s27, exec_lo, s10
	s_cbranch_execz .LBB2_7701
; %bb.7688:                             ;   in Loop: Header=BB2_7634 Depth=2
	v_mov_b32_e32 v113, 0
	s_mov_b32 s28, exec_lo
	v_cmpx_ne_u32_e32 0, v84
	s_cbranch_execz .LBB2_7700
; %bb.7689:                             ;   in Loop: Header=BB2_7634 Depth=2
	v_bfe_u32 v113, v84, 23, 8
	v_or_b32_e32 v86, 0x800000, v34
	s_delay_alu instid0(VALU_DEP_2) | instskip(SKIP_1) | instid1(VALU_DEP_2)
	v_sub_nc_u32_e32 v84, 0x71, v113
	v_cmp_gt_u32_e32 vcc_lo, 0x72, v113
	v_cndmask_b32_e32 v84, 0, v84, vcc_lo
	v_cmp_eq_u32_e32 vcc_lo, 0, v113
	s_delay_alu instid0(VALU_DEP_2) | instskip(NEXT) | instid1(VALU_DEP_1)
	v_cndmask_b32_e64 v115, v84, 0x70, vcc_lo
	v_dual_cndmask_b32 v34, v86, v34, vcc_lo :: v_dual_add_nc_u32 v84, 21, v115
	v_add_nc_u32_e32 v87, 20, v115
	s_delay_alu instid0(VALU_DEP_2) | instskip(NEXT) | instid1(VALU_DEP_2)
	v_lshlrev_b64_e64 v[84:85], v84, -1
	v_lshlrev_b64_e64 v[86:87], v87, 1
	s_delay_alu instid0(VALU_DEP_2) | instskip(NEXT) | instid1(VALU_DEP_3)
	v_bfi_b32 v117, v85, 0, 0
	v_bfi_b32 v116, v84, 0, v34
	v_lshrrev_b64 v[84:85], v115, v[34:35]
	s_delay_alu instid0(VALU_DEP_2) | instskip(NEXT) | instid1(VALU_DEP_2)
	v_cmp_eq_u64_e64 s10, v[116:117], v[86:87]
	v_mov_b64_e32 v[86:87], v[84:85]
	s_and_saveexec_b32 s29, s10
; %bb.7690:                             ;   in Loop: Header=BB2_7634 Depth=2
	v_bfe_u32 v34, v84, 21, 1
	s_delay_alu instid0(VALU_DEP_1) | instskip(NEXT) | instid1(VALU_DEP_1)
	v_add_nc_u64_e32 v[86:87], v[84:85], v[34:35]
	v_add_nc_u64_e32 v[86:87], -1, v[86:87]
; %bb.7691:                             ;   in Loop: Header=BB2_7634 Depth=2
	s_or_b32 exec_lo, exec_lo, s29
	v_add_nc_u32_e32 v34, 0xffffff81, v113
	v_lshrrev_b32_e32 v85, 23, v84
	s_mov_b32 s10, exec_lo
	s_delay_alu instid0(VALU_DEP_2) | instskip(NEXT) | instid1(VALU_DEP_1)
	v_cndmask_b32_e64 v34, v34, 0xffffff82, vcc_lo
	v_add3_u32 v87, v115, v34, v85
	v_and_b32_e32 v34, 0x1fffff, v86
                                        ; implicit-def: $vgpr86
	s_delay_alu instid0(VALU_DEP_1) | instskip(NEXT) | instid1(VALU_DEP_1)
	v_dual_add_nc_u32 v113, 14, v87 :: v_dual_add_nc_u32 v34, v34, v84
                                        ; implicit-def: $vgpr84_vgpr85
	v_cmpx_ne_u32_e32 0, v113
	s_xor_b32 s10, exec_lo, s10
; %bb.7692:                             ;   in Loop: Header=BB2_7634 Depth=2
	s_delay_alu instid0(VALU_DEP_2) | instskip(SKIP_1) | instid1(VALU_DEP_1)
	v_cmp_lt_u64_e32 vcc_lo, 0xffffff, v[34:35]
	v_add_nc_u32_e32 v84, 15, v87
	v_cndmask_b32_e32 v86, v113, v84, vcc_lo
	v_cndmask_b32_e64 v84, 0, 1, vcc_lo
	s_delay_alu instid0(VALU_DEP_1)
	v_lshrrev_b64 v[84:85], v84, v[34:35]
; %bb.7693:                             ;   in Loop: Header=BB2_7634 Depth=2
	s_and_not1_saveexec_b32 s10, s10
; %bb.7694:                             ;   in Loop: Header=BB2_7634 Depth=2
	v_mov_b64_e32 v[84:85], v[34:35]
	v_bfe_u32 v86, v34, 23, 1
; %bb.7695:                             ;   in Loop: Header=BB2_7634 Depth=2
	s_or_b32 exec_lo, exec_lo, s10
	s_delay_alu instid0(VALU_DEP_2) | instskip(NEXT) | instid1(VALU_DEP_2)
	v_lshrrev_b64 v[84:85], 21, v[84:85]
	v_cmp_gt_i32_e32 vcc_lo, 32, v86
	v_cmp_ne_u32_e64 s10, 0, v86
                                        ; implicit-def: $vgpr113
	s_delay_alu instid0(VALU_DEP_3) | instskip(NEXT) | instid1(VALU_DEP_1)
	v_dual_cndmask_b32 v85, 0, v85 :: v_dual_cndmask_b32 v84, 3, v84
	v_cmp_ne_u64_e32 vcc_lo, 0, v[84:85]
	s_or_b32 s10, s10, vcc_lo
	s_delay_alu instid0(SALU_CYCLE_1) | instskip(NEXT) | instid1(SALU_CYCLE_1)
	s_and_saveexec_b32 s29, s10
	s_xor_b32 s10, exec_lo, s29
; %bb.7696:                             ;   in Loop: Header=BB2_7634 Depth=2
	v_min_i32_e32 v34, 31, v86
	s_delay_alu instid0(VALU_DEP_1) | instskip(NEXT) | instid1(VALU_DEP_1)
	v_lshl_or_b32 v34, v34, 2, v114
                                        ; implicit-def: $vgpr114
	v_and_or_b32 v113, v84, 3, v34
; %bb.7697:                             ;   in Loop: Header=BB2_7634 Depth=2
	s_and_not1_saveexec_b32 s10, s10
; %bb.7698:                             ;   in Loop: Header=BB2_7634 Depth=2
	v_mov_b32_e32 v113, v114
; %bb.7699:                             ;   in Loop: Header=BB2_7634 Depth=2
	s_or_b32 exec_lo, exec_lo, s10
.LBB2_7700:                             ;   in Loop: Header=BB2_7634 Depth=2
	s_delay_alu instid0(SALU_CYCLE_1)
	s_or_b32 exec_lo, exec_lo, s28
                                        ; implicit-def: $vgpr114
.LBB2_7701:                             ;   in Loop: Header=BB2_7634 Depth=2
	s_and_not1_saveexec_b32 s10, s27
; %bb.7702:                             ;   in Loop: Header=BB2_7634 Depth=2
	v_or_b32_e32 v113, 0x7b, v114
; %bb.7703:                             ;   in Loop: Header=BB2_7634 Depth=2
	s_or_b32 exec_lo, exec_lo, s10
                                        ; implicit-def: $vgpr84
.LBB2_7704:                             ;   in Loop: Header=BB2_7634 Depth=2
	s_and_not1_saveexec_b32 s10, s11
	s_cbranch_execz .LBB2_7710
; %bb.7705:                             ;   in Loop: Header=BB2_7634 Depth=2
	s_mov_b32 s11, exec_lo
                                        ; implicit-def: $vgpr113
	v_cmpx_ne_u64_e32 0, v[34:35]
	s_xor_b32 s11, exec_lo, s11
; %bb.7706:                             ;   in Loop: Header=BB2_7634 Depth=2
	v_lshrrev_b32_e32 v34, 24, v84
                                        ; implicit-def: $vgpr84
	s_delay_alu instid0(VALU_DEP_1)
	v_or_b32_e32 v113, 0x7f, v34
; %bb.7707:                             ;   in Loop: Header=BB2_7634 Depth=2
	s_and_not1_saveexec_b32 s11, s11
; %bb.7708:                             ;   in Loop: Header=BB2_7634 Depth=2
	v_cmp_lt_i32_e32 vcc_lo, -1, v84
	v_cndmask_b32_e64 v113, -4, 0x7c, vcc_lo
; %bb.7709:                             ;   in Loop: Header=BB2_7634 Depth=2
	s_or_b32 exec_lo, exec_lo, s11
.LBB2_7710:                             ;   in Loop: Header=BB2_7634 Depth=2
	s_delay_alu instid0(SALU_CYCLE_1)
	s_or_b32 exec_lo, exec_lo, s10
	flat_load_i8 v34, v[12:13] offset:64 th:TH_LOAD_NT
	v_mov_b32_e32 v85, 0
	s_mov_b32 s10, exec_lo
	s_wait_loadcnt_dscnt 0x0
	v_cmpx_ne_u16_e32 0, v34
	s_cbranch_execz .LBB2_7720
; %bb.7711:                             ;   in Loop: Header=BB2_7634 Depth=2
	v_bfrev_b32_e32 v85, 1
	s_mov_b32 s11, exec_lo
	v_cmpx_ne_u16_e32 0xff80, v34
	s_cbranch_execz .LBB2_7719
; %bb.7712:                             ;   in Loop: Header=BB2_7634 Depth=2
	v_and_b32_e32 v85, 0x7c, v34
	v_and_b32_e32 v84, 3, v34
	s_delay_alu instid0(VALU_DEP_2) | instskip(SKIP_1) | instid1(SALU_CYCLE_1)
	v_cmp_ne_u32_e32 vcc_lo, 0x7c, v85
                                        ; implicit-def: $vgpr85
	s_and_saveexec_b32 s27, vcc_lo
	s_xor_b32 s27, exec_lo, s27
	s_cbranch_execz .LBB2_7716
; %bb.7713:                             ;   in Loop: Header=BB2_7634 Depth=2
	v_and_b32_e32 v85, 0xff, v34
	s_mov_b32 s28, exec_lo
	s_delay_alu instid0(VALU_DEP_1) | instskip(NEXT) | instid1(VALU_DEP_1)
	v_bfe_u32 v85, v85, 2, 5
	v_cmpx_eq_u32_e32 0, v85
; %bb.7714:                             ;   in Loop: Header=BB2_7634 Depth=2
	v_clz_i32_u32_e32 v84, v84
	s_delay_alu instid0(VALU_DEP_1) | instskip(NEXT) | instid1(VALU_DEP_1)
	v_min_u32_e32 v86, 32, v84
	v_subrev_nc_u32_e32 v84, 29, v86
	s_delay_alu instid0(VALU_DEP_1) | instskip(NEXT) | instid1(VALU_DEP_1)
	v_lshlrev_b64_e32 v[84:85], v84, v[34:35]
	v_dual_sub_nc_u32 v85, 30, v86 :: v_dual_bitop2_b32 v84, 3, v84 bitop3:0x40
; %bb.7715:                             ;   in Loop: Header=BB2_7634 Depth=2
	s_or_b32 exec_lo, exec_lo, s28
	v_bfe_i32 v34, v34, 0, 16
	s_delay_alu instid0(VALU_DEP_1) | instskip(NEXT) | instid1(VALU_DEP_1)
	v_and_b32_e32 v34, 0x80000000, v34
	v_lshl_add_u32 v34, v85, 23, v34
	s_delay_alu instid0(VALU_DEP_1) | instskip(NEXT) | instid1(VALU_DEP_1)
	v_lshl_or_b32 v34, v84, 21, v34
                                        ; implicit-def: $vgpr84
	v_add_nc_u32_e32 v85, 0x38000000, v34
.LBB2_7716:                             ;   in Loop: Header=BB2_7634 Depth=2
	s_and_not1_saveexec_b32 s27, s27
; %bb.7717:                             ;   in Loop: Header=BB2_7634 Depth=2
	v_cmp_lt_i16_e32 vcc_lo, -1, v34
	v_cndmask_b32_e32 v34, 0xff800000, v103, vcc_lo
	v_cmp_eq_u32_e32 vcc_lo, 0, v84
	s_delay_alu instid0(VALU_DEP_2)
	v_cndmask_b32_e32 v85, 0x7f800001, v34, vcc_lo
; %bb.7718:                             ;   in Loop: Header=BB2_7634 Depth=2
	s_or_b32 exec_lo, exec_lo, s27
.LBB2_7719:                             ;   in Loop: Header=BB2_7634 Depth=2
	s_delay_alu instid0(SALU_CYCLE_1)
	s_or_b32 exec_lo, exec_lo, s11
.LBB2_7720:                             ;   in Loop: Header=BB2_7634 Depth=2
	s_delay_alu instid0(SALU_CYCLE_1) | instskip(NEXT) | instid1(VALU_DEP_1)
	s_or_b32 exec_lo, exec_lo, s10
	v_dual_mul_f32 v84, s26, v85 :: v_dual_mov_b32 v87, v35
                                        ; implicit-def: $vgpr114
	s_mov_b32 s10, exec_lo
	s_delay_alu instid0(VALU_DEP_1) | instskip(SKIP_1) | instid1(VALU_DEP_2)
	v_and_b32_e32 v86, 0x7f800000, v84
	v_and_b32_e32 v34, 0x7fffff, v84
	v_cmpx_ne_u64_e32 0x7f800000, v[86:87]
	s_xor_b32 s11, exec_lo, s10
	s_cbranch_execz .LBB2_7738
; %bb.7721:                             ;   in Loop: Header=BB2_7634 Depth=2
	v_dual_mov_b32 v87, v35 :: v_dual_lshrrev_b32 v85, 24, v84
	v_and_b32_e32 v86, 0x7fffffff, v84
                                        ; implicit-def: $vgpr114
	s_mov_b32 s10, exec_lo
	s_delay_alu instid0(VALU_DEP_2) | instskip(NEXT) | instid1(VALU_DEP_2)
	v_and_b32_e32 v115, 0x80, v85
	v_cmpx_gt_u64_e32 0x47600001, v[86:87]
	s_xor_b32 s27, exec_lo, s10
	s_cbranch_execz .LBB2_7735
; %bb.7722:                             ;   in Loop: Header=BB2_7634 Depth=2
	v_mov_b32_e32 v114, 0
	s_mov_b32 s28, exec_lo
	v_cmpx_ne_u32_e32 0, v84
	s_cbranch_execz .LBB2_7734
; %bb.7723:                             ;   in Loop: Header=BB2_7634 Depth=2
	v_bfe_u32 v114, v84, 23, 8
	v_or_b32_e32 v86, 0x800000, v34
	s_delay_alu instid0(VALU_DEP_2) | instskip(SKIP_1) | instid1(VALU_DEP_2)
	v_sub_nc_u32_e32 v84, 0x71, v114
	v_cmp_gt_u32_e32 vcc_lo, 0x72, v114
	v_cndmask_b32_e32 v84, 0, v84, vcc_lo
	v_cmp_eq_u32_e32 vcc_lo, 0, v114
	v_cndmask_b32_e32 v34, v86, v34, vcc_lo
	s_delay_alu instid0(VALU_DEP_3) | instskip(NEXT) | instid1(VALU_DEP_1)
	v_cndmask_b32_e64 v116, v84, 0x70, vcc_lo
	v_dual_add_nc_u32 v84, 21, v116 :: v_dual_add_nc_u32 v87, 20, v116
	s_delay_alu instid0(VALU_DEP_1) | instskip(NEXT) | instid1(VALU_DEP_2)
	v_lshlrev_b64_e64 v[84:85], v84, -1
	v_lshlrev_b64_e64 v[86:87], v87, 1
	s_delay_alu instid0(VALU_DEP_2) | instskip(NEXT) | instid1(VALU_DEP_3)
	v_bfi_b32 v119, v85, 0, 0
	v_bfi_b32 v118, v84, 0, v34
	v_lshrrev_b64 v[84:85], v116, v[34:35]
	s_delay_alu instid0(VALU_DEP_2) | instskip(NEXT) | instid1(VALU_DEP_2)
	v_cmp_eq_u64_e64 s10, v[118:119], v[86:87]
	v_mov_b64_e32 v[86:87], v[84:85]
	s_and_saveexec_b32 s29, s10
; %bb.7724:                             ;   in Loop: Header=BB2_7634 Depth=2
	v_bfe_u32 v34, v84, 21, 1
	s_delay_alu instid0(VALU_DEP_1) | instskip(NEXT) | instid1(VALU_DEP_1)
	v_add_nc_u64_e32 v[86:87], v[84:85], v[34:35]
	v_add_nc_u64_e32 v[86:87], -1, v[86:87]
; %bb.7725:                             ;   in Loop: Header=BB2_7634 Depth=2
	s_or_b32 exec_lo, exec_lo, s29
	v_add_nc_u32_e32 v34, 0xffffff81, v114
	v_lshrrev_b32_e32 v85, 23, v84
	s_mov_b32 s10, exec_lo
	s_delay_alu instid0(VALU_DEP_2) | instskip(NEXT) | instid1(VALU_DEP_1)
	v_cndmask_b32_e64 v34, v34, 0xffffff82, vcc_lo
	v_add3_u32 v87, v116, v34, v85
	v_and_b32_e32 v34, 0x1fffff, v86
                                        ; implicit-def: $vgpr86
	s_delay_alu instid0(VALU_DEP_1) | instskip(NEXT) | instid1(VALU_DEP_1)
	v_dual_add_nc_u32 v114, 14, v87 :: v_dual_add_nc_u32 v34, v34, v84
                                        ; implicit-def: $vgpr84_vgpr85
	v_cmpx_ne_u32_e32 0, v114
	s_xor_b32 s10, exec_lo, s10
; %bb.7726:                             ;   in Loop: Header=BB2_7634 Depth=2
	s_delay_alu instid0(VALU_DEP_2) | instskip(SKIP_1) | instid1(VALU_DEP_1)
	v_cmp_lt_u64_e32 vcc_lo, 0xffffff, v[34:35]
	v_add_nc_u32_e32 v84, 15, v87
	v_cndmask_b32_e32 v86, v114, v84, vcc_lo
	v_cndmask_b32_e64 v84, 0, 1, vcc_lo
	s_delay_alu instid0(VALU_DEP_1)
	v_lshrrev_b64 v[84:85], v84, v[34:35]
; %bb.7727:                             ;   in Loop: Header=BB2_7634 Depth=2
	s_and_not1_saveexec_b32 s10, s10
; %bb.7728:                             ;   in Loop: Header=BB2_7634 Depth=2
	v_mov_b64_e32 v[84:85], v[34:35]
	v_bfe_u32 v86, v34, 23, 1
; %bb.7729:                             ;   in Loop: Header=BB2_7634 Depth=2
	s_or_b32 exec_lo, exec_lo, s10
	s_delay_alu instid0(VALU_DEP_2) | instskip(NEXT) | instid1(VALU_DEP_2)
	v_lshrrev_b64 v[84:85], 21, v[84:85]
	v_cmp_gt_i32_e32 vcc_lo, 32, v86
	v_cmp_ne_u32_e64 s10, 0, v86
                                        ; implicit-def: $vgpr114
	s_delay_alu instid0(VALU_DEP_3) | instskip(NEXT) | instid1(VALU_DEP_1)
	v_dual_cndmask_b32 v85, 0, v85 :: v_dual_cndmask_b32 v84, 3, v84
	v_cmp_ne_u64_e32 vcc_lo, 0, v[84:85]
	s_or_b32 s10, s10, vcc_lo
	s_delay_alu instid0(SALU_CYCLE_1) | instskip(NEXT) | instid1(SALU_CYCLE_1)
	s_and_saveexec_b32 s29, s10
	s_xor_b32 s10, exec_lo, s29
; %bb.7730:                             ;   in Loop: Header=BB2_7634 Depth=2
	v_min_i32_e32 v34, 31, v86
	s_delay_alu instid0(VALU_DEP_1) | instskip(NEXT) | instid1(VALU_DEP_1)
	v_lshl_or_b32 v34, v34, 2, v115
                                        ; implicit-def: $vgpr115
	v_and_or_b32 v114, v84, 3, v34
; %bb.7731:                             ;   in Loop: Header=BB2_7634 Depth=2
	s_and_not1_saveexec_b32 s10, s10
; %bb.7732:                             ;   in Loop: Header=BB2_7634 Depth=2
	v_mov_b32_e32 v114, v115
; %bb.7733:                             ;   in Loop: Header=BB2_7634 Depth=2
	s_or_b32 exec_lo, exec_lo, s10
.LBB2_7734:                             ;   in Loop: Header=BB2_7634 Depth=2
	s_delay_alu instid0(SALU_CYCLE_1)
	s_or_b32 exec_lo, exec_lo, s28
                                        ; implicit-def: $vgpr115
.LBB2_7735:                             ;   in Loop: Header=BB2_7634 Depth=2
	s_and_not1_saveexec_b32 s10, s27
; %bb.7736:                             ;   in Loop: Header=BB2_7634 Depth=2
	v_or_b32_e32 v114, 0x7b, v115
; %bb.7737:                             ;   in Loop: Header=BB2_7634 Depth=2
	s_or_b32 exec_lo, exec_lo, s10
                                        ; implicit-def: $vgpr84
.LBB2_7738:                             ;   in Loop: Header=BB2_7634 Depth=2
	s_and_not1_saveexec_b32 s10, s11
	s_cbranch_execz .LBB2_7744
; %bb.7739:                             ;   in Loop: Header=BB2_7634 Depth=2
	s_mov_b32 s11, exec_lo
                                        ; implicit-def: $vgpr114
	v_cmpx_ne_u64_e32 0, v[34:35]
	s_xor_b32 s11, exec_lo, s11
; %bb.7740:                             ;   in Loop: Header=BB2_7634 Depth=2
	v_lshrrev_b32_e32 v34, 24, v84
                                        ; implicit-def: $vgpr84
	s_delay_alu instid0(VALU_DEP_1)
	v_or_b32_e32 v114, 0x7f, v34
; %bb.7741:                             ;   in Loop: Header=BB2_7634 Depth=2
	s_and_not1_saveexec_b32 s11, s11
; %bb.7742:                             ;   in Loop: Header=BB2_7634 Depth=2
	v_cmp_lt_i32_e32 vcc_lo, -1, v84
	v_cndmask_b32_e64 v114, -4, 0x7c, vcc_lo
; %bb.7743:                             ;   in Loop: Header=BB2_7634 Depth=2
	s_or_b32 exec_lo, exec_lo, s11
.LBB2_7744:                             ;   in Loop: Header=BB2_7634 Depth=2
	s_delay_alu instid0(SALU_CYCLE_1)
	s_or_b32 exec_lo, exec_lo, s10
	flat_load_i8 v34, v[12:13] offset:96 th:TH_LOAD_NT
	v_mov_b32_e32 v85, 0
	s_mov_b32 s10, exec_lo
	s_wait_loadcnt_dscnt 0x0
	v_cmpx_ne_u16_e32 0, v34
	s_cbranch_execz .LBB2_7754
; %bb.7745:                             ;   in Loop: Header=BB2_7634 Depth=2
	v_bfrev_b32_e32 v85, 1
	s_mov_b32 s11, exec_lo
	v_cmpx_ne_u16_e32 0xff80, v34
	s_cbranch_execz .LBB2_7753
; %bb.7746:                             ;   in Loop: Header=BB2_7634 Depth=2
	v_and_b32_e32 v85, 0x7c, v34
	v_and_b32_e32 v84, 3, v34
	s_delay_alu instid0(VALU_DEP_2) | instskip(SKIP_1) | instid1(SALU_CYCLE_1)
	v_cmp_ne_u32_e32 vcc_lo, 0x7c, v85
                                        ; implicit-def: $vgpr85
	s_and_saveexec_b32 s27, vcc_lo
	s_xor_b32 s27, exec_lo, s27
	s_cbranch_execz .LBB2_7750
; %bb.7747:                             ;   in Loop: Header=BB2_7634 Depth=2
	v_and_b32_e32 v85, 0xff, v34
	s_mov_b32 s28, exec_lo
	s_delay_alu instid0(VALU_DEP_1) | instskip(NEXT) | instid1(VALU_DEP_1)
	v_bfe_u32 v85, v85, 2, 5
	v_cmpx_eq_u32_e32 0, v85
; %bb.7748:                             ;   in Loop: Header=BB2_7634 Depth=2
	v_clz_i32_u32_e32 v84, v84
	s_delay_alu instid0(VALU_DEP_1) | instskip(NEXT) | instid1(VALU_DEP_1)
	v_min_u32_e32 v86, 32, v84
	v_subrev_nc_u32_e32 v84, 29, v86
	s_delay_alu instid0(VALU_DEP_1) | instskip(NEXT) | instid1(VALU_DEP_1)
	v_lshlrev_b64_e32 v[84:85], v84, v[34:35]
	v_dual_sub_nc_u32 v85, 30, v86 :: v_dual_bitop2_b32 v84, 3, v84 bitop3:0x40
; %bb.7749:                             ;   in Loop: Header=BB2_7634 Depth=2
	s_or_b32 exec_lo, exec_lo, s28
	v_bfe_i32 v34, v34, 0, 16
	s_delay_alu instid0(VALU_DEP_1) | instskip(NEXT) | instid1(VALU_DEP_1)
	v_and_b32_e32 v34, 0x80000000, v34
	v_lshl_add_u32 v34, v85, 23, v34
	s_delay_alu instid0(VALU_DEP_1) | instskip(NEXT) | instid1(VALU_DEP_1)
	v_lshl_or_b32 v34, v84, 21, v34
                                        ; implicit-def: $vgpr84
	v_add_nc_u32_e32 v85, 0x38000000, v34
.LBB2_7750:                             ;   in Loop: Header=BB2_7634 Depth=2
	s_and_not1_saveexec_b32 s27, s27
; %bb.7751:                             ;   in Loop: Header=BB2_7634 Depth=2
	v_cmp_lt_i16_e32 vcc_lo, -1, v34
	v_cndmask_b32_e32 v34, 0xff800000, v103, vcc_lo
	v_cmp_eq_u32_e32 vcc_lo, 0, v84
	s_delay_alu instid0(VALU_DEP_2)
	v_cndmask_b32_e32 v85, 0x7f800001, v34, vcc_lo
; %bb.7752:                             ;   in Loop: Header=BB2_7634 Depth=2
	s_or_b32 exec_lo, exec_lo, s27
.LBB2_7753:                             ;   in Loop: Header=BB2_7634 Depth=2
	s_delay_alu instid0(SALU_CYCLE_1)
	s_or_b32 exec_lo, exec_lo, s11
.LBB2_7754:                             ;   in Loop: Header=BB2_7634 Depth=2
	s_delay_alu instid0(SALU_CYCLE_1) | instskip(NEXT) | instid1(VALU_DEP_1)
	s_or_b32 exec_lo, exec_lo, s10
	v_dual_mul_f32 v84, s26, v85 :: v_dual_mov_b32 v87, v35
                                        ; implicit-def: $vgpr115
	s_mov_b32 s10, exec_lo
	s_delay_alu instid0(VALU_DEP_1) | instskip(SKIP_1) | instid1(VALU_DEP_2)
	v_and_b32_e32 v86, 0x7f800000, v84
	v_and_b32_e32 v34, 0x7fffff, v84
	v_cmpx_ne_u64_e32 0x7f800000, v[86:87]
	s_xor_b32 s11, exec_lo, s10
	s_cbranch_execz .LBB2_7772
; %bb.7755:                             ;   in Loop: Header=BB2_7634 Depth=2
	v_dual_mov_b32 v87, v35 :: v_dual_lshrrev_b32 v85, 24, v84
	v_and_b32_e32 v86, 0x7fffffff, v84
                                        ; implicit-def: $vgpr115
	s_mov_b32 s10, exec_lo
	s_delay_alu instid0(VALU_DEP_2) | instskip(NEXT) | instid1(VALU_DEP_2)
	v_and_b32_e32 v116, 0x80, v85
	v_cmpx_gt_u64_e32 0x47600001, v[86:87]
	s_xor_b32 s27, exec_lo, s10
	s_cbranch_execz .LBB2_7769
; %bb.7756:                             ;   in Loop: Header=BB2_7634 Depth=2
	v_mov_b32_e32 v115, 0
	s_mov_b32 s28, exec_lo
	v_cmpx_ne_u32_e32 0, v84
	s_cbranch_execz .LBB2_7768
; %bb.7757:                             ;   in Loop: Header=BB2_7634 Depth=2
	v_bfe_u32 v115, v84, 23, 8
	v_or_b32_e32 v86, 0x800000, v34
	s_delay_alu instid0(VALU_DEP_2) | instskip(SKIP_1) | instid1(VALU_DEP_2)
	v_sub_nc_u32_e32 v84, 0x71, v115
	v_cmp_gt_u32_e32 vcc_lo, 0x72, v115
	v_cndmask_b32_e32 v84, 0, v84, vcc_lo
	v_cmp_eq_u32_e32 vcc_lo, 0, v115
	s_delay_alu instid0(VALU_DEP_2) | instskip(NEXT) | instid1(VALU_DEP_1)
	v_cndmask_b32_e64 v117, v84, 0x70, vcc_lo
	v_dual_cndmask_b32 v34, v86, v34, vcc_lo :: v_dual_add_nc_u32 v84, 21, v117
	v_add_nc_u32_e32 v87, 20, v117
	s_delay_alu instid0(VALU_DEP_2) | instskip(NEXT) | instid1(VALU_DEP_2)
	v_lshlrev_b64_e64 v[84:85], v84, -1
	v_lshlrev_b64_e64 v[86:87], v87, 1
	s_delay_alu instid0(VALU_DEP_2) | instskip(NEXT) | instid1(VALU_DEP_3)
	v_bfi_b32 v119, v85, 0, 0
	v_bfi_b32 v118, v84, 0, v34
	v_lshrrev_b64 v[84:85], v117, v[34:35]
	s_delay_alu instid0(VALU_DEP_2) | instskip(NEXT) | instid1(VALU_DEP_2)
	v_cmp_eq_u64_e64 s10, v[118:119], v[86:87]
	v_mov_b64_e32 v[86:87], v[84:85]
	s_and_saveexec_b32 s29, s10
; %bb.7758:                             ;   in Loop: Header=BB2_7634 Depth=2
	v_bfe_u32 v34, v84, 21, 1
	s_delay_alu instid0(VALU_DEP_1) | instskip(NEXT) | instid1(VALU_DEP_1)
	v_add_nc_u64_e32 v[86:87], v[84:85], v[34:35]
	v_add_nc_u64_e32 v[86:87], -1, v[86:87]
; %bb.7759:                             ;   in Loop: Header=BB2_7634 Depth=2
	s_or_b32 exec_lo, exec_lo, s29
	v_add_nc_u32_e32 v34, 0xffffff81, v115
	v_lshrrev_b32_e32 v85, 23, v84
	s_mov_b32 s10, exec_lo
	s_delay_alu instid0(VALU_DEP_2) | instskip(NEXT) | instid1(VALU_DEP_1)
	v_cndmask_b32_e64 v34, v34, 0xffffff82, vcc_lo
	v_add3_u32 v87, v117, v34, v85
	v_and_b32_e32 v34, 0x1fffff, v86
                                        ; implicit-def: $vgpr86
	s_delay_alu instid0(VALU_DEP_1) | instskip(NEXT) | instid1(VALU_DEP_1)
	v_dual_add_nc_u32 v115, 14, v87 :: v_dual_add_nc_u32 v34, v34, v84
                                        ; implicit-def: $vgpr84_vgpr85
	v_cmpx_ne_u32_e32 0, v115
	s_xor_b32 s10, exec_lo, s10
; %bb.7760:                             ;   in Loop: Header=BB2_7634 Depth=2
	s_delay_alu instid0(VALU_DEP_2) | instskip(SKIP_1) | instid1(VALU_DEP_1)
	v_cmp_lt_u64_e32 vcc_lo, 0xffffff, v[34:35]
	v_add_nc_u32_e32 v84, 15, v87
	v_cndmask_b32_e32 v86, v115, v84, vcc_lo
	v_cndmask_b32_e64 v84, 0, 1, vcc_lo
	s_delay_alu instid0(VALU_DEP_1)
	v_lshrrev_b64 v[84:85], v84, v[34:35]
; %bb.7761:                             ;   in Loop: Header=BB2_7634 Depth=2
	s_and_not1_saveexec_b32 s10, s10
; %bb.7762:                             ;   in Loop: Header=BB2_7634 Depth=2
	v_mov_b64_e32 v[84:85], v[34:35]
	v_bfe_u32 v86, v34, 23, 1
; %bb.7763:                             ;   in Loop: Header=BB2_7634 Depth=2
	s_or_b32 exec_lo, exec_lo, s10
	s_delay_alu instid0(VALU_DEP_2) | instskip(NEXT) | instid1(VALU_DEP_2)
	v_lshrrev_b64 v[84:85], 21, v[84:85]
	v_cmp_gt_i32_e32 vcc_lo, 32, v86
	v_cmp_ne_u32_e64 s10, 0, v86
                                        ; implicit-def: $vgpr115
	s_delay_alu instid0(VALU_DEP_3) | instskip(NEXT) | instid1(VALU_DEP_1)
	v_dual_cndmask_b32 v85, 0, v85 :: v_dual_cndmask_b32 v84, 3, v84
	v_cmp_ne_u64_e32 vcc_lo, 0, v[84:85]
	s_or_b32 s10, s10, vcc_lo
	s_delay_alu instid0(SALU_CYCLE_1) | instskip(NEXT) | instid1(SALU_CYCLE_1)
	s_and_saveexec_b32 s29, s10
	s_xor_b32 s10, exec_lo, s29
; %bb.7764:                             ;   in Loop: Header=BB2_7634 Depth=2
	v_min_i32_e32 v34, 31, v86
	s_delay_alu instid0(VALU_DEP_1) | instskip(NEXT) | instid1(VALU_DEP_1)
	v_lshl_or_b32 v34, v34, 2, v116
                                        ; implicit-def: $vgpr116
	v_and_or_b32 v115, v84, 3, v34
; %bb.7765:                             ;   in Loop: Header=BB2_7634 Depth=2
	s_and_not1_saveexec_b32 s10, s10
; %bb.7766:                             ;   in Loop: Header=BB2_7634 Depth=2
	v_mov_b32_e32 v115, v116
; %bb.7767:                             ;   in Loop: Header=BB2_7634 Depth=2
	s_or_b32 exec_lo, exec_lo, s10
.LBB2_7768:                             ;   in Loop: Header=BB2_7634 Depth=2
	s_delay_alu instid0(SALU_CYCLE_1)
	s_or_b32 exec_lo, exec_lo, s28
                                        ; implicit-def: $vgpr116
.LBB2_7769:                             ;   in Loop: Header=BB2_7634 Depth=2
	s_and_not1_saveexec_b32 s10, s27
; %bb.7770:                             ;   in Loop: Header=BB2_7634 Depth=2
	v_or_b32_e32 v115, 0x7b, v116
; %bb.7771:                             ;   in Loop: Header=BB2_7634 Depth=2
	s_or_b32 exec_lo, exec_lo, s10
                                        ; implicit-def: $vgpr84
.LBB2_7772:                             ;   in Loop: Header=BB2_7634 Depth=2
	s_and_not1_saveexec_b32 s10, s11
	s_cbranch_execz .LBB2_7778
; %bb.7773:                             ;   in Loop: Header=BB2_7634 Depth=2
	s_mov_b32 s11, exec_lo
                                        ; implicit-def: $vgpr115
	v_cmpx_ne_u64_e32 0, v[34:35]
	s_xor_b32 s11, exec_lo, s11
; %bb.7774:                             ;   in Loop: Header=BB2_7634 Depth=2
	v_lshrrev_b32_e32 v34, 24, v84
                                        ; implicit-def: $vgpr84
	s_delay_alu instid0(VALU_DEP_1)
	v_or_b32_e32 v115, 0x7f, v34
; %bb.7775:                             ;   in Loop: Header=BB2_7634 Depth=2
	s_and_not1_saveexec_b32 s11, s11
; %bb.7776:                             ;   in Loop: Header=BB2_7634 Depth=2
	v_cmp_lt_i32_e32 vcc_lo, -1, v84
	v_cndmask_b32_e64 v115, -4, 0x7c, vcc_lo
; %bb.7777:                             ;   in Loop: Header=BB2_7634 Depth=2
	s_or_b32 exec_lo, exec_lo, s11
.LBB2_7778:                             ;   in Loop: Header=BB2_7634 Depth=2
	s_delay_alu instid0(SALU_CYCLE_1)
	s_or_b32 exec_lo, exec_lo, s10
	flat_load_i8 v34, v[12:13] offset:128 th:TH_LOAD_NT
	v_mov_b32_e32 v85, 0
	s_mov_b32 s10, exec_lo
	s_wait_loadcnt_dscnt 0x0
	v_cmpx_ne_u16_e32 0, v34
	s_cbranch_execz .LBB2_7788
; %bb.7779:                             ;   in Loop: Header=BB2_7634 Depth=2
	v_bfrev_b32_e32 v85, 1
	s_mov_b32 s11, exec_lo
	v_cmpx_ne_u16_e32 0xff80, v34
	s_cbranch_execz .LBB2_7787
; %bb.7780:                             ;   in Loop: Header=BB2_7634 Depth=2
	v_and_b32_e32 v85, 0x7c, v34
	v_and_b32_e32 v84, 3, v34
	s_delay_alu instid0(VALU_DEP_2) | instskip(SKIP_1) | instid1(SALU_CYCLE_1)
	v_cmp_ne_u32_e32 vcc_lo, 0x7c, v85
                                        ; implicit-def: $vgpr85
	s_and_saveexec_b32 s27, vcc_lo
	s_xor_b32 s27, exec_lo, s27
	s_cbranch_execz .LBB2_7784
; %bb.7781:                             ;   in Loop: Header=BB2_7634 Depth=2
	v_and_b32_e32 v85, 0xff, v34
	s_mov_b32 s28, exec_lo
	s_delay_alu instid0(VALU_DEP_1) | instskip(NEXT) | instid1(VALU_DEP_1)
	v_bfe_u32 v85, v85, 2, 5
	v_cmpx_eq_u32_e32 0, v85
; %bb.7782:                             ;   in Loop: Header=BB2_7634 Depth=2
	v_clz_i32_u32_e32 v84, v84
	s_delay_alu instid0(VALU_DEP_1) | instskip(NEXT) | instid1(VALU_DEP_1)
	v_min_u32_e32 v86, 32, v84
	v_subrev_nc_u32_e32 v84, 29, v86
	s_delay_alu instid0(VALU_DEP_1) | instskip(NEXT) | instid1(VALU_DEP_1)
	v_lshlrev_b64_e32 v[84:85], v84, v[34:35]
	v_dual_sub_nc_u32 v85, 30, v86 :: v_dual_bitop2_b32 v84, 3, v84 bitop3:0x40
; %bb.7783:                             ;   in Loop: Header=BB2_7634 Depth=2
	s_or_b32 exec_lo, exec_lo, s28
	v_bfe_i32 v34, v34, 0, 16
	s_delay_alu instid0(VALU_DEP_1) | instskip(NEXT) | instid1(VALU_DEP_1)
	v_and_b32_e32 v34, 0x80000000, v34
	v_lshl_add_u32 v34, v85, 23, v34
	s_delay_alu instid0(VALU_DEP_1) | instskip(NEXT) | instid1(VALU_DEP_1)
	v_lshl_or_b32 v34, v84, 21, v34
                                        ; implicit-def: $vgpr84
	v_add_nc_u32_e32 v85, 0x38000000, v34
.LBB2_7784:                             ;   in Loop: Header=BB2_7634 Depth=2
	s_and_not1_saveexec_b32 s27, s27
; %bb.7785:                             ;   in Loop: Header=BB2_7634 Depth=2
	v_cmp_lt_i16_e32 vcc_lo, -1, v34
	v_cndmask_b32_e32 v34, 0xff800000, v103, vcc_lo
	v_cmp_eq_u32_e32 vcc_lo, 0, v84
	s_delay_alu instid0(VALU_DEP_2)
	v_cndmask_b32_e32 v85, 0x7f800001, v34, vcc_lo
; %bb.7786:                             ;   in Loop: Header=BB2_7634 Depth=2
	s_or_b32 exec_lo, exec_lo, s27
.LBB2_7787:                             ;   in Loop: Header=BB2_7634 Depth=2
	s_delay_alu instid0(SALU_CYCLE_1)
	s_or_b32 exec_lo, exec_lo, s11
.LBB2_7788:                             ;   in Loop: Header=BB2_7634 Depth=2
	s_delay_alu instid0(SALU_CYCLE_1) | instskip(NEXT) | instid1(VALU_DEP_1)
	s_or_b32 exec_lo, exec_lo, s10
	v_dual_mul_f32 v84, s26, v85 :: v_dual_mov_b32 v87, v35
                                        ; implicit-def: $vgpr116
	s_mov_b32 s10, exec_lo
	s_delay_alu instid0(VALU_DEP_1) | instskip(SKIP_1) | instid1(VALU_DEP_2)
	v_and_b32_e32 v86, 0x7f800000, v84
	v_and_b32_e32 v34, 0x7fffff, v84
	v_cmpx_ne_u64_e32 0x7f800000, v[86:87]
	s_xor_b32 s11, exec_lo, s10
	s_cbranch_execz .LBB2_7806
; %bb.7789:                             ;   in Loop: Header=BB2_7634 Depth=2
	v_dual_mov_b32 v87, v35 :: v_dual_lshrrev_b32 v85, 24, v84
	v_and_b32_e32 v86, 0x7fffffff, v84
                                        ; implicit-def: $vgpr116
	s_mov_b32 s10, exec_lo
	s_delay_alu instid0(VALU_DEP_2) | instskip(NEXT) | instid1(VALU_DEP_2)
	v_and_b32_e32 v117, 0x80, v85
	v_cmpx_gt_u64_e32 0x47600001, v[86:87]
	s_xor_b32 s27, exec_lo, s10
	s_cbranch_execz .LBB2_7803
; %bb.7790:                             ;   in Loop: Header=BB2_7634 Depth=2
	v_mov_b32_e32 v116, 0
	s_mov_b32 s28, exec_lo
	v_cmpx_ne_u32_e32 0, v84
	s_cbranch_execz .LBB2_7802
; %bb.7791:                             ;   in Loop: Header=BB2_7634 Depth=2
	v_bfe_u32 v116, v84, 23, 8
	v_or_b32_e32 v86, 0x800000, v34
	s_delay_alu instid0(VALU_DEP_2) | instskip(SKIP_1) | instid1(VALU_DEP_2)
	v_sub_nc_u32_e32 v84, 0x71, v116
	v_cmp_gt_u32_e32 vcc_lo, 0x72, v116
	v_cndmask_b32_e32 v84, 0, v84, vcc_lo
	v_cmp_eq_u32_e32 vcc_lo, 0, v116
	s_delay_alu instid0(VALU_DEP_2) | instskip(SKIP_1) | instid1(VALU_DEP_2)
	v_cndmask_b32_e64 v118, v84, 0x70, vcc_lo
	v_cndmask_b32_e32 v34, v86, v34, vcc_lo
	v_dual_add_nc_u32 v84, 21, v118 :: v_dual_add_nc_u32 v87, 20, v118
	s_delay_alu instid0(VALU_DEP_1) | instskip(NEXT) | instid1(VALU_DEP_2)
	v_lshlrev_b64_e64 v[84:85], v84, -1
	v_lshlrev_b64_e64 v[86:87], v87, 1
	s_delay_alu instid0(VALU_DEP_2) | instskip(NEXT) | instid1(VALU_DEP_3)
	v_bfi_b32 v41, v85, 0, 0
	v_bfi_b32 v40, v84, 0, v34
	v_lshrrev_b64 v[84:85], v118, v[34:35]
	s_delay_alu instid0(VALU_DEP_2) | instskip(NEXT) | instid1(VALU_DEP_2)
	v_cmp_eq_u64_e64 s10, v[40:41], v[86:87]
	v_mov_b64_e32 v[86:87], v[84:85]
	s_and_saveexec_b32 s29, s10
; %bb.7792:                             ;   in Loop: Header=BB2_7634 Depth=2
	v_bfe_u32 v34, v84, 21, 1
	s_delay_alu instid0(VALU_DEP_1) | instskip(NEXT) | instid1(VALU_DEP_1)
	v_add_nc_u64_e32 v[86:87], v[84:85], v[34:35]
	v_add_nc_u64_e32 v[86:87], -1, v[86:87]
; %bb.7793:                             ;   in Loop: Header=BB2_7634 Depth=2
	s_or_b32 exec_lo, exec_lo, s29
	v_add_nc_u32_e32 v34, 0xffffff81, v116
	v_lshrrev_b32_e32 v85, 23, v84
	s_mov_b32 s10, exec_lo
	s_delay_alu instid0(VALU_DEP_2) | instskip(NEXT) | instid1(VALU_DEP_1)
	v_cndmask_b32_e64 v34, v34, 0xffffff82, vcc_lo
	v_add3_u32 v87, v118, v34, v85
	v_and_b32_e32 v34, 0x1fffff, v86
                                        ; implicit-def: $vgpr86
	s_delay_alu instid0(VALU_DEP_1) | instskip(NEXT) | instid1(VALU_DEP_1)
	v_dual_add_nc_u32 v116, 14, v87 :: v_dual_add_nc_u32 v34, v34, v84
                                        ; implicit-def: $vgpr84_vgpr85
	v_cmpx_ne_u32_e32 0, v116
	s_xor_b32 s10, exec_lo, s10
; %bb.7794:                             ;   in Loop: Header=BB2_7634 Depth=2
	s_delay_alu instid0(VALU_DEP_2) | instskip(SKIP_1) | instid1(VALU_DEP_1)
	v_cmp_lt_u64_e32 vcc_lo, 0xffffff, v[34:35]
	v_add_nc_u32_e32 v84, 15, v87
	v_cndmask_b32_e32 v86, v116, v84, vcc_lo
	v_cndmask_b32_e64 v84, 0, 1, vcc_lo
	s_delay_alu instid0(VALU_DEP_1)
	v_lshrrev_b64 v[84:85], v84, v[34:35]
; %bb.7795:                             ;   in Loop: Header=BB2_7634 Depth=2
	s_and_not1_saveexec_b32 s10, s10
; %bb.7796:                             ;   in Loop: Header=BB2_7634 Depth=2
	v_mov_b64_e32 v[84:85], v[34:35]
	v_bfe_u32 v86, v34, 23, 1
; %bb.7797:                             ;   in Loop: Header=BB2_7634 Depth=2
	s_or_b32 exec_lo, exec_lo, s10
	s_delay_alu instid0(VALU_DEP_2) | instskip(NEXT) | instid1(VALU_DEP_2)
	v_lshrrev_b64 v[84:85], 21, v[84:85]
	v_cmp_gt_i32_e32 vcc_lo, 32, v86
	v_cmp_ne_u32_e64 s10, 0, v86
                                        ; implicit-def: $vgpr116
	s_delay_alu instid0(VALU_DEP_3) | instskip(NEXT) | instid1(VALU_DEP_1)
	v_dual_cndmask_b32 v85, 0, v85 :: v_dual_cndmask_b32 v84, 3, v84
	v_cmp_ne_u64_e32 vcc_lo, 0, v[84:85]
	s_or_b32 s10, s10, vcc_lo
	s_delay_alu instid0(SALU_CYCLE_1) | instskip(NEXT) | instid1(SALU_CYCLE_1)
	s_and_saveexec_b32 s29, s10
	s_xor_b32 s10, exec_lo, s29
; %bb.7798:                             ;   in Loop: Header=BB2_7634 Depth=2
	v_min_i32_e32 v34, 31, v86
	s_delay_alu instid0(VALU_DEP_1) | instskip(NEXT) | instid1(VALU_DEP_1)
	v_lshl_or_b32 v34, v34, 2, v117
                                        ; implicit-def: $vgpr117
	v_and_or_b32 v116, v84, 3, v34
; %bb.7799:                             ;   in Loop: Header=BB2_7634 Depth=2
	s_and_not1_saveexec_b32 s10, s10
; %bb.7800:                             ;   in Loop: Header=BB2_7634 Depth=2
	v_mov_b32_e32 v116, v117
; %bb.7801:                             ;   in Loop: Header=BB2_7634 Depth=2
	s_or_b32 exec_lo, exec_lo, s10
.LBB2_7802:                             ;   in Loop: Header=BB2_7634 Depth=2
	s_delay_alu instid0(SALU_CYCLE_1)
	s_or_b32 exec_lo, exec_lo, s28
                                        ; implicit-def: $vgpr117
.LBB2_7803:                             ;   in Loop: Header=BB2_7634 Depth=2
	s_and_not1_saveexec_b32 s10, s27
; %bb.7804:                             ;   in Loop: Header=BB2_7634 Depth=2
	v_or_b32_e32 v116, 0x7b, v117
; %bb.7805:                             ;   in Loop: Header=BB2_7634 Depth=2
	s_or_b32 exec_lo, exec_lo, s10
                                        ; implicit-def: $vgpr84
.LBB2_7806:                             ;   in Loop: Header=BB2_7634 Depth=2
	s_and_not1_saveexec_b32 s10, s11
	s_cbranch_execz .LBB2_7812
; %bb.7807:                             ;   in Loop: Header=BB2_7634 Depth=2
	s_mov_b32 s11, exec_lo
                                        ; implicit-def: $vgpr116
	v_cmpx_ne_u64_e32 0, v[34:35]
	s_xor_b32 s11, exec_lo, s11
; %bb.7808:                             ;   in Loop: Header=BB2_7634 Depth=2
	v_lshrrev_b32_e32 v34, 24, v84
                                        ; implicit-def: $vgpr84
	s_delay_alu instid0(VALU_DEP_1)
	v_or_b32_e32 v116, 0x7f, v34
; %bb.7809:                             ;   in Loop: Header=BB2_7634 Depth=2
	s_and_not1_saveexec_b32 s11, s11
; %bb.7810:                             ;   in Loop: Header=BB2_7634 Depth=2
	v_cmp_lt_i32_e32 vcc_lo, -1, v84
	v_cndmask_b32_e64 v116, -4, 0x7c, vcc_lo
; %bb.7811:                             ;   in Loop: Header=BB2_7634 Depth=2
	s_or_b32 exec_lo, exec_lo, s11
.LBB2_7812:                             ;   in Loop: Header=BB2_7634 Depth=2
	s_delay_alu instid0(SALU_CYCLE_1)
	s_or_b32 exec_lo, exec_lo, s10
	flat_load_i8 v34, v[12:13] offset:160 th:TH_LOAD_NT
	v_mov_b32_e32 v85, 0
	s_mov_b32 s10, exec_lo
	s_wait_loadcnt_dscnt 0x0
	v_cmpx_ne_u16_e32 0, v34
	s_cbranch_execz .LBB2_7822
; %bb.7813:                             ;   in Loop: Header=BB2_7634 Depth=2
	v_bfrev_b32_e32 v85, 1
	s_mov_b32 s11, exec_lo
	v_cmpx_ne_u16_e32 0xff80, v34
	s_cbranch_execz .LBB2_7821
; %bb.7814:                             ;   in Loop: Header=BB2_7634 Depth=2
	v_and_b32_e32 v85, 0x7c, v34
	v_and_b32_e32 v84, 3, v34
	s_delay_alu instid0(VALU_DEP_2) | instskip(SKIP_1) | instid1(SALU_CYCLE_1)
	v_cmp_ne_u32_e32 vcc_lo, 0x7c, v85
                                        ; implicit-def: $vgpr85
	s_and_saveexec_b32 s27, vcc_lo
	s_xor_b32 s27, exec_lo, s27
	s_cbranch_execz .LBB2_7818
; %bb.7815:                             ;   in Loop: Header=BB2_7634 Depth=2
	v_and_b32_e32 v85, 0xff, v34
	s_mov_b32 s28, exec_lo
	s_delay_alu instid0(VALU_DEP_1) | instskip(NEXT) | instid1(VALU_DEP_1)
	v_bfe_u32 v85, v85, 2, 5
	v_cmpx_eq_u32_e32 0, v85
; %bb.7816:                             ;   in Loop: Header=BB2_7634 Depth=2
	v_clz_i32_u32_e32 v84, v84
	s_delay_alu instid0(VALU_DEP_1) | instskip(NEXT) | instid1(VALU_DEP_1)
	v_min_u32_e32 v86, 32, v84
	v_subrev_nc_u32_e32 v84, 29, v86
	s_delay_alu instid0(VALU_DEP_1) | instskip(NEXT) | instid1(VALU_DEP_1)
	v_lshlrev_b64_e32 v[84:85], v84, v[34:35]
	v_dual_sub_nc_u32 v85, 30, v86 :: v_dual_bitop2_b32 v84, 3, v84 bitop3:0x40
; %bb.7817:                             ;   in Loop: Header=BB2_7634 Depth=2
	s_or_b32 exec_lo, exec_lo, s28
	v_bfe_i32 v34, v34, 0, 16
	s_delay_alu instid0(VALU_DEP_1) | instskip(NEXT) | instid1(VALU_DEP_1)
	v_and_b32_e32 v34, 0x80000000, v34
	v_lshl_add_u32 v34, v85, 23, v34
	s_delay_alu instid0(VALU_DEP_1) | instskip(NEXT) | instid1(VALU_DEP_1)
	v_lshl_or_b32 v34, v84, 21, v34
                                        ; implicit-def: $vgpr84
	v_add_nc_u32_e32 v85, 0x38000000, v34
.LBB2_7818:                             ;   in Loop: Header=BB2_7634 Depth=2
	s_and_not1_saveexec_b32 s27, s27
; %bb.7819:                             ;   in Loop: Header=BB2_7634 Depth=2
	v_cmp_lt_i16_e32 vcc_lo, -1, v34
	v_cndmask_b32_e32 v34, 0xff800000, v103, vcc_lo
	v_cmp_eq_u32_e32 vcc_lo, 0, v84
	s_delay_alu instid0(VALU_DEP_2)
	v_cndmask_b32_e32 v85, 0x7f800001, v34, vcc_lo
; %bb.7820:                             ;   in Loop: Header=BB2_7634 Depth=2
	s_or_b32 exec_lo, exec_lo, s27
.LBB2_7821:                             ;   in Loop: Header=BB2_7634 Depth=2
	s_delay_alu instid0(SALU_CYCLE_1)
	s_or_b32 exec_lo, exec_lo, s11
.LBB2_7822:                             ;   in Loop: Header=BB2_7634 Depth=2
	s_delay_alu instid0(SALU_CYCLE_1) | instskip(NEXT) | instid1(VALU_DEP_1)
	s_or_b32 exec_lo, exec_lo, s10
	v_dual_mul_f32 v84, s26, v85 :: v_dual_mov_b32 v87, v35
                                        ; implicit-def: $vgpr117
	s_mov_b32 s10, exec_lo
	s_delay_alu instid0(VALU_DEP_1) | instskip(SKIP_1) | instid1(VALU_DEP_2)
	v_and_b32_e32 v86, 0x7f800000, v84
	v_and_b32_e32 v34, 0x7fffff, v84
	v_cmpx_ne_u64_e32 0x7f800000, v[86:87]
	s_xor_b32 s11, exec_lo, s10
	s_cbranch_execz .LBB2_7840
; %bb.7823:                             ;   in Loop: Header=BB2_7634 Depth=2
	v_dual_mov_b32 v87, v35 :: v_dual_lshrrev_b32 v85, 24, v84
	v_and_b32_e32 v86, 0x7fffffff, v84
                                        ; implicit-def: $vgpr117
	s_mov_b32 s10, exec_lo
	s_delay_alu instid0(VALU_DEP_2) | instskip(NEXT) | instid1(VALU_DEP_2)
	v_and_b32_e32 v118, 0x80, v85
	v_cmpx_gt_u64_e32 0x47600001, v[86:87]
	s_xor_b32 s27, exec_lo, s10
	s_cbranch_execz .LBB2_7837
; %bb.7824:                             ;   in Loop: Header=BB2_7634 Depth=2
	v_mov_b32_e32 v117, 0
	s_mov_b32 s28, exec_lo
	v_cmpx_ne_u32_e32 0, v84
	s_cbranch_execz .LBB2_7836
; %bb.7825:                             ;   in Loop: Header=BB2_7634 Depth=2
	v_bfe_u32 v117, v84, 23, 8
	v_or_b32_e32 v86, 0x800000, v34
	s_delay_alu instid0(VALU_DEP_2) | instskip(SKIP_1) | instid1(VALU_DEP_2)
	v_sub_nc_u32_e32 v84, 0x71, v117
	v_cmp_gt_u32_e32 vcc_lo, 0x72, v117
	v_cndmask_b32_e32 v84, 0, v84, vcc_lo
	v_cmp_eq_u32_e32 vcc_lo, 0, v117
	s_delay_alu instid0(VALU_DEP_2) | instskip(NEXT) | instid1(VALU_DEP_1)
	v_cndmask_b32_e64 v119, v84, 0x70, vcc_lo
	v_dual_cndmask_b32 v34, v86, v34, vcc_lo :: v_dual_add_nc_u32 v84, 21, v119
	v_add_nc_u32_e32 v87, 20, v119
	s_delay_alu instid0(VALU_DEP_2) | instskip(NEXT) | instid1(VALU_DEP_2)
	v_lshlrev_b64_e64 v[84:85], v84, -1
	v_lshlrev_b64_e64 v[86:87], v87, 1
	s_delay_alu instid0(VALU_DEP_2) | instskip(NEXT) | instid1(VALU_DEP_3)
	v_bfi_b32 v41, v85, 0, 0
	v_bfi_b32 v40, v84, 0, v34
	v_lshrrev_b64 v[84:85], v119, v[34:35]
	s_delay_alu instid0(VALU_DEP_2) | instskip(NEXT) | instid1(VALU_DEP_2)
	v_cmp_eq_u64_e64 s10, v[40:41], v[86:87]
	v_mov_b64_e32 v[86:87], v[84:85]
	s_and_saveexec_b32 s29, s10
; %bb.7826:                             ;   in Loop: Header=BB2_7634 Depth=2
	v_bfe_u32 v34, v84, 21, 1
	s_delay_alu instid0(VALU_DEP_1) | instskip(NEXT) | instid1(VALU_DEP_1)
	v_add_nc_u64_e32 v[86:87], v[84:85], v[34:35]
	v_add_nc_u64_e32 v[86:87], -1, v[86:87]
; %bb.7827:                             ;   in Loop: Header=BB2_7634 Depth=2
	s_or_b32 exec_lo, exec_lo, s29
	v_add_nc_u32_e32 v34, 0xffffff81, v117
	v_lshrrev_b32_e32 v85, 23, v84
	s_mov_b32 s10, exec_lo
	s_delay_alu instid0(VALU_DEP_2) | instskip(NEXT) | instid1(VALU_DEP_1)
	v_cndmask_b32_e64 v34, v34, 0xffffff82, vcc_lo
	v_add3_u32 v87, v119, v34, v85
	v_and_b32_e32 v34, 0x1fffff, v86
                                        ; implicit-def: $vgpr86
	s_delay_alu instid0(VALU_DEP_1) | instskip(NEXT) | instid1(VALU_DEP_1)
	v_dual_add_nc_u32 v117, 14, v87 :: v_dual_add_nc_u32 v34, v34, v84
                                        ; implicit-def: $vgpr84_vgpr85
	v_cmpx_ne_u32_e32 0, v117
	s_xor_b32 s10, exec_lo, s10
; %bb.7828:                             ;   in Loop: Header=BB2_7634 Depth=2
	s_delay_alu instid0(VALU_DEP_2) | instskip(SKIP_1) | instid1(VALU_DEP_1)
	v_cmp_lt_u64_e32 vcc_lo, 0xffffff, v[34:35]
	v_add_nc_u32_e32 v84, 15, v87
	v_cndmask_b32_e32 v86, v117, v84, vcc_lo
	v_cndmask_b32_e64 v84, 0, 1, vcc_lo
	s_delay_alu instid0(VALU_DEP_1)
	v_lshrrev_b64 v[84:85], v84, v[34:35]
; %bb.7829:                             ;   in Loop: Header=BB2_7634 Depth=2
	s_and_not1_saveexec_b32 s10, s10
; %bb.7830:                             ;   in Loop: Header=BB2_7634 Depth=2
	v_mov_b64_e32 v[84:85], v[34:35]
	v_bfe_u32 v86, v34, 23, 1
; %bb.7831:                             ;   in Loop: Header=BB2_7634 Depth=2
	s_or_b32 exec_lo, exec_lo, s10
	s_delay_alu instid0(VALU_DEP_2) | instskip(NEXT) | instid1(VALU_DEP_2)
	v_lshrrev_b64 v[84:85], 21, v[84:85]
	v_cmp_gt_i32_e32 vcc_lo, 32, v86
	v_cmp_ne_u32_e64 s10, 0, v86
                                        ; implicit-def: $vgpr117
	s_delay_alu instid0(VALU_DEP_3) | instskip(NEXT) | instid1(VALU_DEP_1)
	v_dual_cndmask_b32 v85, 0, v85 :: v_dual_cndmask_b32 v84, 3, v84
	v_cmp_ne_u64_e32 vcc_lo, 0, v[84:85]
	s_or_b32 s10, s10, vcc_lo
	s_delay_alu instid0(SALU_CYCLE_1) | instskip(NEXT) | instid1(SALU_CYCLE_1)
	s_and_saveexec_b32 s29, s10
	s_xor_b32 s10, exec_lo, s29
; %bb.7832:                             ;   in Loop: Header=BB2_7634 Depth=2
	v_min_i32_e32 v34, 31, v86
	s_delay_alu instid0(VALU_DEP_1) | instskip(NEXT) | instid1(VALU_DEP_1)
	v_lshl_or_b32 v34, v34, 2, v118
                                        ; implicit-def: $vgpr118
	v_and_or_b32 v117, v84, 3, v34
; %bb.7833:                             ;   in Loop: Header=BB2_7634 Depth=2
	s_and_not1_saveexec_b32 s10, s10
; %bb.7834:                             ;   in Loop: Header=BB2_7634 Depth=2
	v_mov_b32_e32 v117, v118
; %bb.7835:                             ;   in Loop: Header=BB2_7634 Depth=2
	s_or_b32 exec_lo, exec_lo, s10
.LBB2_7836:                             ;   in Loop: Header=BB2_7634 Depth=2
	s_delay_alu instid0(SALU_CYCLE_1)
	s_or_b32 exec_lo, exec_lo, s28
                                        ; implicit-def: $vgpr118
.LBB2_7837:                             ;   in Loop: Header=BB2_7634 Depth=2
	s_and_not1_saveexec_b32 s10, s27
; %bb.7838:                             ;   in Loop: Header=BB2_7634 Depth=2
	v_or_b32_e32 v117, 0x7b, v118
; %bb.7839:                             ;   in Loop: Header=BB2_7634 Depth=2
	s_or_b32 exec_lo, exec_lo, s10
                                        ; implicit-def: $vgpr84
.LBB2_7840:                             ;   in Loop: Header=BB2_7634 Depth=2
	s_and_not1_saveexec_b32 s10, s11
	s_cbranch_execz .LBB2_7846
; %bb.7841:                             ;   in Loop: Header=BB2_7634 Depth=2
	s_mov_b32 s11, exec_lo
                                        ; implicit-def: $vgpr117
	v_cmpx_ne_u64_e32 0, v[34:35]
	s_xor_b32 s11, exec_lo, s11
; %bb.7842:                             ;   in Loop: Header=BB2_7634 Depth=2
	v_lshrrev_b32_e32 v34, 24, v84
                                        ; implicit-def: $vgpr84
	s_delay_alu instid0(VALU_DEP_1)
	v_or_b32_e32 v117, 0x7f, v34
; %bb.7843:                             ;   in Loop: Header=BB2_7634 Depth=2
	s_and_not1_saveexec_b32 s11, s11
; %bb.7844:                             ;   in Loop: Header=BB2_7634 Depth=2
	v_cmp_lt_i32_e32 vcc_lo, -1, v84
	v_cndmask_b32_e64 v117, -4, 0x7c, vcc_lo
; %bb.7845:                             ;   in Loop: Header=BB2_7634 Depth=2
	s_or_b32 exec_lo, exec_lo, s11
.LBB2_7846:                             ;   in Loop: Header=BB2_7634 Depth=2
	s_delay_alu instid0(SALU_CYCLE_1)
	s_or_b32 exec_lo, exec_lo, s10
	flat_load_i8 v34, v[12:13] offset:192 th:TH_LOAD_NT
	v_mov_b32_e32 v85, 0
	s_mov_b32 s10, exec_lo
	s_wait_loadcnt_dscnt 0x0
	v_cmpx_ne_u16_e32 0, v34
	s_cbranch_execz .LBB2_7856
; %bb.7847:                             ;   in Loop: Header=BB2_7634 Depth=2
	v_bfrev_b32_e32 v85, 1
	s_mov_b32 s11, exec_lo
	v_cmpx_ne_u16_e32 0xff80, v34
	s_cbranch_execz .LBB2_7855
; %bb.7848:                             ;   in Loop: Header=BB2_7634 Depth=2
	v_and_b32_e32 v85, 0x7c, v34
	v_and_b32_e32 v84, 3, v34
	s_delay_alu instid0(VALU_DEP_2) | instskip(SKIP_1) | instid1(SALU_CYCLE_1)
	v_cmp_ne_u32_e32 vcc_lo, 0x7c, v85
                                        ; implicit-def: $vgpr85
	s_and_saveexec_b32 s27, vcc_lo
	s_xor_b32 s27, exec_lo, s27
	s_cbranch_execz .LBB2_7852
; %bb.7849:                             ;   in Loop: Header=BB2_7634 Depth=2
	v_and_b32_e32 v85, 0xff, v34
	s_mov_b32 s28, exec_lo
	s_delay_alu instid0(VALU_DEP_1) | instskip(NEXT) | instid1(VALU_DEP_1)
	v_bfe_u32 v85, v85, 2, 5
	v_cmpx_eq_u32_e32 0, v85
; %bb.7850:                             ;   in Loop: Header=BB2_7634 Depth=2
	v_clz_i32_u32_e32 v84, v84
	s_delay_alu instid0(VALU_DEP_1) | instskip(NEXT) | instid1(VALU_DEP_1)
	v_min_u32_e32 v86, 32, v84
	v_subrev_nc_u32_e32 v84, 29, v86
	s_delay_alu instid0(VALU_DEP_1) | instskip(NEXT) | instid1(VALU_DEP_1)
	v_lshlrev_b64_e32 v[84:85], v84, v[34:35]
	v_dual_sub_nc_u32 v85, 30, v86 :: v_dual_bitop2_b32 v84, 3, v84 bitop3:0x40
; %bb.7851:                             ;   in Loop: Header=BB2_7634 Depth=2
	s_or_b32 exec_lo, exec_lo, s28
	v_bfe_i32 v34, v34, 0, 16
	s_delay_alu instid0(VALU_DEP_1) | instskip(NEXT) | instid1(VALU_DEP_1)
	v_and_b32_e32 v34, 0x80000000, v34
	v_lshl_add_u32 v34, v85, 23, v34
	s_delay_alu instid0(VALU_DEP_1) | instskip(NEXT) | instid1(VALU_DEP_1)
	v_lshl_or_b32 v34, v84, 21, v34
                                        ; implicit-def: $vgpr84
	v_add_nc_u32_e32 v85, 0x38000000, v34
.LBB2_7852:                             ;   in Loop: Header=BB2_7634 Depth=2
	s_and_not1_saveexec_b32 s27, s27
; %bb.7853:                             ;   in Loop: Header=BB2_7634 Depth=2
	v_cmp_lt_i16_e32 vcc_lo, -1, v34
	v_cndmask_b32_e32 v34, 0xff800000, v103, vcc_lo
	v_cmp_eq_u32_e32 vcc_lo, 0, v84
	s_delay_alu instid0(VALU_DEP_2)
	v_cndmask_b32_e32 v85, 0x7f800001, v34, vcc_lo
; %bb.7854:                             ;   in Loop: Header=BB2_7634 Depth=2
	s_or_b32 exec_lo, exec_lo, s27
.LBB2_7855:                             ;   in Loop: Header=BB2_7634 Depth=2
	s_delay_alu instid0(SALU_CYCLE_1)
	s_or_b32 exec_lo, exec_lo, s11
.LBB2_7856:                             ;   in Loop: Header=BB2_7634 Depth=2
	s_delay_alu instid0(SALU_CYCLE_1) | instskip(NEXT) | instid1(VALU_DEP_1)
	s_or_b32 exec_lo, exec_lo, s10
	v_dual_mul_f32 v84, s26, v85 :: v_dual_mov_b32 v87, v35
	s_delay_alu instid0(VALU_DEP_1) | instskip(SKIP_1) | instid1(VALU_DEP_2)
	v_and_b32_e32 v86, 0x7f800000, v84
	v_and_b32_e32 v34, 0x7fffff, v84
	v_cmp_ne_u64_e32 vcc_lo, 0x7f800000, v[86:87]
                                        ; implicit-def: $vgpr86
	s_and_saveexec_b32 s10, vcc_lo
	s_delay_alu instid0(SALU_CYCLE_1)
	s_xor_b32 s11, exec_lo, s10
	s_cbranch_execz .LBB2_7874
; %bb.7857:                             ;   in Loop: Header=BB2_7634 Depth=2
	v_and_b32_e32 v86, 0x7fffffff, v84
	v_dual_mov_b32 v87, v35 :: v_dual_lshrrev_b32 v85, 24, v84
	s_delay_alu instid0(VALU_DEP_1) | instskip(NEXT) | instid1(VALU_DEP_2)
	v_cmp_gt_u64_e32 vcc_lo, 0x47600001, v[86:87]
	v_and_b32_e32 v118, 0x80, v85
                                        ; implicit-def: $vgpr86
	s_and_saveexec_b32 s10, vcc_lo
	s_delay_alu instid0(SALU_CYCLE_1)
	s_xor_b32 s27, exec_lo, s10
	s_cbranch_execz .LBB2_7871
; %bb.7858:                             ;   in Loop: Header=BB2_7634 Depth=2
	v_mov_b32_e32 v86, 0
	s_mov_b32 s28, exec_lo
	v_cmpx_ne_u32_e32 0, v84
	s_cbranch_execz .LBB2_7870
; %bb.7859:                             ;   in Loop: Header=BB2_7634 Depth=2
	v_bfe_u32 v119, v84, 23, 8
	v_or_b32_e32 v86, 0x800000, v34
	s_delay_alu instid0(VALU_DEP_2) | instskip(SKIP_1) | instid1(VALU_DEP_2)
	v_sub_nc_u32_e32 v84, 0x71, v119
	v_cmp_gt_u32_e32 vcc_lo, 0x72, v119
	v_cndmask_b32_e32 v84, 0, v84, vcc_lo
	v_cmp_eq_u32_e32 vcc_lo, 0, v119
	v_cndmask_b32_e32 v34, v86, v34, vcc_lo
	s_delay_alu instid0(VALU_DEP_3) | instskip(NEXT) | instid1(VALU_DEP_1)
	v_cndmask_b32_e64 v40, v84, 0x70, vcc_lo
	v_dual_add_nc_u32 v84, 21, v40 :: v_dual_add_nc_u32 v87, 20, v40
	s_delay_alu instid0(VALU_DEP_1) | instskip(NEXT) | instid1(VALU_DEP_2)
	v_lshlrev_b64_e64 v[84:85], v84, -1
	v_lshlrev_b64_e64 v[86:87], v87, 1
	s_delay_alu instid0(VALU_DEP_2) | instskip(NEXT) | instid1(VALU_DEP_3)
	v_bfi_b32 v43, v85, 0, 0
	v_bfi_b32 v42, v84, 0, v34
	v_lshrrev_b64 v[84:85], v40, v[34:35]
	s_delay_alu instid0(VALU_DEP_2) | instskip(NEXT) | instid1(VALU_DEP_2)
	v_cmp_eq_u64_e64 s10, v[42:43], v[86:87]
	v_mov_b64_e32 v[86:87], v[84:85]
	s_and_saveexec_b32 s29, s10
; %bb.7860:                             ;   in Loop: Header=BB2_7634 Depth=2
	v_bfe_u32 v34, v84, 21, 1
	s_delay_alu instid0(VALU_DEP_1) | instskip(NEXT) | instid1(VALU_DEP_1)
	v_add_nc_u64_e32 v[86:87], v[84:85], v[34:35]
	v_add_nc_u64_e32 v[86:87], -1, v[86:87]
; %bb.7861:                             ;   in Loop: Header=BB2_7634 Depth=2
	s_or_b32 exec_lo, exec_lo, s29
	v_add_nc_u32_e32 v34, 0xffffff81, v119
	v_lshrrev_b32_e32 v85, 23, v84
	s_mov_b32 s10, exec_lo
                                        ; implicit-def: $vgpr87
	s_delay_alu instid0(VALU_DEP_2) | instskip(NEXT) | instid1(VALU_DEP_1)
	v_cndmask_b32_e64 v34, v34, 0xffffff82, vcc_lo
	v_add3_u32 v119, v40, v34, v85
	v_and_b32_e32 v34, 0x1fffff, v86
	s_delay_alu instid0(VALU_DEP_1) | instskip(NEXT) | instid1(VALU_DEP_1)
	v_dual_add_nc_u32 v86, 14, v119 :: v_dual_add_nc_u32 v34, v34, v84
                                        ; implicit-def: $vgpr84_vgpr85
	v_cmpx_ne_u32_e32 0, v86
	s_xor_b32 s10, exec_lo, s10
; %bb.7862:                             ;   in Loop: Header=BB2_7634 Depth=2
	s_delay_alu instid0(VALU_DEP_2) | instskip(SKIP_1) | instid1(VALU_DEP_1)
	v_cmp_lt_u64_e32 vcc_lo, 0xffffff, v[34:35]
	v_add_nc_u32_e32 v84, 15, v119
	v_cndmask_b32_e32 v87, v86, v84, vcc_lo
	v_cndmask_b32_e64 v84, 0, 1, vcc_lo
	s_delay_alu instid0(VALU_DEP_1)
	v_lshrrev_b64 v[84:85], v84, v[34:35]
; %bb.7863:                             ;   in Loop: Header=BB2_7634 Depth=2
	s_and_not1_saveexec_b32 s10, s10
; %bb.7864:                             ;   in Loop: Header=BB2_7634 Depth=2
	v_mov_b64_e32 v[84:85], v[34:35]
	v_bfe_u32 v87, v34, 23, 1
; %bb.7865:                             ;   in Loop: Header=BB2_7634 Depth=2
	s_or_b32 exec_lo, exec_lo, s10
	s_delay_alu instid0(VALU_DEP_2) | instskip(NEXT) | instid1(VALU_DEP_2)
	v_lshrrev_b64 v[84:85], 21, v[84:85]
	v_cmp_gt_i32_e32 vcc_lo, 32, v87
	v_cmp_ne_u32_e64 s10, 0, v87
                                        ; implicit-def: $vgpr86
	s_delay_alu instid0(VALU_DEP_3) | instskip(NEXT) | instid1(VALU_DEP_1)
	v_dual_cndmask_b32 v85, 0, v85 :: v_dual_cndmask_b32 v84, 3, v84
	v_cmp_ne_u64_e32 vcc_lo, 0, v[84:85]
	s_or_b32 s10, s10, vcc_lo
	s_delay_alu instid0(SALU_CYCLE_1) | instskip(NEXT) | instid1(SALU_CYCLE_1)
	s_and_saveexec_b32 s29, s10
	s_xor_b32 s10, exec_lo, s29
; %bb.7866:                             ;   in Loop: Header=BB2_7634 Depth=2
	v_min_i32_e32 v34, 31, v87
	s_delay_alu instid0(VALU_DEP_1) | instskip(NEXT) | instid1(VALU_DEP_1)
	v_lshl_or_b32 v34, v34, 2, v118
                                        ; implicit-def: $vgpr118
	v_and_or_b32 v86, v84, 3, v34
; %bb.7867:                             ;   in Loop: Header=BB2_7634 Depth=2
	s_and_not1_saveexec_b32 s10, s10
; %bb.7868:                             ;   in Loop: Header=BB2_7634 Depth=2
	v_mov_b32_e32 v86, v118
; %bb.7869:                             ;   in Loop: Header=BB2_7634 Depth=2
	s_or_b32 exec_lo, exec_lo, s10
.LBB2_7870:                             ;   in Loop: Header=BB2_7634 Depth=2
	s_delay_alu instid0(SALU_CYCLE_1)
	s_or_b32 exec_lo, exec_lo, s28
                                        ; implicit-def: $vgpr118
.LBB2_7871:                             ;   in Loop: Header=BB2_7634 Depth=2
	s_and_not1_saveexec_b32 s10, s27
; %bb.7872:                             ;   in Loop: Header=BB2_7634 Depth=2
	v_or_b32_e32 v86, 0x7b, v118
; %bb.7873:                             ;   in Loop: Header=BB2_7634 Depth=2
	s_or_b32 exec_lo, exec_lo, s10
                                        ; implicit-def: $vgpr84
.LBB2_7874:                             ;   in Loop: Header=BB2_7634 Depth=2
	s_and_not1_saveexec_b32 s10, s11
	s_cbranch_execz .LBB2_7880
; %bb.7875:                             ;   in Loop: Header=BB2_7634 Depth=2
	s_mov_b32 s11, exec_lo
                                        ; implicit-def: $vgpr86
	v_cmpx_ne_u64_e32 0, v[34:35]
	s_xor_b32 s11, exec_lo, s11
; %bb.7876:                             ;   in Loop: Header=BB2_7634 Depth=2
	v_lshrrev_b32_e32 v34, 24, v84
                                        ; implicit-def: $vgpr84
	s_delay_alu instid0(VALU_DEP_1)
	v_or_b32_e32 v86, 0x7f, v34
; %bb.7877:                             ;   in Loop: Header=BB2_7634 Depth=2
	s_and_not1_saveexec_b32 s11, s11
; %bb.7878:                             ;   in Loop: Header=BB2_7634 Depth=2
	v_cmp_lt_i32_e32 vcc_lo, -1, v84
	v_cndmask_b32_e64 v86, -4, 0x7c, vcc_lo
; %bb.7879:                             ;   in Loop: Header=BB2_7634 Depth=2
	s_or_b32 exec_lo, exec_lo, s11
.LBB2_7880:                             ;   in Loop: Header=BB2_7634 Depth=2
	s_delay_alu instid0(SALU_CYCLE_1)
	s_or_b32 exec_lo, exec_lo, s10
	flat_load_i8 v34, v[12:13] offset:224 th:TH_LOAD_NT
	s_wait_xcnt 0x0
	v_mov_b32_e32 v13, 0
	s_mov_b32 s10, exec_lo
	s_wait_loadcnt_dscnt 0x0
	v_cmpx_ne_u16_e32 0, v34
	s_cbranch_execz .LBB2_7890
; %bb.7881:                             ;   in Loop: Header=BB2_7634 Depth=2
	v_bfrev_b32_e32 v13, 1
	s_mov_b32 s11, exec_lo
	v_cmpx_ne_u16_e32 0xff80, v34
	s_cbranch_execz .LBB2_7889
; %bb.7882:                             ;   in Loop: Header=BB2_7634 Depth=2
	v_and_b32_e32 v13, 0x7c, v34
	v_and_b32_e32 v12, 3, v34
	s_delay_alu instid0(VALU_DEP_2) | instskip(SKIP_1) | instid1(SALU_CYCLE_1)
	v_cmp_ne_u32_e32 vcc_lo, 0x7c, v13
                                        ; implicit-def: $vgpr13
	s_and_saveexec_b32 s27, vcc_lo
	s_xor_b32 s27, exec_lo, s27
	s_cbranch_execz .LBB2_7886
; %bb.7883:                             ;   in Loop: Header=BB2_7634 Depth=2
	v_and_b32_e32 v13, 0xff, v34
	s_mov_b32 s28, exec_lo
	s_delay_alu instid0(VALU_DEP_1) | instskip(NEXT) | instid1(VALU_DEP_1)
	v_bfe_u32 v13, v13, 2, 5
	v_cmpx_eq_u32_e32 0, v13
; %bb.7884:                             ;   in Loop: Header=BB2_7634 Depth=2
	v_clz_i32_u32_e32 v12, v12
	s_delay_alu instid0(VALU_DEP_1) | instskip(NEXT) | instid1(VALU_DEP_1)
	v_min_u32_e32 v84, 32, v12
	v_subrev_nc_u32_e32 v12, 29, v84
	s_delay_alu instid0(VALU_DEP_1) | instskip(SKIP_1) | instid1(VALU_DEP_2)
	v_lshlrev_b64_e32 v[12:13], v12, v[34:35]
	v_sub_nc_u32_e32 v13, 30, v84
	v_and_b32_e32 v12, 3, v12
; %bb.7885:                             ;   in Loop: Header=BB2_7634 Depth=2
	s_or_b32 exec_lo, exec_lo, s28
	v_bfe_i32 v34, v34, 0, 16
	s_delay_alu instid0(VALU_DEP_1) | instskip(NEXT) | instid1(VALU_DEP_1)
	v_and_b32_e32 v34, 0x80000000, v34
	v_lshl_add_u32 v13, v13, 23, v34
	s_delay_alu instid0(VALU_DEP_1) | instskip(NEXT) | instid1(VALU_DEP_1)
	v_lshl_or_b32 v12, v12, 21, v13
	v_add_nc_u32_e32 v13, 0x38000000, v12
                                        ; implicit-def: $vgpr12
.LBB2_7886:                             ;   in Loop: Header=BB2_7634 Depth=2
	s_and_not1_saveexec_b32 s27, s27
; %bb.7887:                             ;   in Loop: Header=BB2_7634 Depth=2
	v_cmp_lt_i16_e32 vcc_lo, -1, v34
	v_cndmask_b32_e32 v13, 0xff800000, v103, vcc_lo
	v_cmp_eq_u32_e32 vcc_lo, 0, v12
	s_delay_alu instid0(VALU_DEP_2)
	v_cndmask_b32_e32 v13, 0x7f800001, v13, vcc_lo
; %bb.7888:                             ;   in Loop: Header=BB2_7634 Depth=2
	s_or_b32 exec_lo, exec_lo, s27
.LBB2_7889:                             ;   in Loop: Header=BB2_7634 Depth=2
	s_delay_alu instid0(SALU_CYCLE_1)
	s_or_b32 exec_lo, exec_lo, s11
.LBB2_7890:                             ;   in Loop: Header=BB2_7634 Depth=2
	s_delay_alu instid0(SALU_CYCLE_1) | instskip(NEXT) | instid1(VALU_DEP_1)
	s_or_b32 exec_lo, exec_lo, s10
	v_dual_mul_f32 v12, s26, v13 :: v_dual_mov_b32 v85, v35
                                        ; implicit-def: $vgpr13
	s_mov_b32 s10, exec_lo
	s_delay_alu instid0(VALU_DEP_1) | instskip(SKIP_1) | instid1(VALU_DEP_2)
	v_and_b32_e32 v84, 0x7f800000, v12
	v_and_b32_e32 v34, 0x7fffff, v12
	v_cmpx_ne_u64_e32 0x7f800000, v[84:85]
	s_xor_b32 s11, exec_lo, s10
	s_cbranch_execz .LBB2_7908
; %bb.7891:                             ;   in Loop: Header=BB2_7634 Depth=2
	v_dual_mov_b32 v85, v35 :: v_dual_lshrrev_b32 v13, 24, v12
	v_and_b32_e32 v84, 0x7fffffff, v12
	s_mov_b32 s10, exec_lo
	s_delay_alu instid0(VALU_DEP_2) | instskip(NEXT) | instid1(VALU_DEP_2)
	v_and_b32_e32 v87, 0x80, v13
                                        ; implicit-def: $vgpr13
	v_cmpx_gt_u64_e32 0x47600001, v[84:85]
	s_xor_b32 s26, exec_lo, s10
	s_cbranch_execz .LBB2_7905
; %bb.7892:                             ;   in Loop: Header=BB2_7634 Depth=2
	v_mov_b32_e32 v13, 0
	s_mov_b32 s27, exec_lo
	v_cmpx_ne_u32_e32 0, v12
	s_cbranch_execz .LBB2_7904
; %bb.7893:                             ;   in Loop: Header=BB2_7634 Depth=2
	v_bfe_u32 v118, v12, 23, 8
	v_or_b32_e32 v84, 0x800000, v34
	s_delay_alu instid0(VALU_DEP_2) | instskip(SKIP_1) | instid1(VALU_DEP_2)
	v_sub_nc_u32_e32 v12, 0x71, v118
	v_cmp_gt_u32_e32 vcc_lo, 0x72, v118
	v_cndmask_b32_e32 v12, 0, v12, vcc_lo
	v_cmp_eq_u32_e32 vcc_lo, 0, v118
	s_delay_alu instid0(VALU_DEP_2) | instskip(NEXT) | instid1(VALU_DEP_1)
	v_cndmask_b32_e64 v119, v12, 0x70, vcc_lo
	v_dual_cndmask_b32 v34, v84, v34, vcc_lo :: v_dual_add_nc_u32 v12, 21, v119
	v_add_nc_u32_e32 v85, 20, v119
	s_delay_alu instid0(VALU_DEP_2) | instskip(NEXT) | instid1(VALU_DEP_2)
	v_lshlrev_b64_e64 v[12:13], v12, -1
	v_lshlrev_b64_e64 v[84:85], v85, 1
	s_delay_alu instid0(VALU_DEP_2) | instskip(NEXT) | instid1(VALU_DEP_3)
	v_bfi_b32 v41, v13, 0, 0
	v_bfi_b32 v40, v12, 0, v34
	v_lshrrev_b64 v[12:13], v119, v[34:35]
	s_delay_alu instid0(VALU_DEP_2) | instskip(NEXT) | instid1(VALU_DEP_2)
	v_cmp_eq_u64_e64 s10, v[40:41], v[84:85]
	v_mov_b64_e32 v[84:85], v[12:13]
	s_and_saveexec_b32 s28, s10
; %bb.7894:                             ;   in Loop: Header=BB2_7634 Depth=2
	v_bfe_u32 v34, v12, 21, 1
	s_delay_alu instid0(VALU_DEP_1) | instskip(NEXT) | instid1(VALU_DEP_1)
	v_add_nc_u64_e32 v[84:85], v[12:13], v[34:35]
	v_add_nc_u64_e32 v[84:85], -1, v[84:85]
; %bb.7895:                             ;   in Loop: Header=BB2_7634 Depth=2
	s_or_b32 exec_lo, exec_lo, s28
	v_add_nc_u32_e32 v13, 0xffffff81, v118
	v_lshrrev_b32_e32 v34, 23, v12
	s_mov_b32 s10, exec_lo
	s_delay_alu instid0(VALU_DEP_2) | instskip(NEXT) | instid1(VALU_DEP_1)
	v_cndmask_b32_e64 v13, v13, 0xffffff82, vcc_lo
	v_add3_u32 v85, v119, v13, v34
	v_and_b32_e32 v13, 0x1fffff, v84
                                        ; implicit-def: $vgpr84
	s_delay_alu instid0(VALU_DEP_1) | instskip(NEXT) | instid1(VALU_DEP_1)
	v_dual_add_nc_u32 v118, 14, v85 :: v_dual_add_nc_u32 v34, v13, v12
                                        ; implicit-def: $vgpr12_vgpr13
	v_cmpx_ne_u32_e32 0, v118
	s_xor_b32 s10, exec_lo, s10
; %bb.7896:                             ;   in Loop: Header=BB2_7634 Depth=2
	s_delay_alu instid0(VALU_DEP_2) | instskip(SKIP_1) | instid1(VALU_DEP_1)
	v_cmp_lt_u64_e32 vcc_lo, 0xffffff, v[34:35]
	v_add_nc_u32_e32 v12, 15, v85
	v_cndmask_b32_e32 v84, v118, v12, vcc_lo
	v_cndmask_b32_e64 v12, 0, 1, vcc_lo
	s_delay_alu instid0(VALU_DEP_1)
	v_lshrrev_b64 v[12:13], v12, v[34:35]
; %bb.7897:                             ;   in Loop: Header=BB2_7634 Depth=2
	s_and_not1_saveexec_b32 s10, s10
; %bb.7898:                             ;   in Loop: Header=BB2_7634 Depth=2
	v_mov_b64_e32 v[12:13], v[34:35]
	v_bfe_u32 v84, v34, 23, 1
; %bb.7899:                             ;   in Loop: Header=BB2_7634 Depth=2
	s_or_b32 exec_lo, exec_lo, s10
	s_delay_alu instid0(VALU_DEP_2) | instskip(NEXT) | instid1(VALU_DEP_2)
	v_lshrrev_b64 v[12:13], 21, v[12:13]
	v_cmp_gt_i32_e32 vcc_lo, 32, v84
	v_cmp_ne_u32_e64 s10, 0, v84
	s_delay_alu instid0(VALU_DEP_3) | instskip(NEXT) | instid1(VALU_DEP_1)
	v_dual_cndmask_b32 v13, 0, v13 :: v_dual_cndmask_b32 v12, 3, v12
	v_cmp_ne_u64_e32 vcc_lo, 0, v[12:13]
                                        ; implicit-def: $vgpr13
	s_or_b32 s10, s10, vcc_lo
	s_delay_alu instid0(SALU_CYCLE_1) | instskip(NEXT) | instid1(SALU_CYCLE_1)
	s_and_saveexec_b32 s28, s10
	s_xor_b32 s10, exec_lo, s28
; %bb.7900:                             ;   in Loop: Header=BB2_7634 Depth=2
	v_min_i32_e32 v13, 31, v84
	s_delay_alu instid0(VALU_DEP_1) | instskip(NEXT) | instid1(VALU_DEP_1)
	v_lshl_or_b32 v13, v13, 2, v87
                                        ; implicit-def: $vgpr87
	v_and_or_b32 v13, v12, 3, v13
; %bb.7901:                             ;   in Loop: Header=BB2_7634 Depth=2
	s_and_not1_saveexec_b32 s10, s10
; %bb.7902:                             ;   in Loop: Header=BB2_7634 Depth=2
	v_mov_b32_e32 v13, v87
; %bb.7903:                             ;   in Loop: Header=BB2_7634 Depth=2
	s_or_b32 exec_lo, exec_lo, s10
.LBB2_7904:                             ;   in Loop: Header=BB2_7634 Depth=2
	s_delay_alu instid0(SALU_CYCLE_1)
	s_or_b32 exec_lo, exec_lo, s27
                                        ; implicit-def: $vgpr87
.LBB2_7905:                             ;   in Loop: Header=BB2_7634 Depth=2
	s_and_not1_saveexec_b32 s10, s26
; %bb.7906:                             ;   in Loop: Header=BB2_7634 Depth=2
	v_or_b32_e32 v13, 0x7b, v87
; %bb.7907:                             ;   in Loop: Header=BB2_7634 Depth=2
	s_or_b32 exec_lo, exec_lo, s10
                                        ; implicit-def: $vgpr12
.LBB2_7908:                             ;   in Loop: Header=BB2_7634 Depth=2
	s_and_not1_saveexec_b32 s10, s11
	s_cbranch_execz .LBB2_7633
; %bb.7909:                             ;   in Loop: Header=BB2_7634 Depth=2
	s_mov_b32 s11, exec_lo
                                        ; implicit-def: $vgpr13
	v_cmpx_ne_u64_e32 0, v[34:35]
	s_xor_b32 s11, exec_lo, s11
; %bb.7910:                             ;   in Loop: Header=BB2_7634 Depth=2
	v_lshrrev_b32_e32 v12, 24, v12
	s_delay_alu instid0(VALU_DEP_1)
	v_or_b32_e32 v13, 0x7f, v12
                                        ; implicit-def: $vgpr12
; %bb.7911:                             ;   in Loop: Header=BB2_7634 Depth=2
	s_and_not1_saveexec_b32 s11, s11
	s_cbranch_execz .LBB2_7632
; %bb.7912:                             ;   in Loop: Header=BB2_7634 Depth=2
	v_cmp_lt_i32_e32 vcc_lo, -1, v12
	v_cndmask_b32_e64 v13, -4, 0x7c, vcc_lo
	s_branch .LBB2_7632
.LBB2_7913:                             ;   in Loop: Header=BB2_6091 Depth=1
	s_or_b32 exec_lo, exec_lo, s25
.LBB2_7914:                             ;   in Loop: Header=BB2_6091 Depth=1
	s_delay_alu instid0(SALU_CYCLE_1) | instskip(SKIP_1) | instid1(VALU_DEP_1)
	s_or_b32 exec_lo, exec_lo, s24
	v_and_b32_e32 v12, 0xffffff00, v96
	v_cmp_ne_u32_e32 vcc_lo, v96, v12
	s_and_b32 exec_lo, exec_lo, vcc_lo
	s_cbranch_execz .LBB2_7960
; %bb.7915:                             ;   in Loop: Header=BB2_6091 Depth=1
	v_dual_lshlrev_b32 v10, 5, v71 :: v_dual_lshlrev_b32 v11, 5, v98
	s_delay_alu instid0(VALU_DEP_1) | instskip(NEXT) | instid1(VALU_DEP_1)
	v_sub_nc_u32_e32 v10, v97, v10
	v_sub_nc_u32_e32 v13, v10, v11
	v_and_b32_e32 v10, 0xff, v96
	s_delay_alu instid0(VALU_DEP_1) | instskip(NEXT) | instid1(VALU_DEP_1)
	v_sub_nc_u32_e32 v71, v10, v13
	v_cmp_lt_i32_e32 vcc_lo, 0, v71
	s_and_b32 exec_lo, exec_lo, vcc_lo
	s_cbranch_execz .LBB2_7960
; %bb.7916:                             ;   in Loop: Header=BB2_6091 Depth=1
	s_trap 2
	ds_load_b64 v[10:11], v0
	v_add3_u32 v12, v12, v30, v13
	s_mov_b32 s24, 0
	s_delay_alu instid0(VALU_DEP_1)
	v_ashrrev_i32_e32 v13, 31, v12
	s_branch .LBB2_7919
.LBB2_7917:                             ;   in Loop: Header=BB2_7919 Depth=2
	s_or_b32 exec_lo, exec_lo, s11
.LBB2_7918:                             ;   in Loop: Header=BB2_7919 Depth=2
	s_delay_alu instid0(SALU_CYCLE_1)
	s_or_b32 exec_lo, exec_lo, s10
	v_sub_nc_u32_e32 v71, v71, v52
	v_add_nc_u64_e32 v[12:13], v[12:13], v[52:53]
	flat_store_b8 v[80:81], v83 th:TH_STORE_NT
	v_cmp_gt_i32_e32 vcc_lo, 1, v71
	s_or_b32 s24, vcc_lo, s24
	s_wait_xcnt 0x0
	s_and_not1_b32 exec_lo, exec_lo, s24
	s_cbranch_execz .LBB2_7960
.LBB2_7919:                             ;   Parent Loop BB2_6091 Depth=1
                                        ; =>  This Inner Loop Header: Depth=2
	s_trap 2
	ds_load_b64 v[80:81], v0
	s_mov_b32 s25, 0
	s_wait_dscnt 0x0
	v_and_b32_e32 v30, 0xff, v80
	v_readfirstlane_b32 s10, v80
	v_readfirstlane_b32 s11, v81
	s_delay_alu instid0(VALU_DEP_3)
	v_cmp_eq_u32_e32 vcc_lo, 0, v30
	s_cbranch_vccnz .LBB2_7927
; %bb.7920:                             ;   in Loop: Header=BB2_7919 Depth=2
	s_bfe_i32 s27, s10, 0x80000
	s_delay_alu instid0(SALU_CYCLE_1) | instskip(NEXT) | instid1(SALU_CYCLE_1)
	s_and_b32 s25, 0xffff, s27
	s_cmp_eq_u32 s25, 0xff80
	s_brev_b32 s25, 1
	s_cbranch_scc1 .LBB2_7927
; %bb.7921:                             ;   in Loop: Header=BB2_7919 Depth=2
	s_and_b32 s25, s10, 0x7c
	s_and_b32 s26, s10, 3
	s_mov_b32 s28, -1
	s_cmp_lg_u32 s25, 0x7c
	s_sext_i32_i16 s27, s27
                                        ; implicit-def: $sgpr25
	s_cbranch_scc0 .LBB2_7925
; %bb.7922:                             ;   in Loop: Header=BB2_7919 Depth=2
	s_bfe_u32 s25, s10, 0x50002
	s_mov_b32 s28, s26
	s_cmp_lg_u32 s25, 0
	s_cbranch_scc1 .LBB2_7924
; %bb.7923:                             ;   in Loop: Header=BB2_7919 Depth=2
	s_clz_i32_u32 s25, s26
	s_delay_alu instid0(SALU_CYCLE_1) | instskip(NEXT) | instid1(SALU_CYCLE_1)
	s_min_u32 s25, s25, 32
	s_sub_co_i32 s28, s25, 29
	s_sub_co_i32 s25, 30, s25
	s_lshl_b64 s[10:11], s[10:11], s28
	s_delay_alu instid0(SALU_CYCLE_1)
	s_and_b32 s28, s10, 3
.LBB2_7924:                             ;   in Loop: Header=BB2_7919 Depth=2
	s_and_b32 s10, s27, 0x80000000
	s_lshl_b32 s11, s25, 23
	s_lshl_b32 s25, s28, 21
	s_add_co_i32 s11, s11, s10
	s_mov_b32 s28, 0
	s_or_b32 s10, s11, s25
	s_delay_alu instid0(SALU_CYCLE_1)
	s_add_co_i32 s25, s10, 0x38000000
.LBB2_7925:                             ;   in Loop: Header=BB2_7919 Depth=2
	s_and_b32 vcc_lo, exec_lo, s28
	s_cbranch_vccz .LBB2_7927
; %bb.7926:                             ;   in Loop: Header=BB2_7919 Depth=2
	s_cmp_gt_i32 s27, -1
	s_cselect_b32 s10, s20, 0xff800000
	s_cmp_eq_u32 s26, 0
	s_cselect_b32 s25, s10, 0x7f800001
.LBB2_7927:                             ;   in Loop: Header=BB2_7919 Depth=2
	v_add_nc_u64_e32 v[80:81], v[10:11], v[12:13]
	v_mov_b32_e32 v82, 0
	s_mov_b32 s10, exec_lo
	flat_load_i8 v34, v[80:81] th:TH_LOAD_NT
	s_wait_loadcnt_dscnt 0x0
	v_cmpx_ne_u16_e32 0, v34
	s_cbranch_execz .LBB2_7937
; %bb.7928:                             ;   in Loop: Header=BB2_7919 Depth=2
	v_bfrev_b32_e32 v82, 1
	s_mov_b32 s11, exec_lo
	v_cmpx_ne_u16_e32 0xff80, v34
	s_cbranch_execz .LBB2_7936
; %bb.7929:                             ;   in Loop: Header=BB2_7919 Depth=2
	v_and_b32_e32 v82, 0x7c, v34
	v_and_b32_e32 v30, 3, v34
	s_delay_alu instid0(VALU_DEP_2) | instskip(SKIP_1) | instid1(SALU_CYCLE_1)
	v_cmp_ne_u32_e32 vcc_lo, 0x7c, v82
                                        ; implicit-def: $vgpr82
	s_and_saveexec_b32 s26, vcc_lo
	s_xor_b32 s26, exec_lo, s26
	s_cbranch_execz .LBB2_7933
; %bb.7930:                             ;   in Loop: Header=BB2_7919 Depth=2
	v_and_b32_e32 v82, 0xff, v34
	s_mov_b32 s27, exec_lo
	s_delay_alu instid0(VALU_DEP_1) | instskip(NEXT) | instid1(VALU_DEP_1)
	v_bfe_u32 v82, v82, 2, 5
	v_cmpx_eq_u32_e32 0, v82
; %bb.7931:                             ;   in Loop: Header=BB2_7919 Depth=2
	v_clz_i32_u32_e32 v30, v30
	s_delay_alu instid0(VALU_DEP_1) | instskip(NEXT) | instid1(VALU_DEP_1)
	v_min_u32_e32 v30, 32, v30
	v_subrev_nc_u32_e32 v82, 29, v30
	s_delay_alu instid0(VALU_DEP_1) | instskip(NEXT) | instid1(VALU_DEP_1)
	v_lshlrev_b64_e32 v[84:85], v82, v[34:35]
	v_dual_sub_nc_u32 v82, 30, v30 :: v_dual_bitop2_b32 v30, 3, v84 bitop3:0x40
; %bb.7932:                             ;   in Loop: Header=BB2_7919 Depth=2
	s_or_b32 exec_lo, exec_lo, s27
	v_bfe_i32 v34, v34, 0, 16
	s_delay_alu instid0(VALU_DEP_1) | instskip(NEXT) | instid1(VALU_DEP_1)
	v_and_b32_e32 v34, 0x80000000, v34
	v_lshl_add_u32 v34, v82, 23, v34
	s_delay_alu instid0(VALU_DEP_1) | instskip(NEXT) | instid1(VALU_DEP_1)
	v_lshl_or_b32 v30, v30, 21, v34
	v_add_nc_u32_e32 v82, 0x38000000, v30
                                        ; implicit-def: $vgpr30
.LBB2_7933:                             ;   in Loop: Header=BB2_7919 Depth=2
	s_and_not1_saveexec_b32 s26, s26
; %bb.7934:                             ;   in Loop: Header=BB2_7919 Depth=2
	v_cmp_lt_i16_e32 vcc_lo, -1, v34
	v_cndmask_b32_e32 v34, 0xff800000, v103, vcc_lo
	v_cmp_eq_u32_e32 vcc_lo, 0, v30
	s_delay_alu instid0(VALU_DEP_2)
	v_cndmask_b32_e32 v82, 0x7f800001, v34, vcc_lo
; %bb.7935:                             ;   in Loop: Header=BB2_7919 Depth=2
	s_or_b32 exec_lo, exec_lo, s26
.LBB2_7936:                             ;   in Loop: Header=BB2_7919 Depth=2
	s_delay_alu instid0(SALU_CYCLE_1)
	s_or_b32 exec_lo, exec_lo, s11
.LBB2_7937:                             ;   in Loop: Header=BB2_7919 Depth=2
	s_delay_alu instid0(SALU_CYCLE_1) | instskip(NEXT) | instid1(VALU_DEP_1)
	s_or_b32 exec_lo, exec_lo, s10
	v_dual_mul_f32 v82, s25, v82 :: v_dual_mov_b32 v85, v35
                                        ; implicit-def: $vgpr83
	s_mov_b32 s10, exec_lo
	s_delay_alu instid0(VALU_DEP_1) | instskip(SKIP_1) | instid1(VALU_DEP_2)
	v_and_b32_e32 v84, 0x7f800000, v82
	v_and_b32_e32 v34, 0x7fffff, v82
	v_cmpx_ne_u64_e32 0x7f800000, v[84:85]
	s_xor_b32 s11, exec_lo, s10
	s_cbranch_execz .LBB2_7955
; %bb.7938:                             ;   in Loop: Header=BB2_7919 Depth=2
	v_dual_mov_b32 v85, v35 :: v_dual_lshrrev_b32 v30, 24, v82
	v_and_b32_e32 v84, 0x7fffffff, v82
                                        ; implicit-def: $vgpr83
	s_mov_b32 s10, exec_lo
	s_delay_alu instid0(VALU_DEP_2) | instskip(NEXT) | instid1(VALU_DEP_2)
	v_and_b32_e32 v30, 0x80, v30
	v_cmpx_gt_u64_e32 0x47600001, v[84:85]
	s_xor_b32 s25, exec_lo, s10
	s_cbranch_execz .LBB2_7952
; %bb.7939:                             ;   in Loop: Header=BB2_7919 Depth=2
	v_mov_b32_e32 v83, 0
	s_mov_b32 s26, exec_lo
	v_cmpx_ne_u32_e32 0, v82
	s_cbranch_execz .LBB2_7951
; %bb.7940:                             ;   in Loop: Header=BB2_7919 Depth=2
	v_bfe_u32 v86, v82, 23, 8
	v_or_b32_e32 v84, 0x800000, v34
	s_delay_alu instid0(VALU_DEP_2) | instskip(SKIP_1) | instid1(VALU_DEP_2)
	v_sub_nc_u32_e32 v82, 0x71, v86
	v_cmp_gt_u32_e32 vcc_lo, 0x72, v86
	v_cndmask_b32_e32 v82, 0, v82, vcc_lo
	v_cmp_eq_u32_e32 vcc_lo, 0, v86
	s_delay_alu instid0(VALU_DEP_2) | instskip(NEXT) | instid1(VALU_DEP_1)
	v_cndmask_b32_e64 v87, v82, 0x70, vcc_lo
	v_dual_cndmask_b32 v34, v84, v34, vcc_lo :: v_dual_add_nc_u32 v82, 21, v87
	v_add_nc_u32_e32 v85, 20, v87
	s_delay_alu instid0(VALU_DEP_2) | instskip(NEXT) | instid1(VALU_DEP_2)
	v_lshlrev_b64_e64 v[82:83], v82, -1
	v_lshlrev_b64_e64 v[84:85], v85, 1
	s_delay_alu instid0(VALU_DEP_2) | instskip(NEXT) | instid1(VALU_DEP_3)
	v_bfi_b32 v97, v83, 0, 0
	v_bfi_b32 v96, v82, 0, v34
	v_lshrrev_b64 v[82:83], v87, v[34:35]
	s_delay_alu instid0(VALU_DEP_2) | instskip(NEXT) | instid1(VALU_DEP_2)
	v_cmp_eq_u64_e64 s10, v[96:97], v[84:85]
	v_mov_b64_e32 v[84:85], v[82:83]
	s_and_saveexec_b32 s27, s10
; %bb.7941:                             ;   in Loop: Header=BB2_7919 Depth=2
	v_bfe_u32 v34, v82, 21, 1
	s_delay_alu instid0(VALU_DEP_1) | instskip(NEXT) | instid1(VALU_DEP_1)
	v_add_nc_u64_e32 v[84:85], v[82:83], v[34:35]
	v_add_nc_u64_e32 v[84:85], -1, v[84:85]
; %bb.7942:                             ;   in Loop: Header=BB2_7919 Depth=2
	s_or_b32 exec_lo, exec_lo, s27
	v_add_nc_u32_e32 v34, 0xffffff81, v86
	v_lshrrev_b32_e32 v83, 23, v82
	s_mov_b32 s10, exec_lo
	s_delay_alu instid0(VALU_DEP_2) | instskip(NEXT) | instid1(VALU_DEP_1)
	v_cndmask_b32_e64 v34, v34, 0xffffff82, vcc_lo
	v_add3_u32 v85, v87, v34, v83
	v_and_b32_e32 v34, 0x1fffff, v84
                                        ; implicit-def: $vgpr84
	s_delay_alu instid0(VALU_DEP_1) | instskip(NEXT) | instid1(VALU_DEP_1)
	v_dual_add_nc_u32 v86, 14, v85 :: v_dual_add_nc_u32 v34, v34, v82
                                        ; implicit-def: $vgpr82_vgpr83
	v_cmpx_ne_u32_e32 0, v86
	s_xor_b32 s10, exec_lo, s10
; %bb.7943:                             ;   in Loop: Header=BB2_7919 Depth=2
	s_delay_alu instid0(VALU_DEP_2) | instskip(SKIP_1) | instid1(VALU_DEP_1)
	v_cmp_lt_u64_e32 vcc_lo, 0xffffff, v[34:35]
	v_add_nc_u32_e32 v82, 15, v85
	v_cndmask_b32_e32 v84, v86, v82, vcc_lo
	v_cndmask_b32_e64 v82, 0, 1, vcc_lo
	s_delay_alu instid0(VALU_DEP_1)
	v_lshrrev_b64 v[82:83], v82, v[34:35]
; %bb.7944:                             ;   in Loop: Header=BB2_7919 Depth=2
	s_and_not1_saveexec_b32 s10, s10
; %bb.7945:                             ;   in Loop: Header=BB2_7919 Depth=2
	v_mov_b64_e32 v[82:83], v[34:35]
	v_bfe_u32 v84, v34, 23, 1
; %bb.7946:                             ;   in Loop: Header=BB2_7919 Depth=2
	s_or_b32 exec_lo, exec_lo, s10
	s_delay_alu instid0(VALU_DEP_2) | instskip(NEXT) | instid1(VALU_DEP_2)
	v_lshrrev_b64 v[82:83], 21, v[82:83]
	v_cmp_gt_i32_e32 vcc_lo, 32, v84
	v_cmp_ne_u32_e64 s10, 0, v84
	s_delay_alu instid0(VALU_DEP_3) | instskip(NEXT) | instid1(VALU_DEP_1)
	v_dual_cndmask_b32 v83, 0, v83 :: v_dual_cndmask_b32 v82, 3, v82
	v_cmp_ne_u64_e32 vcc_lo, 0, v[82:83]
                                        ; implicit-def: $vgpr83
	s_or_b32 s10, s10, vcc_lo
	s_delay_alu instid0(SALU_CYCLE_1) | instskip(NEXT) | instid1(SALU_CYCLE_1)
	s_and_saveexec_b32 s27, s10
	s_xor_b32 s10, exec_lo, s27
; %bb.7947:                             ;   in Loop: Header=BB2_7919 Depth=2
	v_min_i32_e32 v34, 31, v84
	s_delay_alu instid0(VALU_DEP_1) | instskip(NEXT) | instid1(VALU_DEP_1)
	v_lshl_or_b32 v30, v34, 2, v30
	v_and_or_b32 v83, v82, 3, v30
                                        ; implicit-def: $vgpr30
; %bb.7948:                             ;   in Loop: Header=BB2_7919 Depth=2
	s_and_not1_saveexec_b32 s10, s10
; %bb.7949:                             ;   in Loop: Header=BB2_7919 Depth=2
	v_mov_b32_e32 v83, v30
; %bb.7950:                             ;   in Loop: Header=BB2_7919 Depth=2
	s_or_b32 exec_lo, exec_lo, s10
.LBB2_7951:                             ;   in Loop: Header=BB2_7919 Depth=2
	s_delay_alu instid0(SALU_CYCLE_1)
	s_or_b32 exec_lo, exec_lo, s26
                                        ; implicit-def: $vgpr30
.LBB2_7952:                             ;   in Loop: Header=BB2_7919 Depth=2
	s_and_not1_saveexec_b32 s10, s25
; %bb.7953:                             ;   in Loop: Header=BB2_7919 Depth=2
	v_or_b32_e32 v83, 0x7b, v30
; %bb.7954:                             ;   in Loop: Header=BB2_7919 Depth=2
	s_or_b32 exec_lo, exec_lo, s10
                                        ; implicit-def: $vgpr82
.LBB2_7955:                             ;   in Loop: Header=BB2_7919 Depth=2
	s_and_not1_saveexec_b32 s10, s11
	s_cbranch_execz .LBB2_7918
; %bb.7956:                             ;   in Loop: Header=BB2_7919 Depth=2
	s_mov_b32 s11, exec_lo
                                        ; implicit-def: $vgpr83
	v_cmpx_ne_u64_e32 0, v[34:35]
	s_xor_b32 s11, exec_lo, s11
; %bb.7957:                             ;   in Loop: Header=BB2_7919 Depth=2
	v_lshrrev_b32_e32 v30, 24, v82
                                        ; implicit-def: $vgpr82
	s_delay_alu instid0(VALU_DEP_1)
	v_or_b32_e32 v83, 0x7f, v30
; %bb.7958:                             ;   in Loop: Header=BB2_7919 Depth=2
	s_and_not1_saveexec_b32 s11, s11
	s_cbranch_execz .LBB2_7917
; %bb.7959:                             ;   in Loop: Header=BB2_7919 Depth=2
	v_cmp_lt_i32_e32 vcc_lo, -1, v82
	v_cndmask_b32_e64 v83, -4, 0x7c, vcc_lo
	s_branch .LBB2_7917
.LBB2_7960:                             ;   in Loop: Header=BB2_6091 Depth=1
	s_or_b32 exec_lo, exec_lo, s23
	v_cmp_ne_u32_e64 s10, 0, v69
	s_and_saveexec_b32 s11, s2
	s_cbranch_execz .LBB2_7979
.LBB2_7961:                             ;   in Loop: Header=BB2_6091 Depth=1
	s_and_saveexec_b32 s23, s3
	s_delay_alu instid0(SALU_CYCLE_1)
	s_xor_b32 s23, exec_lo, s23
	s_cbranch_execz .LBB2_7976
; %bb.7962:                             ;   in Loop: Header=BB2_6091 Depth=1
	s_and_saveexec_b32 s24, s4
	s_cbranch_execz .LBB2_7975
; %bb.7963:                             ;   in Loop: Header=BB2_6091 Depth=1
	s_mov_b32 s26, exec_lo
	s_mov_b32 s25, exec_lo
	v_mbcnt_lo_u32_b32 v10, s26, 0
	global_wb scope:SCOPE_DEV
	s_wait_storecnt 0x0
	s_wait_loadcnt_dscnt 0x0
	global_inv scope:SCOPE_DEV
	v_cmpx_eq_u32_e32 0, v10
	s_cbranch_execz .LBB2_7965
; %bb.7964:                             ;   in Loop: Header=BB2_6091 Depth=1
	s_bcnt1_i32_b32 s26, s26
	s_delay_alu instid0(SALU_CYCLE_1)
	v_mov_b32_e32 v34, s26
	s_wait_loadcnt 0x0
	ds_add_u64 v0, v[34:35]
	s_trap 2
.LBB2_7965:                             ;   in Loop: Header=BB2_6091 Depth=1
	s_or_b32 exec_lo, exec_lo, s25
	s_trap 2
	ds_load_b64 v[10:11], v0
	s_wait_dscnt 0x0
	v_add_nc_u64_e32 v[24:25], v[24:25], v[36:37]
	s_mov_b32 s25, exec_lo
	s_delay_alu instid0(VALU_DEP_1)
	v_cmpx_lt_u64_e64 v[10:11], v[24:25]
	s_cbranch_execz .LBB2_7974
; %bb.7966:                             ;   in Loop: Header=BB2_6091 Depth=1
	s_mov_b32 s26, 0
	s_mov_b32 s29, 0
                                        ; implicit-def: $sgpr27
                                        ; implicit-def: $sgpr28
	s_branch .LBB2_7968
.LBB2_7967:                             ;   in Loop: Header=BB2_7968 Depth=2
	s_or_b32 exec_lo, exec_lo, s41
	s_delay_alu instid0(SALU_CYCLE_1) | instskip(NEXT) | instid1(SALU_CYCLE_1)
	s_and_b32 s40, exec_lo, s42
	s_or_b32 s26, s40, s26
	s_and_not1_b32 s27, s27, exec_lo
	s_and_b32 s40, s28, exec_lo
	s_delay_alu instid0(SALU_CYCLE_1)
	s_or_b32 s27, s27, s40
	s_and_not1_b32 exec_lo, exec_lo, s26
	s_cbranch_execz .LBB2_7972
.LBB2_7968:                             ;   Parent Loop BB2_6091 Depth=1
                                        ; =>  This Inner Loop Header: Depth=2
	s_add_co_i32 s29, s29, 1
	s_delay_alu instid0(SALU_CYCLE_1) | instskip(SKIP_1) | instid1(SALU_CYCLE_1)
	s_cmp_lg_u32 s29, 0x2710
	s_cselect_b32 s40, -1, 0
	s_and_b32 vcc_lo, exec_lo, s40
	s_cbranch_vccz .LBB2_7970
; %bb.7969:                             ;   in Loop: Header=BB2_7968 Depth=2
	s_mov_b32 s42, -1
	s_or_b32 s28, s28, exec_lo
	s_and_saveexec_b32 s41, s40
	s_cbranch_execz .LBB2_7967
	s_branch .LBB2_7971
.LBB2_7970:                             ;   in Loop: Header=BB2_7968 Depth=2
	s_trap 2
	ds_load_b64 v[10:11], v0
	s_and_not1_b32 s40, s40, exec_lo
	s_mov_b32 s29, 0
	s_wait_loadcnt_dscnt 0x0
	flat_load_b32 v10, v[10:11] scope:SCOPE_SYS
	s_wait_loadcnt_dscnt 0x0
	global_inv scope:SCOPE_SYS
	v_cmp_eq_u32_e32 vcc_lo, 0, v10
	s_and_b32 s41, vcc_lo, exec_lo
	s_delay_alu instid0(SALU_CYCLE_1)
	s_or_b32 s40, s40, s41
	s_mov_b32 s42, -1
	s_or_b32 s28, s28, exec_lo
	s_and_saveexec_b32 s41, s40
	s_cbranch_execz .LBB2_7967
.LBB2_7971:                             ;   in Loop: Header=BB2_7968 Depth=2
	s_sleep 1
	s_trap 2
	ds_load_b64 v[10:11], v0
	s_wait_dscnt 0x0
	s_and_not1_b32 s28, s28, exec_lo
	v_cmp_ge_u64_e32 vcc_lo, v[10:11], v[24:25]
	s_or_not1_b32 s42, vcc_lo, exec_lo
	s_branch .LBB2_7967
.LBB2_7972:                             ;   in Loop: Header=BB2_6091 Depth=1
	s_or_b32 exec_lo, exec_lo, s26
	s_and_saveexec_b32 s26, s27
	s_delay_alu instid0(SALU_CYCLE_1)
	s_xor_b32 s26, exec_lo, s26
	s_cbranch_execz .LBB2_7974
; %bb.7973:                             ;   in Loop: Header=BB2_6091 Depth=1
	ds_store_b32 v0, v102
	s_trap 2
.LBB2_7974:                             ;   in Loop: Header=BB2_6091 Depth=1
	s_or_b32 exec_lo, exec_lo, s25
	;;#ASMSTART
	s_wakeup
	;;#ASMEND
.LBB2_7975:                             ;   in Loop: Header=BB2_6091 Depth=1
	s_or_b32 exec_lo, exec_lo, s24
.LBB2_7976:                             ;   in Loop: Header=BB2_6091 Depth=1
	s_and_not1_saveexec_b32 s23, s23
	s_cbranch_execz .LBB2_7978
; %bb.7977:                             ;   in Loop: Header=BB2_6091 Depth=1
	global_wb scope:SCOPE_DEV
	s_wait_storecnt 0x0
	s_wait_loadcnt_dscnt 0x0
	global_inv scope:SCOPE_DEV
	s_barrier_signal -1
	s_barrier_wait -1
.LBB2_7978:                             ;   in Loop: Header=BB2_6091 Depth=1
	s_or_b32 exec_lo, exec_lo, s23
.LBB2_7979:                             ;   in Loop: Header=BB2_6091 Depth=1
	s_delay_alu instid0(SALU_CYCLE_1) | instskip(SKIP_1) | instid1(VALU_DEP_1)
	s_or_b32 exec_lo, exec_lo, s11
	v_and_b32_e32 v10, 16, v56
	v_cmp_ne_u32_e32 vcc_lo, 0, v10
	s_and_b32 s11, vcc_lo, s10
	s_delay_alu instid0(SALU_CYCLE_1)
	s_and_saveexec_b32 s10, s11
	s_cbranch_execz .LBB2_7981
; %bb.7980:                             ;   in Loop: Header=BB2_6091 Depth=1
	global_wb scope:SCOPE_SYS
	s_wait_storecnt 0x0
	s_wait_loadcnt_dscnt 0x0
	global_inv scope:SCOPE_SYS
.LBB2_7981:                             ;   in Loop: Header=BB2_6091 Depth=1
	s_or_b32 exec_lo, exec_lo, s10
	s_delay_alu instid0(SALU_CYCLE_1)
	s_mov_b32 s10, exec_lo
	v_cmpx_ne_u32_e32 0, v10
	s_cbranch_execz .LBB2_7985
; %bb.7982:                             ;   in Loop: Header=BB2_6091 Depth=1
	s_and_saveexec_b32 s11, s7
	s_cbranch_execz .LBB2_7984
; %bb.7983:                             ;   in Loop: Header=BB2_6091 Depth=1
	global_wb scope:SCOPE_SYS
	s_wait_storecnt 0x0
	s_wait_loadcnt_dscnt 0x0
	flat_store_b32 v[32:33], v102 scope:SCOPE_SYS
.LBB2_7984:                             ;   in Loop: Header=BB2_6091 Depth=1
	s_wait_xcnt 0x0
	s_or_b32 exec_lo, exec_lo, s11
	v_add_nc_u64_e32 v[8:9], 1, v[8:9]
	global_wb scope:SCOPE_SYS
	s_wait_storecnt 0x0
	s_wait_loadcnt_dscnt 0x0
	flat_store_b64 v[18:19], v[8:9] scope:SCOPE_SYS
.LBB2_7985:                             ;   in Loop: Header=BB2_6091 Depth=1
	s_wait_xcnt 0x0
	s_or_b32 exec_lo, exec_lo, s10
	v_mov_b32_e32 v10, v70
.LBB2_7986:                             ;   in Loop: Header=BB2_6091 Depth=1
	s_or_b32 exec_lo, exec_lo, s22
	s_and_saveexec_b32 s11, s21
	s_cbranch_execz .LBB2_6090
; %bb.7987:                             ;   in Loop: Header=BB2_6091 Depth=1
	s_delay_alu instid0(VALU_DEP_1) | instskip(SKIP_1) | instid1(VALU_DEP_1)
	v_dual_sub_nc_u32 v10, v68, v10 :: v_dual_bitop2_b32 v11, 8, v56 bitop3:0x40
	s_mov_b32 s21, exec_lo
	v_min_i32_e32 v10, v70, v10
	s_delay_alu instid0(VALU_DEP_2)
	v_cmpx_ne_u32_e32 0, v11
	s_cbranch_execz .LBB2_8009
; %bb.7988:                             ;   in Loop: Header=BB2_6091 Depth=1
	s_wait_loadcnt 0x0
	v_add_nc_u64_e32 v[68:69], 8, v[26:27]
	v_add_nc_u64_e32 v[12:13], 1, v[8:9]
	s_mov_b32 s22, exec_lo
	s_delay_alu instid0(VALU_DEP_1)
	v_cmpx_lt_u64_e64 v[68:69], v[12:13]
	s_cbranch_execz .LBB2_8000
; %bb.7989:                             ;   in Loop: Header=BB2_6091 Depth=1
	v_and_b32_e32 v9, 64, v56
	s_mov_b32 s23, 0
	s_mov_b32 s27, 0
                                        ; implicit-def: $sgpr24
                                        ; implicit-def: $sgpr25
                                        ; implicit-def: $sgpr26
	s_delay_alu instid0(VALU_DEP_1)
	v_cmp_eq_u32_e32 vcc_lo, 0, v9
	s_branch .LBB2_7992
.LBB2_7990:                             ;   in Loop: Header=BB2_7992 Depth=2
	s_or_b32 exec_lo, exec_lo, s42
	s_delay_alu instid0(SALU_CYCLE_1)
	s_and_not1_b32 s10, s26, exec_lo
	s_and_b32 s26, s40, exec_lo
	s_and_not1_b32 s25, s25, exec_lo
	s_and_b32 s29, s29, exec_lo
	s_or_b32 s26, s10, s26
	s_or_b32 s25, s25, s29
.LBB2_7991:                             ;   in Loop: Header=BB2_7992 Depth=2
	s_or_b32 exec_lo, exec_lo, s28
	s_delay_alu instid0(SALU_CYCLE_1) | instskip(NEXT) | instid1(SALU_CYCLE_1)
	s_and_b32 s10, exec_lo, s25
	s_or_b32 s23, s10, s23
	s_and_not1_b32 s10, s24, exec_lo
	s_and_b32 s24, s26, exec_lo
	s_delay_alu instid0(SALU_CYCLE_1)
	s_or_b32 s24, s10, s24
	s_and_not1_b32 exec_lo, exec_lo, s23
	s_cbranch_execz .LBB2_7997
.LBB2_7992:                             ;   Parent Loop BB2_6091 Depth=1
                                        ; =>  This Inner Loop Header: Depth=2
	s_sleep 1
	s_wait_loadcnt_dscnt 0x0
	flat_load_b64 v[26:27], v[18:19] scope:SCOPE_SYS
	s_or_b32 s26, s26, exec_lo
	s_or_b32 s25, s25, exec_lo
                                        ; implicit-def: $vgpr9
	s_wait_xcnt 0x0
	s_and_saveexec_b32 s28, vcc_lo
	s_cbranch_execz .LBB2_7991
; %bb.7993:                             ;   in Loop: Header=BB2_7992 Depth=2
	s_cmp_lt_i32 s27, 0x270f
	s_mov_b32 s29, -1
	s_cselect_b32 s41, -1, 0
	s_cmp_gt_i32 s27, 0x270e
	s_cbranch_scc0 .LBB2_7995
; %bb.7994:                             ;   in Loop: Header=BB2_7992 Depth=2
	s_trap 2
	ds_load_b64 v[68:69], v0
	s_and_not1_b32 s27, s41, exec_lo
	s_mov_b32 s40, 0
	s_wait_storecnt 0x0
	s_wait_loadcnt_dscnt 0x0
	flat_load_b32 v9, v[68:69] scope:SCOPE_SYS
	s_wait_loadcnt_dscnt 0x0
	global_inv scope:SCOPE_SYS
	v_cmp_eq_u32_e64 s10, 0, v9
	s_and_b32 s10, s10, exec_lo
	s_delay_alu instid0(SALU_CYCLE_1)
	s_or_b32 s41, s27, s10
	s_mov_b32 s27, 0
	s_and_saveexec_b32 s42, s41
	s_cbranch_execz .LBB2_7990
	s_branch .LBB2_7996
.LBB2_7995:                             ;   in Loop: Header=BB2_7992 Depth=2
	s_add_co_i32 s27, s27, 1
	s_mov_b32 s40, -1
                                        ; implicit-def: $vgpr9
	s_and_saveexec_b32 s42, s41
	s_cbranch_execz .LBB2_7990
.LBB2_7996:                             ;   in Loop: Header=BB2_7992 Depth=2
	s_wait_loadcnt_dscnt 0x0
	v_add_nc_u64_e32 v[68:69], 8, v[26:27]
	s_or_b32 s40, s40, exec_lo
	s_delay_alu instid0(VALU_DEP_1)
	v_cmp_ge_u64_e64 s10, v[68:69], v[12:13]
	s_or_not1_b32 s29, s10, exec_lo
	s_branch .LBB2_7990
.LBB2_7997:                             ;   in Loop: Header=BB2_6091 Depth=1
	s_or_b32 exec_lo, exec_lo, s23
	s_xor_b32 s10, s24, -1
	s_delay_alu instid0(SALU_CYCLE_1) | instskip(NEXT) | instid1(SALU_CYCLE_1)
	s_and_saveexec_b32 s23, s10
	s_xor_b32 s10, exec_lo, s23
	s_cbranch_execz .LBB2_7999
; %bb.7998:                             ;   in Loop: Header=BB2_6091 Depth=1
	v_or_b32_e32 v56, 64, v56
	s_wait_storecnt 0x0
	s_wait_loadcnt_dscnt 0x0
	ds_store_b32 v0, v9
	s_trap 2
.LBB2_7999:                             ;   in Loop: Header=BB2_6091 Depth=1
	s_or_b32 exec_lo, exec_lo, s10
.LBB2_8000:                             ;   in Loop: Header=BB2_6091 Depth=1
	s_delay_alu instid0(SALU_CYCLE_1) | instskip(SKIP_4) | instid1(VALU_DEP_2)
	s_or_b32 exec_lo, exec_lo, s22
	v_and_b32_e32 v9, 0x100, v56
	v_and_b32_e32 v34, 7, v8
	s_mov_b32 s10, -1
	;;#ASMSTART
	s_wakeup
	;;#ASMEND
	v_cmp_ne_u32_e32 vcc_lo, 0, v9
                                        ; implicit-def: $vgpr8_vgpr9
	s_and_saveexec_b32 s22, vcc_lo
	s_cbranch_execz .LBB2_8004
; %bb.8001:                             ;   in Loop: Header=BB2_6091 Depth=1
	v_mad_nc_u64_u32 v[68:69], v34, 24, v[6:7]
	v_ashrrev_i32_e32 v11, 31, v10
	s_clause 0x1
	flat_load_b32 v8, v[68:69]
	flat_store_b64 v[68:69], v[10:11] offset:8
	s_wait_loadcnt_dscnt 0x1
	v_cmp_eq_u32_e64 s10, 1, v8
	v_cmp_ne_u32_e32 vcc_lo, 1, v8
                                        ; implicit-def: $vgpr8_vgpr9
	s_wait_xcnt 0x0
	s_and_saveexec_b32 s23, s10
	s_cbranch_execz .LBB2_8003
; %bb.8002:                             ;   in Loop: Header=BB2_6091 Depth=1
	flat_load_b32 v8, v[68:69] offset:4 scope:SCOPE_SYS
	s_wait_loadcnt_dscnt 0x0
	v_ashrrev_i32_e32 v9, 31, v8
.LBB2_8003:                             ;   in Loop: Header=BB2_6091 Depth=1
	s_wait_xcnt 0x0
	s_or_b32 exec_lo, exec_lo, s23
	s_delay_alu instid0(SALU_CYCLE_1)
	s_or_not1_b32 s10, vcc_lo, exec_lo
.LBB2_8004:                             ;   in Loop: Header=BB2_6091 Depth=1
	s_or_b32 exec_lo, exec_lo, s22
	s_and_saveexec_b32 s22, s10
; %bb.8005:                             ;   in Loop: Header=BB2_6091 Depth=1
	v_mul_u64_e32 v[8:9], v[34:35], v[20:21]
; %bb.8006:                             ;   in Loop: Header=BB2_6091 Depth=1
	s_or_b32 exec_lo, exec_lo, s22
	s_delay_alu instid0(VALU_DEP_1)
	v_add_nc_u64_e32 v[8:9], v[22:23], v[8:9]
	v_and_b32_e32 v11, 0x2000, v56
	s_mov_b32 s10, exec_lo
	ds_store_b64 v0, v[8:9] offset:784
	v_cmpx_ne_u32_e32 0, v11
	s_cbranch_execz .LBB2_8008
; %bb.8007:                             ;   in Loop: Header=BB2_6091 Depth=1
	ds_load_b64 v[8:9], v0 offset:872
	s_wait_dscnt 0x0
	v_add_nc_u64_e32 v[8:9], 1, v[8:9]
	ds_store_b64 v0, v[8:9] offset:872
.LBB2_8008:                             ;   in Loop: Header=BB2_6091 Depth=1
	s_or_b32 exec_lo, exec_lo, s10
	v_mov_b64_e32 v[8:9], v[12:13]
.LBB2_8009:                             ;   in Loop: Header=BB2_6091 Depth=1
	s_or_b32 exec_lo, exec_lo, s21
	s_and_saveexec_b32 s10, s2
	s_cbranch_execz .LBB2_8028
; %bb.8010:                             ;   in Loop: Header=BB2_6091 Depth=1
	s_and_saveexec_b32 s21, s3
	s_delay_alu instid0(SALU_CYCLE_1)
	s_xor_b32 s21, exec_lo, s21
	s_cbranch_execz .LBB2_8025
; %bb.8011:                             ;   in Loop: Header=BB2_6091 Depth=1
	s_and_saveexec_b32 s22, s4
	s_cbranch_execz .LBB2_8024
; %bb.8012:                             ;   in Loop: Header=BB2_6091 Depth=1
	s_mov_b32 s24, exec_lo
	s_mov_b32 s23, exec_lo
	v_mbcnt_lo_u32_b32 v11, s24, 0
	global_wb scope:SCOPE_DEV
	s_wait_storecnt 0x0
	s_wait_loadcnt_dscnt 0x0
	global_inv scope:SCOPE_DEV
	v_cmpx_eq_u32_e32 0, v11
	s_cbranch_execz .LBB2_8014
; %bb.8013:                             ;   in Loop: Header=BB2_6091 Depth=1
	s_bcnt1_i32_b32 s24, s24
	s_delay_alu instid0(SALU_CYCLE_1)
	v_mov_b32_e32 v34, s24
	s_wait_loadcnt 0x0
	ds_add_u64 v0, v[34:35]
	s_trap 2
.LBB2_8014:                             ;   in Loop: Header=BB2_6091 Depth=1
	s_or_b32 exec_lo, exec_lo, s23
	s_trap 2
	ds_load_b64 v[12:13], v0
	s_wait_dscnt 0x0
	v_add_nc_u64_e32 v[24:25], v[24:25], v[36:37]
	s_mov_b32 s23, exec_lo
	s_delay_alu instid0(VALU_DEP_1)
	v_cmpx_lt_u64_e64 v[12:13], v[24:25]
	s_cbranch_execz .LBB2_8023
; %bb.8015:                             ;   in Loop: Header=BB2_6091 Depth=1
	s_mov_b32 s24, 0
	s_mov_b32 s27, 0
                                        ; implicit-def: $sgpr25
                                        ; implicit-def: $sgpr26
	s_branch .LBB2_8017
.LBB2_8016:                             ;   in Loop: Header=BB2_8017 Depth=2
	s_or_b32 exec_lo, exec_lo, s29
	s_delay_alu instid0(SALU_CYCLE_1) | instskip(NEXT) | instid1(SALU_CYCLE_1)
	s_and_b32 s28, exec_lo, s40
	s_or_b32 s24, s28, s24
	s_and_not1_b32 s25, s25, exec_lo
	s_and_b32 s28, s26, exec_lo
	s_delay_alu instid0(SALU_CYCLE_1)
	s_or_b32 s25, s25, s28
	s_and_not1_b32 exec_lo, exec_lo, s24
	s_cbranch_execz .LBB2_8021
.LBB2_8017:                             ;   Parent Loop BB2_6091 Depth=1
                                        ; =>  This Inner Loop Header: Depth=2
	s_add_co_i32 s27, s27, 1
	s_delay_alu instid0(SALU_CYCLE_1) | instskip(SKIP_1) | instid1(SALU_CYCLE_1)
	s_cmp_lg_u32 s27, 0x2710
	s_cselect_b32 s28, -1, 0
	s_and_b32 vcc_lo, exec_lo, s28
	s_cbranch_vccz .LBB2_8019
; %bb.8018:                             ;   in Loop: Header=BB2_8017 Depth=2
	s_mov_b32 s40, -1
	s_or_b32 s26, s26, exec_lo
	s_and_saveexec_b32 s29, s28
	s_cbranch_execz .LBB2_8016
	s_branch .LBB2_8020
.LBB2_8019:                             ;   in Loop: Header=BB2_8017 Depth=2
	s_trap 2
	ds_load_b64 v[12:13], v0
	s_and_not1_b32 s28, s28, exec_lo
	s_mov_b32 s27, 0
	s_wait_loadcnt_dscnt 0x0
	flat_load_b32 v11, v[12:13] scope:SCOPE_SYS
	s_wait_loadcnt_dscnt 0x0
	global_inv scope:SCOPE_SYS
	v_cmp_eq_u32_e32 vcc_lo, 0, v11
	s_and_b32 s29, vcc_lo, exec_lo
	s_delay_alu instid0(SALU_CYCLE_1)
	s_or_b32 s28, s28, s29
	s_mov_b32 s40, -1
	s_or_b32 s26, s26, exec_lo
	s_and_saveexec_b32 s29, s28
	s_cbranch_execz .LBB2_8016
.LBB2_8020:                             ;   in Loop: Header=BB2_8017 Depth=2
	s_sleep 1
	s_trap 2
	ds_load_b64 v[12:13], v0
	s_wait_dscnt 0x0
	s_and_not1_b32 s26, s26, exec_lo
	v_cmp_ge_u64_e32 vcc_lo, v[12:13], v[24:25]
	s_or_not1_b32 s40, vcc_lo, exec_lo
	s_branch .LBB2_8016
.LBB2_8021:                             ;   in Loop: Header=BB2_6091 Depth=1
	s_or_b32 exec_lo, exec_lo, s24
	s_and_saveexec_b32 s24, s25
	s_delay_alu instid0(SALU_CYCLE_1)
	s_xor_b32 s24, exec_lo, s24
	s_cbranch_execz .LBB2_8023
; %bb.8022:                             ;   in Loop: Header=BB2_6091 Depth=1
	ds_store_b32 v0, v102
	s_trap 2
.LBB2_8023:                             ;   in Loop: Header=BB2_6091 Depth=1
	s_or_b32 exec_lo, exec_lo, s23
	;;#ASMSTART
	s_wakeup
	;;#ASMEND
.LBB2_8024:                             ;   in Loop: Header=BB2_6091 Depth=1
	s_or_b32 exec_lo, exec_lo, s22
.LBB2_8025:                             ;   in Loop: Header=BB2_6091 Depth=1
	s_and_not1_saveexec_b32 s21, s21
	s_cbranch_execz .LBB2_8027
; %bb.8026:                             ;   in Loop: Header=BB2_6091 Depth=1
	global_wb scope:SCOPE_DEV
	s_wait_storecnt 0x0
	s_wait_loadcnt_dscnt 0x0
	global_inv scope:SCOPE_DEV
	s_barrier_signal -1
	s_barrier_wait -1
.LBB2_8027:                             ;   in Loop: Header=BB2_6091 Depth=1
	s_or_b32 exec_lo, exec_lo, s21
.LBB2_8028:                             ;   in Loop: Header=BB2_6091 Depth=1
	s_delay_alu instid0(SALU_CYCLE_1)
	s_or_b32 exec_lo, exec_lo, s10
	s_trap 2
	ds_load_b32 v11, v0
	v_cmp_lt_i32_e32 vcc_lo, 0, v10
	s_wait_dscnt 0x0
	v_readfirstlane_b32 s10, v11
	v_and_b32_e32 v11, 16, v56
	s_cmp_eq_u32 s10, 0
	s_delay_alu instid0(VALU_DEP_1) | instskip(SKIP_1) | instid1(SALU_CYCLE_1)
	v_cmp_ne_u32_e64 s10, 0, v11
	s_cselect_b32 s21, -1, 0
	s_and_b32 s21, vcc_lo, s21
	s_delay_alu instid0(SALU_CYCLE_1) | instskip(NEXT) | instid1(SALU_CYCLE_1)
	s_and_b32 s21, s10, s21
	s_and_saveexec_b32 s10, s21
	s_cbranch_execz .LBB2_8030
; %bb.8029:                             ;   in Loop: Header=BB2_6091 Depth=1
	global_wb scope:SCOPE_SYS
	s_wait_loadcnt 0x0
	s_wait_storecnt 0x0
	global_inv scope:SCOPE_SYS
.LBB2_8030:                             ;   in Loop: Header=BB2_6091 Depth=1
	s_or_b32 exec_lo, exec_lo, s10
	s_delay_alu instid0(SALU_CYCLE_1)
	s_mov_b32 s10, exec_lo
	v_cmpx_ne_u32_e32 0, v11
	s_cbranch_execz .LBB2_6089
; %bb.8031:                             ;   in Loop: Header=BB2_6091 Depth=1
	s_and_saveexec_b32 s21, s7
	s_cbranch_execz .LBB2_6088
; %bb.8032:                             ;   in Loop: Header=BB2_6091 Depth=1
	global_wb scope:SCOPE_SYS
	s_wait_loadcnt 0x0
	s_wait_storecnt 0x0
	flat_store_b32 v[32:33], v102 scope:SCOPE_SYS
	s_branch .LBB2_6088
.LBB2_8033:
	s_or_b32 exec_lo, exec_lo, s18
.LBB2_8034:
	s_delay_alu instid0(SALU_CYCLE_1)
	s_or_b32 exec_lo, exec_lo, s17
.LBB2_8035:
	s_delay_alu instid0(SALU_CYCLE_1) | instskip(SKIP_2) | instid1(VALU_DEP_1)
	s_or_b32 exec_lo, exec_lo, s16
	v_and_b32_e32 v0, 0x800, v56
	s_mov_b32 s1, exec_lo
	v_cmpx_eq_u32_e32 0, v0
	s_cbranch_execz .LBB2_8068
; %bb.8036:
	v_and_b32_e32 v0, 48, v56
	s_mov_b32 s0, exec_lo
	s_delay_alu instid0(VALU_DEP_1)
	v_cmpx_ne_u32_e32 0, v0
	s_cbranch_execz .LBB2_8038
; %bb.8037:
	flat_store_b64 v[16:17], v[8:9] offset:104
.LBB2_8038:
	s_wait_xcnt 0x0
	s_or_b32 exec_lo, exec_lo, s0
	v_and_b32_e32 v0, 0x88, v56
	s_mov_b32 s2, exec_lo
	s_delay_alu instid0(VALU_DEP_1)
	v_cmpx_eq_u32_e32 0x88, v0
	s_cbranch_execz .LBB2_8048
; %bb.8039:
	v_add_nc_u32_e32 v0, -1, v8
	s_mov_b32 s3, 0
	s_delay_alu instid0(VALU_DEP_1) | instskip(NEXT) | instid1(VALU_DEP_1)
	v_and_b32_e32 v0, 7, v0
	v_mad_nc_u64_u32 v[4:5], v0, 24, v[6:7]
	v_and_b32_e32 v0, 64, v56
	s_delay_alu instid0(VALU_DEP_1)
	v_cmp_eq_u32_e64 s0, 0, v0
	flat_load_b64 v[6:7], v[4:5] offset:8 scope:SCOPE_SYS
	s_wait_loadcnt_dscnt 0x0
	v_cmp_ne_u64_e32 vcc_lo, -1, v[6:7]
	s_and_b32 s0, vcc_lo, s0
	s_wait_xcnt 0x0
	s_and_b32 exec_lo, exec_lo, s0
	s_cbranch_execz .LBB2_8048
; %bb.8040:
	s_mov_b32 s5, 0
                                        ; implicit-def: $sgpr0
                                        ; implicit-def: $sgpr4
	s_branch .LBB2_8042
.LBB2_8041:                             ;   in Loop: Header=BB2_8042 Depth=1
	s_wait_xcnt 0x0
	s_or_b32 exec_lo, exec_lo, s10
	s_delay_alu instid0(SALU_CYCLE_1) | instskip(NEXT) | instid1(SALU_CYCLE_1)
	s_and_b32 s6, exec_lo, s7
	s_or_b32 s3, s6, s3
	s_and_not1_b32 s0, s0, exec_lo
	s_and_b32 s6, s4, exec_lo
	s_delay_alu instid0(SALU_CYCLE_1)
	s_or_b32 s0, s0, s6
	s_and_not1_b32 exec_lo, exec_lo, s3
	s_cbranch_execz .LBB2_8046
.LBB2_8042:                             ; =>This Inner Loop Header: Depth=1
	s_cmp_lt_i32 s5, 0x270f
	s_cselect_b32 s6, -1, 0
	s_delay_alu instid0(SALU_CYCLE_1)
	s_and_b32 vcc_lo, exec_lo, s6
	s_cbranch_vccnz .LBB2_8044
; %bb.8043:                             ;   in Loop: Header=BB2_8042 Depth=1
	s_trap 2
	ds_load_b64 v[6:7], v0
	s_and_not1_b32 s6, s6, exec_lo
	s_mov_b32 s5, 0
	s_wait_storecnt_dscnt 0x0
	flat_load_b32 v0, v[6:7] scope:SCOPE_SYS
	s_wait_loadcnt_dscnt 0x0
	global_inv scope:SCOPE_SYS
	v_cmp_eq_u32_e32 vcc_lo, 0, v0
	s_and_b32 s7, vcc_lo, exec_lo
	s_delay_alu instid0(SALU_CYCLE_1)
	s_or_b32 s6, s6, s7
	s_mov_b32 s7, -1
	s_or_b32 s4, s4, exec_lo
	s_wait_xcnt 0x0
	s_and_saveexec_b32 s10, s6
	s_cbranch_execz .LBB2_8041
	s_branch .LBB2_8045
.LBB2_8044:                             ;   in Loop: Header=BB2_8042 Depth=1
	s_add_co_i32 s5, s5, 1
                                        ; implicit-def: $vgpr0
	s_mov_b32 s7, -1
	s_or_b32 s4, s4, exec_lo
	s_and_saveexec_b32 s10, s6
	s_cbranch_execz .LBB2_8041
.LBB2_8045:                             ;   in Loop: Header=BB2_8042 Depth=1
	flat_load_b64 v[6:7], v[4:5] offset:8 scope:SCOPE_SYS
	s_wait_loadcnt 0x0
	s_and_not1_b32 s4, s4, exec_lo
	s_wait_dscnt 0x0
	v_cmp_eq_u64_e32 vcc_lo, -1, v[6:7]
	s_or_not1_b32 s7, vcc_lo, exec_lo
	s_branch .LBB2_8041
.LBB2_8046:
	s_or_b32 exec_lo, exec_lo, s3
	s_and_saveexec_b32 s3, s0
	s_delay_alu instid0(SALU_CYCLE_1)
	s_xor_b32 s3, exec_lo, s3
	s_cbranch_execz .LBB2_8048
; %bb.8047:
	s_wait_loadcnt 0x0
	s_wait_storecnt 0x0
	ds_store_b32 v0, v0
	s_trap 2
.LBB2_8048:
	s_or_b32 exec_lo, exec_lo, s2
	v_and_b32_e32 v0, 0x2000, v56
	s_mov_b32 s0, exec_lo
	s_delay_alu instid0(VALU_DEP_1)
	v_cmpx_ne_u32_e32 0, v0
	s_cbranch_execz .LBB2_8050
; %bb.8049:
	s_trap 2
	ds_load_b64 v[4:5], v0
	s_wait_dscnt 0x0
	flat_store_b64 v[2:3], v[4:5] offset:16
.LBB2_8050:
	s_wait_xcnt 0x0
	s_or_b32 exec_lo, exec_lo, s0
	v_cmp_ne_u32_e32 vcc_lo, 32, v1
	s_and_b32 exec_lo, exec_lo, vcc_lo
	s_cbranch_execz .LBB2_8068
; %bb.8051:
	s_mov_b32 s0, exec_lo
	v_cmpx_ne_u32_e64 v1, v57
	s_xor_b32 s0, exec_lo, s0
	s_cbranch_execz .LBB2_8066
; %bb.8052:
	v_and_b32_e32 v0, 31, v31
	s_mov_b32 s2, exec_lo
	s_delay_alu instid0(VALU_DEP_1)
	v_cmpx_eq_u32_e32 0, v0
	s_cbranch_execz .LBB2_8065
; %bb.8053:
	s_mov_b32 s4, exec_lo
	s_mov_b32 s3, exec_lo
	v_mbcnt_lo_u32_b32 v0, s4, 0
	global_wb scope:SCOPE_DEV
	s_wait_storecnt 0x0
	s_wait_loadcnt_dscnt 0x0
	global_inv scope:SCOPE_DEV
	v_cmpx_eq_u32_e32 0, v0
	s_cbranch_execz .LBB2_8055
; %bb.8054:
	s_bcnt1_i32_b32 s4, s4
	s_delay_alu instid0(SALU_CYCLE_1)
	v_dual_mov_b32 v3, 0 :: v_dual_mov_b32 v2, s4
	s_wait_loadcnt 0x0
	ds_add_u64 v0, v[2:3]
	s_trap 2
.LBB2_8055:
	s_or_b32 exec_lo, exec_lo, s3
	s_trap 2
	ds_load_b64 v[2:3], v0
	s_wait_dscnt 0x0
	v_dual_mov_b32 v1, 0 :: v_dual_lshrrev_b32 v0, 5, v1
	s_mov_b32 s3, exec_lo
	s_delay_alu instid0(VALU_DEP_1) | instskip(NEXT) | instid1(VALU_DEP_1)
	v_add_nc_u64_e32 v[0:1], v[24:25], v[0:1]
	v_cmpx_lt_u64_e64 v[2:3], v[0:1]
	s_cbranch_execz .LBB2_8064
; %bb.8056:
	s_mov_b32 s4, 0
	s_mov_b32 s7, 0
                                        ; implicit-def: $sgpr5
                                        ; implicit-def: $sgpr6
	s_branch .LBB2_8058
.LBB2_8057:                             ;   in Loop: Header=BB2_8058 Depth=1
	s_or_b32 exec_lo, exec_lo, s11
	s_delay_alu instid0(SALU_CYCLE_1) | instskip(NEXT) | instid1(SALU_CYCLE_1)
	s_and_b32 s10, exec_lo, s12
	s_or_b32 s4, s10, s4
	s_and_not1_b32 s5, s5, exec_lo
	s_and_b32 s10, s6, exec_lo
	s_delay_alu instid0(SALU_CYCLE_1)
	s_or_b32 s5, s5, s10
	s_and_not1_b32 exec_lo, exec_lo, s4
	s_cbranch_execz .LBB2_8062
.LBB2_8058:                             ; =>This Inner Loop Header: Depth=1
	s_add_co_i32 s7, s7, 1
	s_delay_alu instid0(SALU_CYCLE_1) | instskip(SKIP_1) | instid1(SALU_CYCLE_1)
	s_cmp_lg_u32 s7, 0x2710
	s_cselect_b32 s10, -1, 0
	s_and_b32 vcc_lo, exec_lo, s10
	s_cbranch_vccz .LBB2_8060
; %bb.8059:                             ;   in Loop: Header=BB2_8058 Depth=1
	s_mov_b32 s12, -1
	s_or_b32 s6, s6, exec_lo
	s_and_saveexec_b32 s11, s10
	s_cbranch_execz .LBB2_8057
	s_branch .LBB2_8061
.LBB2_8060:                             ;   in Loop: Header=BB2_8058 Depth=1
	s_trap 2
	ds_load_b64 v[2:3], v0
	s_and_not1_b32 s10, s10, exec_lo
	s_mov_b32 s7, 0
	s_wait_loadcnt_dscnt 0x0
	flat_load_b32 v2, v[2:3] scope:SCOPE_SYS
	s_wait_loadcnt_dscnt 0x0
	global_inv scope:SCOPE_SYS
	v_cmp_eq_u32_e32 vcc_lo, 0, v2
	s_and_b32 s11, vcc_lo, exec_lo
	s_delay_alu instid0(SALU_CYCLE_1)
	s_or_b32 s10, s10, s11
	s_mov_b32 s12, -1
	s_or_b32 s6, s6, exec_lo
	s_and_saveexec_b32 s11, s10
	s_cbranch_execz .LBB2_8057
.LBB2_8061:                             ;   in Loop: Header=BB2_8058 Depth=1
	s_sleep 1
	s_trap 2
	ds_load_b64 v[2:3], v0
	s_wait_dscnt 0x0
	s_and_not1_b32 s6, s6, exec_lo
	v_cmp_ge_u64_e32 vcc_lo, v[2:3], v[0:1]
	s_or_not1_b32 s12, vcc_lo, exec_lo
	s_branch .LBB2_8057
.LBB2_8062:
	s_or_b32 exec_lo, exec_lo, s4
	s_and_saveexec_b32 s4, s5
	s_delay_alu instid0(SALU_CYCLE_1)
	s_xor_b32 s4, exec_lo, s4
	s_cbranch_execz .LBB2_8064
; %bb.8063:
	v_mov_b32_e32 v0, 1
	ds_store_b32 v0, v0
	s_trap 2
.LBB2_8064:
	s_or_b32 exec_lo, exec_lo, s3
	;;#ASMSTART
	s_wakeup
	;;#ASMEND
.LBB2_8065:
	s_or_b32 exec_lo, exec_lo, s2
.LBB2_8066:
	s_and_not1_saveexec_b32 s0, s0
	s_cbranch_execz .LBB2_8068
; %bb.8067:
	global_wb scope:SCOPE_DEV
	s_wait_storecnt 0x0
	s_wait_loadcnt_dscnt 0x0
	global_inv scope:SCOPE_DEV
	s_barrier_signal -1
	s_barrier_wait -1
.LBB2_8068:
	s_or_b32 exec_lo, exec_lo, s1
.LBB2_8069:
	s_and_not1_saveexec_b32 s21, s14
	s_cbranch_execz .LBB2_8071
; %bb.8070:
	s_get_pc_i64 s[0:1]
	s_add_nc_u64 s[0:1], s[0:1], __PRETTY_FUNCTION__._ZN10PrimitivesI14__hip_fp8_e5m213FuncPreMulSumIS0_E12FanSymmetricILi1EELi0E11ProtoSimpleILi1ELi1ELi0ELi1ELi0ELi0EELi0ELb0ELi0ELi0ELi0EEC2EiiPKiS9_PKvPvmhhhP15ncclDevWorkCollP14ncclDevWorkP2pii@rel64+4
	s_get_pc_i64 s[2:3]
	s_add_nc_u64 s[2:3], s[2:3], __assert_fail@rel64+4
	v_dual_mov_b32 v0, s0 :: v_dual_mov_b32 v1, s1
	s_swap_pc_i64 s[30:31], s[2:3]
	; divergent unreachable
.LBB2_8071:
	s_or_b32 exec_lo, exec_lo, s21
	s_clause 0x19
	scratch_load_b32 v89, off, s33
	scratch_load_b32 v88, off, s33 offset:4
	scratch_load_b32 v79, off, s33 offset:8
	;; [unrolled: 1-line block ×25, first 2 shown]
	v_readlane_b32 s30, v90, 0
	v_readlane_b32 s31, v90, 1
	s_mov_b32 s32, s33
	s_wait_xcnt 0x0
	s_or_saveexec_b32 s0, -1
	scratch_load_b32 v90, off, s33 offset:104 ; 4-byte Folded Reload
	s_wait_xcnt 0x0
	s_mov_b32 exec_lo, s0
	s_mov_b32 s33, s46
	s_wait_loadcnt_dscnt 0x0
	s_set_pc_i64 s[30:31]
.Lfunc_end2:
	.size	_ZN12_GLOBAL__N_17runRingI14__hip_fp8_e5m213FuncPreMulSumIS1_E11ProtoSimpleILi1ELi1ELi0ELi1ELi0ELi0EELi0ELi1ELi0EEEviiP15ncclDevWorkColl, .Lfunc_end2-_ZN12_GLOBAL__N_17runRingI14__hip_fp8_e5m213FuncPreMulSumIS1_E11ProtoSimpleILi1ELi1ELi0ELi1ELi0ELi0EELi0ELi1ELi0EEEviiP15ncclDevWorkColl
                                        ; -- End function
	.set .L_ZN12_GLOBAL__N_17runRingI14__hip_fp8_e5m213FuncPreMulSumIS1_E11ProtoSimpleILi1ELi1ELi0ELi1ELi0ELi0EELi0ELi1ELi0EEEviiP15ncclDevWorkColl.num_vgpr, max(120, .L__assert_fail.num_vgpr)
	.set .L_ZN12_GLOBAL__N_17runRingI14__hip_fp8_e5m213FuncPreMulSumIS1_E11ProtoSimpleILi1ELi1ELi0ELi1ELi0ELi0EELi0ELi1ELi0EEEviiP15ncclDevWorkColl.num_agpr, max(0, .L__assert_fail.num_agpr)
	.set .L_ZN12_GLOBAL__N_17runRingI14__hip_fp8_e5m213FuncPreMulSumIS1_E11ProtoSimpleILi1ELi1ELi0ELi1ELi0ELi0EELi0ELi1ELi0EEEviiP15ncclDevWorkColl.numbered_sgpr, max(47, .L__assert_fail.numbered_sgpr)
	.set .L_ZN12_GLOBAL__N_17runRingI14__hip_fp8_e5m213FuncPreMulSumIS1_E11ProtoSimpleILi1ELi1ELi0ELi1ELi0ELi0EELi0ELi1ELi0EEEviiP15ncclDevWorkColl.num_named_barrier, max(0, .L__assert_fail.num_named_barrier)
	.set .L_ZN12_GLOBAL__N_17runRingI14__hip_fp8_e5m213FuncPreMulSumIS1_E11ProtoSimpleILi1ELi1ELi0ELi1ELi0ELi0EELi0ELi1ELi0EEEviiP15ncclDevWorkColl.private_seg_size, 112+max(.L__assert_fail.private_seg_size)
	.set .L_ZN12_GLOBAL__N_17runRingI14__hip_fp8_e5m213FuncPreMulSumIS1_E11ProtoSimpleILi1ELi1ELi0ELi1ELi0ELi0EELi0ELi1ELi0EEEviiP15ncclDevWorkColl.uses_vcc, or(1, .L__assert_fail.uses_vcc)
	.set .L_ZN12_GLOBAL__N_17runRingI14__hip_fp8_e5m213FuncPreMulSumIS1_E11ProtoSimpleILi1ELi1ELi0ELi1ELi0ELi0EELi0ELi1ELi0EEEviiP15ncclDevWorkColl.uses_flat_scratch, or(1, .L__assert_fail.uses_flat_scratch)
	.set .L_ZN12_GLOBAL__N_17runRingI14__hip_fp8_e5m213FuncPreMulSumIS1_E11ProtoSimpleILi1ELi1ELi0ELi1ELi0ELi0EELi0ELi1ELi0EEEviiP15ncclDevWorkColl.has_dyn_sized_stack, or(0, .L__assert_fail.has_dyn_sized_stack)
	.set .L_ZN12_GLOBAL__N_17runRingI14__hip_fp8_e5m213FuncPreMulSumIS1_E11ProtoSimpleILi1ELi1ELi0ELi1ELi0ELi0EELi0ELi1ELi0EEEviiP15ncclDevWorkColl.has_recursion, or(1, .L__assert_fail.has_recursion)
	.set .L_ZN12_GLOBAL__N_17runRingI14__hip_fp8_e5m213FuncPreMulSumIS1_E11ProtoSimpleILi1ELi1ELi0ELi1ELi0ELi0EELi0ELi1ELi0EEEviiP15ncclDevWorkColl.has_indirect_call, or(0, .L__assert_fail.has_indirect_call)
	.section	.AMDGPU.csdata,"",@progbits
; Function info:
; codeLenInByte = 233268
; TotalNumSgprs: 49
; NumVgprs: 120
; ScratchSize: 176
; MemoryBound: 1
	.text
	.p2align	2                               ; -- Begin function _Z53ncclDevFunc_Reduce_RING_SIMPLE_PreMulSum_f8e5m2_0_0_1v
	.type	_Z53ncclDevFunc_Reduce_RING_SIMPLE_PreMulSum_f8e5m2_0_0_1v,@function
_Z53ncclDevFunc_Reduce_RING_SIMPLE_PreMulSum_f8e5m2_0_0_1v: ; @_Z53ncclDevFunc_Reduce_RING_SIMPLE_PreMulSum_f8e5m2_0_0_1v
; %bb.0:
	s_wait_loadcnt_dscnt 0x0
	s_wait_kmcnt 0x0
	s_mov_b32 s62, s33
	s_mov_b32 s33, s32
	s_or_saveexec_b32 s0, -1
	scratch_store_b32 off, v42, s33 offset:12 ; 4-byte Folded Spill
	s_wait_xcnt 0x0
	s_mov_b32 exec_lo, s0
	s_add_co_i32 s32, s32, 32
	s_clause 0x2
	scratch_store_b32 off, v40, s33 offset:8
	; meta instruction
	scratch_store_b32 off, v41, s33 offset:4
	; meta instruction
	scratch_store_b32 off, v90, s33
	v_writelane_b32 v42, s30, 0
	v_writelane_b32 v42, s31, 1
	s_trap 2
	ds_load_b32 v0, v0
	s_wait_xcnt 0x2
	v_mov_b32_e32 v40, v31
	s_mov_b32 s47, s12
	s_mov_b64 s[56:57], s[8:9]
	s_mov_b32 s2, exec_lo
	s_wait_xcnt 0x1
	v_and_b32_e32 v41, 0x3ff, v40
	s_wait_dscnt 0x0
	s_wait_xcnt 0x0
	s_delay_alu instid0(VALU_DEP_1)
	v_cmpx_lt_i32_e64 v41, v0
	s_cbranch_execz .LBB3_5
; %bb.1:
	s_load_b32 s0, s[56:57], 0x0
	s_bfe_u32 s1, ttmp6, 0x4000c
	s_and_b32 s3, ttmp6, 15
	s_add_co_i32 s1, s1, 1
	s_getreg_b32 s4, hwreg(HW_REG_IB_STS2, 6, 4)
	s_mul_i32 s1, ttmp9, s1
	v_mov_b32_e32 v2, v41
	s_add_co_i32 s3, s3, s1
	s_cmp_eq_u32 s4, 0
                                        ; implicit-def: $vgpr3
	s_cselect_b32 s1, ttmp9, s3
	s_mov_b32 s3, 0
	s_wait_kmcnt 0x0
	s_cmp_lt_u32 s1, s0
	s_mov_b32 s1, 0
	s_cselect_b32 s0, 12, 18
	s_delay_alu instid0(SALU_CYCLE_1)
	s_add_nc_u64 s[4:5], s[56:57], s[0:1]
	s_load_u16 s0, s[4:5], 0x0
	s_trap 2
	ds_load_b32 v1, v0
	s_wait_dscnt 0x0
	s_wait_kmcnt 0x0
	v_mul_lo_u32 v1, v1, s0
	s_branch .LBB3_3
.LBB3_2:                                ;   in Loop: Header=BB3_3 Depth=1
	s_or_b32 exec_lo, exec_lo, s4
	v_dual_add_nc_u32 v2, s0, v2 :: v_dual_add_nc_u32 v3, v3, v1
	s_delay_alu instid0(VALU_DEP_1) | instskip(SKIP_1) | instid1(SALU_CYCLE_1)
	v_cmp_ge_i32_e32 vcc_lo, v2, v0
	s_or_b32 s3, vcc_lo, s3
	s_and_not1_b32 exec_lo, exec_lo, s3
	s_cbranch_execz .LBB3_5
.LBB3_3:                                ; =>This Inner Loop Header: Depth=1
	ds_load_b32 v4, v3
	s_mov_b32 s4, exec_lo
	s_wait_dscnt 0x0
	v_and_b32_e32 v4, 0x1000000, v4
	s_delay_alu instid0(VALU_DEP_1)
	v_cmpx_ne_u32_e32 0, v4
	s_cbranch_execz .LBB3_2
; %bb.4:                                ;   in Loop: Header=BB3_3 Depth=1
	ds_load_b64 v[4:5], v3 offset:104
	s_wait_dscnt 0x0
	flat_load_u8 v4, v[4:5]
	s_wait_xcnt 0x0
	v_mov_b32_e32 v5, s1
	s_wait_loadcnt_dscnt 0x0
	v_and_b32_e32 v4, 0xffff, v4
	ds_store_b64 v3, v[4:5] offset:104
	s_branch .LBB3_2
.LBB3_5:
	s_or_b32 exec_lo, exec_lo, s2
	s_wait_storecnt_dscnt 0x0
	s_barrier_signal -1
	s_barrier_wait -1
	s_trap 2
	ds_load_b32 v0, v0
	s_wait_dscnt 0x0
	v_cmp_gt_i32_e32 vcc_lo, 1, v0
	s_cbranch_vccnz .LBB3_13
; %bb.6:
	s_mov_b32 s60, 0
	s_get_pc_i64 s[58:59]
	s_add_nc_u64 s[58:59], s[58:59], _ZN12_GLOBAL__N_17runRingI14__hip_fp8_e5m213FuncPreMulSumIS1_E11ProtoSimpleILi1ELi1ELi0ELi1ELi0ELi0EELi0ELi1ELi0EEEviiP15ncclDevWorkColl@rel64+4
	s_branch .LBB3_8
.LBB3_7:                                ;   in Loop: Header=BB3_8 Depth=1
	s_or_b32 exec_lo, exec_lo, s61
	s_trap 2
	ds_load_b32 v0, v0
	s_add_co_i32 s60, s60, 1
	s_wait_dscnt 0x0
	v_cmp_lt_i32_e32 vcc_lo, s60, v0
	s_cbranch_vccz .LBB3_13
.LBB3_8:                                ; =>This Inner Loop Header: Depth=1
	s_trap 2
	ds_load_b32 v0, v0
	s_cmp_eq_u32 s60, 0
	s_cbranch_scc1 .LBB3_11
; %bb.9:                                ;   in Loop: Header=BB3_8 Depth=1
	s_trap 2
	s_wait_dscnt 0x0
	ds_load_b32 v1, v0
	s_wait_dscnt 0x0
	v_xor_b32_e32 v1, v1, v0
	s_delay_alu instid0(VALU_DEP_1) | instskip(NEXT) | instid1(VALU_DEP_1)
	v_and_b32_e32 v1, 0xff0000, v1
	v_cmp_eq_u32_e32 vcc_lo, 0, v1
	s_cbranch_vccnz .LBB3_11
; %bb.10:                               ;   in Loop: Header=BB3_8 Depth=1
	s_barrier_signal -1
	s_barrier_wait -1
	ds_load_b32 v0, v0
.LBB3_11:                               ;   in Loop: Header=BB3_8 Depth=1
	s_wait_dscnt 0x0
	v_lshrrev_b32_e32 v0, 11, v0
	s_mov_b32 s61, exec_lo
	s_delay_alu instid0(VALU_DEP_1) | instskip(NEXT) | instid1(VALU_DEP_1)
	v_and_b32_e32 v1, 0x1fe0, v0
	v_cmpx_lt_u32_e64 v41, v1
	s_cbranch_execz .LBB3_7
; %bb.12:                               ;   in Loop: Header=BB3_8 Depth=1
	s_mov_b64 s[0:1], src_shared_base
	v_dual_mov_b32 v31, v40 :: v_dual_mov_b32 v0, v41
	v_mov_b32_e32 v3, s1
	s_mov_b64 s[8:9], s[56:57]
	s_mov_b32 s12, s47
	s_swap_pc_i64 s[30:31], s[58:59]
	s_branch .LBB3_7
.LBB3_13:
	s_clause 0x2
	scratch_load_b32 v90, off, s33
	scratch_load_b32 v41, off, s33 offset:4
	scratch_load_b32 v40, off, s33 offset:8
	v_readlane_b32 s30, v42, 0
	v_readlane_b32 s31, v42, 1
	s_mov_b32 s32, s33
	s_wait_xcnt 0x0
	s_or_saveexec_b32 s0, -1
	scratch_load_b32 v42, off, s33 offset:12 ; 4-byte Folded Reload
	s_wait_xcnt 0x0
	s_mov_b32 exec_lo, s0
	s_mov_b32 s33, s62
	s_wait_loadcnt 0x0
	s_set_pc_i64 s[30:31]
.Lfunc_end3:
	.size	_Z53ncclDevFunc_Reduce_RING_SIMPLE_PreMulSum_f8e5m2_0_0_1v, .Lfunc_end3-_Z53ncclDevFunc_Reduce_RING_SIMPLE_PreMulSum_f8e5m2_0_0_1v
                                        ; -- End function
	.set .L_Z53ncclDevFunc_Reduce_RING_SIMPLE_PreMulSum_f8e5m2_0_0_1v.num_vgpr, max(91, .L_ZN12_GLOBAL__N_17runRingI14__hip_fp8_e5m213FuncPreMulSumIS1_E11ProtoSimpleILi1ELi1ELi0ELi1ELi0ELi0EELi0ELi1ELi0EEEviiP15ncclDevWorkColl.num_vgpr)
	.set .L_Z53ncclDevFunc_Reduce_RING_SIMPLE_PreMulSum_f8e5m2_0_0_1v.num_agpr, max(0, .L_ZN12_GLOBAL__N_17runRingI14__hip_fp8_e5m213FuncPreMulSumIS1_E11ProtoSimpleILi1ELi1ELi0ELi1ELi0ELi0EELi0ELi1ELi0EEEviiP15ncclDevWorkColl.num_agpr)
	.set .L_Z53ncclDevFunc_Reduce_RING_SIMPLE_PreMulSum_f8e5m2_0_0_1v.numbered_sgpr, max(63, .L_ZN12_GLOBAL__N_17runRingI14__hip_fp8_e5m213FuncPreMulSumIS1_E11ProtoSimpleILi1ELi1ELi0ELi1ELi0ELi0EELi0ELi1ELi0EEEviiP15ncclDevWorkColl.numbered_sgpr)
	.set .L_Z53ncclDevFunc_Reduce_RING_SIMPLE_PreMulSum_f8e5m2_0_0_1v.num_named_barrier, max(0, .L_ZN12_GLOBAL__N_17runRingI14__hip_fp8_e5m213FuncPreMulSumIS1_E11ProtoSimpleILi1ELi1ELi0ELi1ELi0ELi0EELi0ELi1ELi0EEEviiP15ncclDevWorkColl.num_named_barrier)
	.set .L_Z53ncclDevFunc_Reduce_RING_SIMPLE_PreMulSum_f8e5m2_0_0_1v.private_seg_size, 32+max(.L_ZN12_GLOBAL__N_17runRingI14__hip_fp8_e5m213FuncPreMulSumIS1_E11ProtoSimpleILi1ELi1ELi0ELi1ELi0ELi0EELi0ELi1ELi0EEEviiP15ncclDevWorkColl.private_seg_size)
	.set .L_Z53ncclDevFunc_Reduce_RING_SIMPLE_PreMulSum_f8e5m2_0_0_1v.uses_vcc, or(1, .L_ZN12_GLOBAL__N_17runRingI14__hip_fp8_e5m213FuncPreMulSumIS1_E11ProtoSimpleILi1ELi1ELi0ELi1ELi0ELi0EELi0ELi1ELi0EEEviiP15ncclDevWorkColl.uses_vcc)
	.set .L_Z53ncclDevFunc_Reduce_RING_SIMPLE_PreMulSum_f8e5m2_0_0_1v.uses_flat_scratch, or(1, .L_ZN12_GLOBAL__N_17runRingI14__hip_fp8_e5m213FuncPreMulSumIS1_E11ProtoSimpleILi1ELi1ELi0ELi1ELi0ELi0EELi0ELi1ELi0EEEviiP15ncclDevWorkColl.uses_flat_scratch)
	.set .L_Z53ncclDevFunc_Reduce_RING_SIMPLE_PreMulSum_f8e5m2_0_0_1v.has_dyn_sized_stack, or(0, .L_ZN12_GLOBAL__N_17runRingI14__hip_fp8_e5m213FuncPreMulSumIS1_E11ProtoSimpleILi1ELi1ELi0ELi1ELi0ELi0EELi0ELi1ELi0EEEviiP15ncclDevWorkColl.has_dyn_sized_stack)
	.set .L_Z53ncclDevFunc_Reduce_RING_SIMPLE_PreMulSum_f8e5m2_0_0_1v.has_recursion, or(1, .L_ZN12_GLOBAL__N_17runRingI14__hip_fp8_e5m213FuncPreMulSumIS1_E11ProtoSimpleILi1ELi1ELi0ELi1ELi0ELi0EELi0ELi1ELi0EEEviiP15ncclDevWorkColl.has_recursion)
	.set .L_Z53ncclDevFunc_Reduce_RING_SIMPLE_PreMulSum_f8e5m2_0_0_1v.has_indirect_call, or(0, .L_ZN12_GLOBAL__N_17runRingI14__hip_fp8_e5m213FuncPreMulSumIS1_E11ProtoSimpleILi1ELi1ELi0ELi1ELi0ELi0EELi0ELi1ELi0EEEviiP15ncclDevWorkColl.has_indirect_call)
	.section	.AMDGPU.csdata,"",@progbits
; Function info:
; codeLenInByte = 756
; TotalNumSgprs: 65
; NumVgprs: 120
; ScratchSize: 208
; MemoryBound: 0
	.text
	.p2align	2                               ; -- Begin function _ZN12_GLOBAL__N_17runRingI14__hip_fp8_e5m213FuncPreMulSumIS1_E11ProtoSimpleILi1ELi1ELi0ELi2ELi0ELi0EELi0ELi2ELi0EEEviiP15ncclDevWorkColl
	.type	_ZN12_GLOBAL__N_17runRingI14__hip_fp8_e5m213FuncPreMulSumIS1_E11ProtoSimpleILi1ELi1ELi0ELi2ELi0ELi0EELi0ELi2ELi0EEEviiP15ncclDevWorkColl,@function
_ZN12_GLOBAL__N_17runRingI14__hip_fp8_e5m213FuncPreMulSumIS1_E11ProtoSimpleILi1ELi1ELi0ELi2ELi0ELi0EELi0ELi2ELi0EEEviiP15ncclDevWorkColl: ; @_ZN12_GLOBAL__N_17runRingI14__hip_fp8_e5m213FuncPreMulSumIS1_E11ProtoSimpleILi1ELi1ELi0ELi2ELi0ELi0EELi0ELi2ELi0EEEviiP15ncclDevWorkColl
; %bb.0:
	s_wait_loadcnt_dscnt 0x0
	s_wait_kmcnt 0x0
	s_mov_b32 s46, s33
	s_mov_b32 s33, s32
	s_or_saveexec_b32 s0, -1
	scratch_store_b32 off, v127, s33 offset:220 ; 4-byte Folded Spill
	s_wait_xcnt 0x0
	s_mov_b32 exec_lo, s0
	s_addk_co_i32 s32, 0xf0
	s_clause 0x2e
	scratch_store_b32 off, v40, s33 offset:184
	; meta instruction
	scratch_store_b32 off, v41, s33 offset:180
	; meta instruction
	;; [unrolled: 2-line block ×46, first 2 shown]
	scratch_store_b32 off, v126, s33
	v_writelane_b32 v127, s30, 0
	v_writelane_b32 v127, s31, 1
	s_trap 2
	ds_load_b64 v[14:15], v0
	ds_load_b32 v8, v0
	flat_load_b64 v[6:7], v[2:3]
	s_wait_xcnt 0x6
	v_mov_b32_e32 v121, v0
                                        ; implicit-def: $vgpr28_vgpr29
                                        ; implicit-def: $vgpr4_vgpr5
                                        ; implicit-def: $vgpr18_vgpr19
	s_wait_dscnt 0x2
	v_readfirstlane_b32 s0, v14
	v_readfirstlane_b32 s1, v15
	flat_load_u16 v17, v[2:3] offset:8
	flat_load_b32 v25, v15, s[0:1] offset:-4 scale_offset
	s_wait_xcnt 0x0
	s_mov_b32 s0, exec_lo
	s_wait_loadcnt_dscnt 0x202
	v_and_b32_e32 v0, 0xff, v6
	v_mov_b32_e32 v16, v7
	s_delay_alu instid0(VALU_DEP_2)
	v_cmpx_ne_u32_e64 v8, v0
	s_xor_b32 s0, exec_lo, s0
	s_cbranch_execz .LBB4_6
; %bb.1:
	v_bfe_u32 v9, v6, 8, 8
	v_not_b32_e32 v0, v0
	s_mov_b32 s1, exec_lo
                                        ; implicit-def: $vgpr28_vgpr29
                                        ; implicit-def: $vgpr4_vgpr5
                                        ; implicit-def: $vgpr18_vgpr19
	s_delay_alu instid0(VALU_DEP_2)
	v_cmpx_ne_u32_e64 v8, v9
	s_xor_b32 s1, exec_lo, s1
	s_cbranch_execz .LBB4_3
; %bb.2:
	s_clause 0x1
	flat_load_b128 v[4:7], v[2:3] offset:72
	flat_load_b64 v[10:11], v[2:3] offset:96
	v_add_nc_u32_e32 v0, v8, v0
                                        ; implicit-def: $vgpr9
	s_wait_loadcnt_dscnt 0x101
	s_delay_alu instid0(VALU_DEP_1) | instskip(SKIP_2) | instid1(VALU_DEP_2)
	v_mad_nc_u64_u32 v[18:19], v6, v0, v[4:5]
	s_wait_loadcnt_dscnt 0x0
	v_lshrrev_b64 v[28:29], 12, v[10:11]
	v_mad_u32 v4, v7, v0, v19
	v_ashrrev_i32_e32 v0, 31, v0
	s_delay_alu instid0(VALU_DEP_1)
	v_mad_u32 v19, v6, v0, v4
	v_mov_b64_e32 v[4:5], v[6:7]
                                        ; implicit-def: $vgpr0
.LBB4_3:
	s_wait_xcnt 0x0
	s_and_not1_saveexec_b32 s1, s1
	s_cbranch_execz .LBB4_5
; %bb.4:
	s_clause 0x1
	flat_load_b128 v[10:13], v[2:3] offset:72
	flat_load_b128 v[4:7], v[2:3] offset:88
	s_wait_loadcnt_dscnt 0x0
	v_dual_add_nc_u32 v0, v9, v0 :: v_dual_lshrrev_b32 v28, 1, v7
	s_delay_alu instid0(VALU_DEP_1) | instskip(NEXT) | instid1(VALU_DEP_1)
	v_mad_nc_u64_u32 v[18:19], v12, v0, v[10:11]
	v_mad_u32 v6, v13, v0, v19
	v_ashrrev_i32_e32 v0, 31, v0
	s_delay_alu instid0(VALU_DEP_1)
	v_mad_u32 v19, v12, v0, v6
.LBB4_5:
	s_wait_xcnt 0x0
	s_or_b32 exec_lo, exec_lo, s1
.LBB4_6:
	s_and_not1_saveexec_b32 s0, s0
	s_cbranch_execz .LBB4_8
; %bb.7:
	s_clause 0x1
	flat_load_b64 v[6:7], v[2:3] offset:96
	flat_load_b64 v[4:5], v[2:3] offset:72
	v_mov_b64_e32 v[18:19], 0
	s_wait_loadcnt_dscnt 0x101
	v_lshlrev_b64_e32 v[28:29], 9, v[6:7]
.LBB4_8:
	s_wait_xcnt 0x0
	s_or_b32 exec_lo, exec_lo, s0
	s_trap 2
	ds_load_b64 v[6:7], v0
	s_mov_b32 s1, 0
	s_mov_b32 s2, exec_lo
	s_wait_dscnt 0x0
	v_cmp_ne_u32_e32 vcc_lo, -1, v6
	v_cndmask_b32_e64 v0, 0, 1, vcc_lo
	v_cmp_ne_u32_e32 vcc_lo, -1, v7
	s_delay_alu instid0(VALU_DEP_2) | instskip(NEXT) | instid1(VALU_DEP_1)
	v_add_co_ci_u32_e64 v6, null, 0, v0, vcc_lo
	v_lshlrev_b32_e32 v7, 1, v6
	s_delay_alu instid0(VALU_DEP_1)
	v_cmpx_le_u32_e64 v7, v1
	s_xor_b32 s14, exec_lo, s2
	s_cbranch_execnz .LBB4_9
; %bb.12924:
	s_add_pc_i64 .LBB4_12917-.Lpost_addpc4
.Lpost_addpc4:
.LBB4_9:
	s_clause 0x1
	flat_load_b128 v[10:13], v[2:3] offset:16
	flat_load_b64 v[34:35], v[2:3] offset:104
	s_trap 2
	s_load_b32 s0, s[8:9], 0x0
	s_bfe_u32 s2, ttmp6, 0x4000c
	s_and_b32 s3, ttmp6, 15
	s_add_co_i32 s2, s2, 1
	s_getreg_b32 s4, hwreg(HW_REG_IB_STS2, 6, 4)
	s_mul_i32 s2, ttmp9, s2
	v_dual_mov_b32 v2, 0 :: v_dual_mov_b32 v120, 4
	s_add_co_i32 s3, s3, s2
	s_cmp_eq_u32 s4, 0
	ds_load_b32 v3, v0
	s_cselect_b32 s2, ttmp9, s3
	s_wait_kmcnt 0x0
	s_cmp_lt_u32 s2, s0
	s_cselect_b32 s0, 12, 18
	s_delay_alu instid0(SALU_CYCLE_1)
	s_add_nc_u64 s[0:1], s[8:9], s[0:1]
	global_load_u16 v2, v2, s[0:1]
	s_wait_xcnt 0x0
	s_mov_b32 s1, exec_lo
	s_wait_dscnt 0x0
	v_readfirstlane_b32 s15, v3
	v_cmpx_ge_u32_e64 v121, v0
	s_cbranch_execz .LBB4_19
; %bb.10:
	v_cmp_ge_u32_e64 s0, v121, v6
                                        ; implicit-def: $vgpr120
	s_and_saveexec_b32 s2, s0
	s_delay_alu instid0(SALU_CYCLE_1)
	s_xor_b32 s0, exec_lo, s2
	s_cbranch_execz .LBB4_16
; %bb.11:
	v_cndmask_b32_e64 v3, 0, 1, vcc_lo
	s_mov_b32 s2, exec_lo
	s_delay_alu instid0(VALU_DEP_1) | instskip(NEXT) | instid1(VALU_DEP_1)
	v_sub_nc_u32_e32 v3, v1, v3
	v_cmpx_ge_u32_e64 v121, v3
	s_xor_b32 s2, exec_lo, s2
; %bb.12:
                                        ; implicit-def: $vgpr6
; %bb.13:
	s_delay_alu instid0(SALU_CYCLE_1)
	s_or_saveexec_b32 s2, s2
	v_mov_b32_e32 v120, 16
	s_xor_b32 exec_lo, exec_lo, s2
; %bb.14:
	v_sub_nc_u32_e32 v3, v1, v6
	s_delay_alu instid0(VALU_DEP_1)
	v_cmp_lt_i32_e32 vcc_lo, v121, v3
	v_cndmask_b32_e64 v120, 32, 0, vcc_lo
; %bb.15:
	s_or_b32 exec_lo, exec_lo, s2
.LBB4_16:
	s_and_not1_saveexec_b32 s0, s0
; %bb.17:
	v_mov_b32_e32 v120, 8
; %bb.18:
	s_or_b32 exec_lo, exec_lo, s0
.LBB4_19:
	s_delay_alu instid0(SALU_CYCLE_1) | instskip(NEXT) | instid1(VALU_DEP_1)
	s_or_b32 exec_lo, exec_lo, s1
	v_and_b32_e32 v3, 36, v120
	s_delay_alu instid0(VALU_DEP_1)
	v_cmp_ne_u32_e32 vcc_lo, 0, v3
	v_mov_b32_e32 v3, -1
	s_and_saveexec_b32 s0, vcc_lo
	s_cbranch_execz .LBB4_21
; %bb.20:
	s_trap 2
	ds_load_b32 v3, v0
.LBB4_21:
	s_or_b32 exec_lo, exec_lo, s0
	v_and_b32_e32 v6, 24, v120
	s_mov_b32 s1, exec_lo
	s_delay_alu instid0(VALU_DEP_1)
	v_cmpx_ne_u32_e32 0, v6
	s_cbranch_execz .LBB4_23
; %bb.22:
	s_trap 2
	s_wait_dscnt 0x0
	ds_load_b32 v3, v0
.LBB4_23:
	s_or_b32 exec_lo, exec_lo, s1
	s_wait_loadcnt 0x4
	v_lshrrev_b64 v[6:7], 31, v[16:17]
	v_mov_b64_e32 v[38:39], 0
                                        ; implicit-def: $vgpr32_vgpr33
                                        ; implicit-def: $vgpr26_vgpr27
                                        ; implicit-def: $vgpr22_vgpr23
	s_delay_alu instid0(VALU_DEP_2) | instskip(SKIP_1) | instid1(VALU_DEP_2)
	v_and_b32_e32 v8, 3, v6
	v_mov_b64_e32 v[6:7], 0
	v_and_b32_e32 v15, 0xffff, v8
                                        ; implicit-def: $vgpr8_vgpr9
                                        ; kill: killed $vgpr8_vgpr9
                                        ; implicit-def: $vgpr8
	scratch_store_b64 off, v[8:9], s33 offset:188 ; 8-byte Folded Spill
	s_wait_xcnt 0x0
	s_and_saveexec_b32 s0, vcc_lo
	s_cbranch_execz .LBB4_33
; %bb.24:
	s_trap 2
	ds_load_b64 v[6:7], v0
	s_wait_dscnt 0x0
	v_readfirstlane_b32 s2, v6
	v_readfirstlane_b32 s3, v7
	flat_load_b64 v[6:7], v3, s[2:3] scale_offset
	s_wait_loadcnt_dscnt 0x0
	v_mad_nc_u64_u32 v[36:37], 0xa8, v15, v[6:7]
	flat_load_b32 v6, v[36:37] offset:640
	s_wait_loadcnt_dscnt 0x0
	v_cmp_eq_u32_e32 vcc_lo, 1, v6
                                        ; implicit-def: $vgpr6_vgpr7
                                        ; kill: killed $vgpr6_vgpr7
	s_wait_xcnt 0x0
	s_and_saveexec_b32 s1, vcc_lo
	s_cbranch_execz .LBB4_26
; %bb.25:
	flat_load_b64 v[8:9], v[36:37] offset:648
	v_or_b32_e32 v120, 0x2000, v120
	s_wait_loadcnt_dscnt 0x0
	flat_load_b64 v[6:7], v[8:9]
	s_trap 2
	scratch_store_b64 off, v[8:9], s33 offset:212 ; 8-byte Folded Spill
	s_wait_loadcnt_dscnt 0x0
	ds_store_b64 v0, v[6:7]
	flat_load_b64 v[6:7], v[8:9] offset:8
	s_wait_loadcnt_dscnt 0x0
	ds_store_b64 v0, v[6:7]
	flat_load_b64 v[6:7], v[8:9] offset:16
	s_wait_loadcnt_dscnt 0x0
	ds_store_b64 v0, v[6:7]
.LBB4_26:
	s_wait_xcnt 0x0
	s_or_b32 exec_lo, exec_lo, s1
	flat_load_b64 v[8:9], v[36:37] offset:608
	v_and_b32_e32 v6, 32, v120
	s_mov_b32 s1, exec_lo
                                        ; implicit-def: $vgpr22_vgpr23
	s_wait_xcnt 0x0
	s_delay_alu instid0(VALU_DEP_1)
	v_cmpx_ne_u32_e32 0, v6
	s_cbranch_execz .LBB4_28
; %bb.27:
	flat_load_b64 v[22:23], v[36:37] offset:560
	global_wb scope:SCOPE_SYS
	s_wait_storecnt 0x0
	s_wait_xcnt 0x0
	s_wait_loadcnt_dscnt 0x0
	flat_store_b64 v[22:23], v[8:9] scope:SCOPE_SYS
.LBB4_28:
	s_wait_xcnt 0x0
	s_or_b32 exec_lo, exec_lo, s1
	v_add_nc_u64_e32 v[38:39], 0x1f8, v[36:37]
	v_mov_b64_e32 v[6:7], 0
	v_and_b32_e32 v17, 4, v120
	s_mov_b32 s1, exec_lo
                                        ; implicit-def: $vgpr20
	scratch_store_b64 off, v[20:21], s33 offset:188 ; 8-byte Folded Spill
                                        ; implicit-def: $vgpr32_vgpr33
                                        ; implicit-def: $vgpr26_vgpr27
	s_wait_xcnt 0x0
	v_cmpx_ne_u32_e32 0, v17
	s_cbranch_execz .LBB4_32
; %bb.29:
	v_and_b32_e32 v6, 0x800, v120
	s_mov_b32 s2, exec_lo
	s_delay_alu instid0(VALU_DEP_1)
	v_cmpx_eq_u32_e32 0, v6
	s_cbranch_execz .LBB4_31
; %bb.30:
	s_trap 2
	ds_store_b64 v0, v[38:39]
.LBB4_31:
	s_or_b32 exec_lo, exec_lo, s2
	flat_load_b64 v[22:23], v[36:37] offset:552
	v_or_b32_e32 v17, 0x100, v120
                                        ; kill: killed $vgpr36_vgpr37
	s_wait_loadcnt_dscnt 0x0
	flat_load_b64 v[32:33], v[22:23] scope:SCOPE_SYS
	s_clause 0x2
	flat_load_b64 v[6:7], v[36:37] offset:600
	flat_load_b32 v20, v[36:37] offset:576
	flat_load_b64 v[26:27], v[36:37] offset:520
	s_wait_loadcnt_dscnt 0x202
	v_cmp_eq_u64_e32 vcc_lo, 0, v[6:7]
	s_wait_loadcnt_dscnt 0x101
	scratch_store_b64 off, v[20:21], s33 offset:188 ; 8-byte Folded Spill
	v_cndmask_b32_e32 v120, v17, v120, vcc_lo
.LBB4_32:
	s_wait_xcnt 0x0
	s_or_b32 exec_lo, exec_lo, s1
.LBB4_33:
	s_delay_alu instid0(SALU_CYCLE_1) | instskip(NEXT) | instid1(VALU_DEP_1)
	s_or_b32 exec_lo, exec_lo, s0
	v_and_b32_e32 v17, 24, v120
	s_mov_b32 s0, exec_lo
                                        ; implicit-def: $vgpr36_vgpr37
	s_delay_alu instid0(VALU_DEP_1)
	v_cmpx_ne_u32_e32 0, v17
	s_cbranch_execz .LBB4_41
; %bb.34:
	s_trap 2
	ds_load_b64 v[6:7], v0
	s_mov_b32 s1, exec_lo
                                        ; implicit-def: $vgpr36_vgpr37
	s_wait_dscnt 0x0
	v_readfirstlane_b32 s2, v6
	v_readfirstlane_b32 s3, v7
	flat_load_b64 v[6:7], v3, s[2:3] scale_offset
	s_wait_xcnt 0x0
	v_or_b32_e32 v3, 0x100, v120
	s_wait_loadcnt_dscnt 0x0
	v_mad_nc_u64_u32 v[38:39], 0xa8, v15, v[6:7]
	flat_load_b128 v[6:9], v[38:39] offset:96
	s_wait_loadcnt_dscnt 0x0
	v_cmp_eq_u64_e32 vcc_lo, 0, v[6:7]
	v_cndmask_b32_e32 v120, v3, v120, vcc_lo
	s_delay_alu instid0(VALU_DEP_1) | instskip(SKIP_1) | instid1(VALU_DEP_1)
	v_and_b32_e32 v3, 16, v120
	s_wait_xcnt 0x0
	v_cmpx_ne_u32_e32 0, v3
	s_cbranch_execz .LBB4_36
; %bb.35:
	s_clause 0x2
	flat_load_b64 v[22:23], v[38:39] offset:48
	flat_load_b64 v[36:37], v[38:39] offset:120
	;; [unrolled: 1-line block ×3, first 2 shown]
.LBB4_36:
	s_wait_xcnt 0x0
	s_or_b32 exec_lo, exec_lo, s1
	v_and_b32_e32 v3, 8, v120
	s_mov_b32 s1, exec_lo
	s_delay_alu instid0(VALU_DEP_1)
	v_cmpx_ne_u32_e32 0, v3
	s_cbranch_execz .LBB4_40
; %bb.37:
	v_and_b32_e32 v3, 0x800, v120
	s_mov_b32 s2, exec_lo
	s_delay_alu instid0(VALU_DEP_1)
	v_cmpx_eq_u32_e32 0, v3
	s_cbranch_execz .LBB4_39
; %bb.38:
	s_trap 2
	ds_store_b64 v0, v[38:39]
.LBB4_39:
	s_or_b32 exec_lo, exec_lo, s2
	s_wait_loadcnt_dscnt 0x202
	flat_load_b64 v[22:23], v[38:39] offset:56
	s_wait_loadcnt_dscnt 0x0
	flat_load_b64 v[32:33], v[22:23] scope:SCOPE_SYS
	s_clause 0x1
	flat_load_b32 v20, v[38:39] offset:72
	flat_load_b64 v[26:27], v[38:39] offset:16
	s_wait_loadcnt_dscnt 0x101
	scratch_store_b64 off, v[20:21], s33 offset:188 ; 8-byte Folded Spill
.LBB4_40:
	s_wait_xcnt 0x0
	s_or_b32 exec_lo, exec_lo, s1
.LBB4_41:
	s_delay_alu instid0(SALU_CYCLE_1)
	s_or_b32 exec_lo, exec_lo, s0
	v_cmp_eq_u32_e64 s0, 0, v121
	s_and_saveexec_b32 s1, s0
	s_cbranch_execz .LBB4_43
; %bb.42:
	v_mov_b64_e32 v[20:21], 0
	s_wait_loadcnt 0x2
	ds_store_2addr_b64 v0, v[12:13], v[10:11] offset1:1
	s_trap 2
	ds_store_b64 v0, v[20:21]
	s_wait_loadcnt 0x1
	ds_store_b64 v0, v[34:35]
.LBB4_43:
	s_or_b32 exec_lo, exec_lo, s1
	s_wait_dscnt 0x0
	v_bfe_u32 v3, v16, 1, 30
	s_wait_loadcnt 0x1
	v_and_b32_e32 v34, 0x3ffffe00, v28
	v_mov_b32_e32 v35, 0
	s_wait_loadcnt 0x0
	v_and_b32_e32 v10, 0xffff, v2
                                        ; implicit-def: $vgpr28_vgpr29
	s_mov_b32 s1, exec_lo
	v_cmpx_ne_u32_e64 v25, v3
	s_xor_b32 s16, exec_lo, s1
	s_cbranch_execnz .LBB4_44
; %bb.12926:
	s_add_pc_i64 .LBB4_9701-.Lpost_addpc5
.Lpost_addpc5:
.LBB4_44:
                                        ; implicit-def: $vgpr28_vgpr29
	s_mov_b32 s1, exec_lo
	v_cmpx_ne_u32_e64 v14, v3
	s_xor_b32 s17, exec_lo, s1
	s_cbranch_execnz .LBB4_45
; %bb.12928:
	s_add_pc_i64 .LBB4_4878-.Lpost_addpc6
.Lpost_addpc6:
.LBB4_45:
	v_mov_b64_e32 v[28:29], 0
	s_mov_b32 s18, exec_lo
	v_cmpx_ne_u64_e32 0, v[4:5]
	s_cbranch_execnz .LBB4_46
; %bb.12930:
	s_add_pc_i64 .LBB4_4877-.Lpost_addpc7
.Lpost_addpc7:
.LBB4_46:
	scratch_load_b64 v[2:3], off, s33 offset:188 ; 8-byte Folded Reload
	s_ashr_i32 s2, s15, 31
	v_cmp_ne_u32_e64 s3, v1, v10
	s_lshr_b32 s2, s2, 24
	v_cmp_eq_u32_e32 vcc_lo, 32, v1
	s_add_co_i32 s2, s15, s2
	v_mov_b64_e32 v[66:67], 0
	v_cmp_eq_u64_e64 s7, 0, v[36:37]
	v_mov_b64_e32 v[68:69], 0
	v_mov_b64_e32 v[28:29], 0
	v_cmp_ge_u32_e64 s1, v121, v1
	s_ashr_i32 s19, s2, 8
	v_cmp_ne_u32_e64 s2, 32, v1
	v_and_b32_e32 v64, 0x1fe0, v1
	v_dual_mov_b32 v124, 1 :: v_dual_mov_b32 v125, 0x90
	v_mov_b32_e32 v126, 0x7f800000
	v_mov_b32_e32 v122, 0x7c
	s_mov_b64 s[12:13], 0xffffffffffffff
	s_mov_b32 s20, 0
	s_xor_b32 s21, vcc_lo, -1
	s_mov_b32 s22, 0x7f800000
	s_clause 0x1
	scratch_store_b32 off, v31, s33 offset:204
	scratch_store_b32 off, v10, s33 offset:208
	s_wait_loadcnt 0x0
	v_ashrrev_i32_e32 v3, 31, v2
	scratch_store_b64 off, v[38:39], s33 offset:196 ; 8-byte Folded Spill
	s_wait_xcnt 0x0
	v_dual_mov_b32 v39, 0 :: v_dual_lshrrev_b32 v48, 5, v1
	scratch_store_b64 off, v[2:3], s33 offset:188 ; 8-byte Folded Spill
	s_wait_xcnt 0x0
	v_dual_lshrrev_b32 v3, 5, v121 :: v_dual_bitop2_b32 v2, 31, v31 bitop3:0x40
	v_and_b32_e32 v10, 31, v121
	s_trap 2
	v_mov_b32_e32 v49, v39
	s_delay_alu instid0(VALU_DEP_3) | instskip(SKIP_4) | instid1(VALU_DEP_4)
	v_cmp_eq_u32_e64 s4, 0, v2
	v_lshlrev_b32_e32 v2, 10, v3
	v_cmp_le_u32_e64 s5, v10, v0
	v_cmp_lt_u32_e64 s6, v10, v0
	v_dual_mov_b32 v51, v39 :: v_dual_lshlrev_b32 v52, 10, v48
	v_lshl_or_b32 v50, v10, 4, v2
	v_dual_mov_b32 v53, v39 :: v_dual_lshlrev_b32 v54, 9, v48
	v_dual_mov_b32 v55, v39 :: v_dual_mov_b32 v65, v39
	s_branch .LBB4_49
.LBB4_47:                               ;   in Loop: Header=BB4_49 Depth=1
	s_wait_xcnt 0x0
	s_or_b32 exec_lo, exec_lo, s10
.LBB4_48:                               ;   in Loop: Header=BB4_49 Depth=1
	s_delay_alu instid0(SALU_CYCLE_1) | instskip(SKIP_1) | instid1(VALU_DEP_1)
	s_or_b32 exec_lo, exec_lo, s11
	v_add_nc_u64_e32 v[68:69], v[68:69], v[34:35]
	v_cmp_ge_u64_e32 vcc_lo, v[68:69], v[4:5]
	s_or_b32 s20, vcc_lo, s20
	s_delay_alu instid0(SALU_CYCLE_1)
	s_and_not1_b32 exec_lo, exec_lo, s20
	s_cbranch_execnz .LBB4_49
; %bb.12932:
	s_add_pc_i64 .LBB4_4876-.Lpost_addpc8
.Lpost_addpc8:
.LBB4_49:                               ; =>This Loop Header: Depth=1
                                        ;     Child Loop BB4_57 Depth 2
                                        ;     Child Loop BB4_86 Depth 2
	;; [unrolled: 1-line block ×10, first 2 shown]
	v_sub_nc_u64_e32 v[2:3], v[4:5], v[68:69]
	s_delay_alu instid0(VALU_DEP_1) | instskip(NEXT) | instid1(VALU_DEP_1)
	v_min_u64 v[70:71], v[34:35], v[2:3]
	v_add_nc_u32_e32 v0, 15, v70
	s_delay_alu instid0(VALU_DEP_2) | instskip(NEXT) | instid1(VALU_DEP_2)
	v_cmp_eq_u64_e32 vcc_lo, 0, v[70:71]
	v_and_b32_e32 v0, 0x7ffffff0, v0
	s_or_b32 s23, s1, vcc_lo
	s_delay_alu instid0(SALU_CYCLE_1) | instskip(NEXT) | instid1(VALU_DEP_1)
	s_xor_b32 s10, s23, -1
	v_dual_mov_b32 v0, v39 :: v_dual_max_i32 v80, s19, v0
	s_and_saveexec_b32 s24, s10
	s_cbranch_execnz .LBB4_50
; %bb.12934:                            ;   in Loop: Header=BB4_49 Depth=1
	s_add_pc_i64 .LBB4_4824-.Lpost_addpc9
.Lpost_addpc9:
.LBB4_50:                               ;   in Loop: Header=BB4_49 Depth=1
	s_and_saveexec_b32 s10, s0
	s_cbranch_execz .LBB4_52
; %bb.51:                               ;   in Loop: Header=BB4_49 Depth=1
	s_trap 2
	ds_load_b64 v[2:3], v0
	s_wait_dscnt 0x0
	v_add_nc_u64_e32 v[2:3], v[2:3], v[18:19]
	s_delay_alu instid0(VALU_DEP_1)
	v_add_nc_u64_e32 v[2:3], v[2:3], v[68:69]
	ds_store_b64 v0, v[2:3]
	ds_store_b64 v0, v[66:67]
.LBB4_52:                               ;   in Loop: Header=BB4_49 Depth=1
	s_or_b32 exec_lo, exec_lo, s10
	v_and_b32_e32 v0, 12, v120
	v_min_u32_e32 v80, v80, v70
	s_mov_b32 s11, exec_lo
	s_delay_alu instid0(VALU_DEP_2)
	v_cmpx_ne_u32_e32 0, v0
	s_cbranch_execz .LBB4_78
; %bb.53:                               ;   in Loop: Header=BB4_49 Depth=1
	v_dual_mov_b32 v13, v39 :: v_dual_bitop2_b32 v12, 8, v120 bitop3:0x40
	v_add_nc_u64_e32 v[10:11], 1, v[8:9]
	s_mov_b32 s25, exec_lo
	s_wait_loadcnt 0x0
	s_delay_alu instid0(VALU_DEP_2) | instskip(NEXT) | instid1(VALU_DEP_1)
	v_add_nc_u64_e32 v[2:3], v[32:33], v[12:13]
	v_cmpx_lt_u64_e64 v[2:3], v[10:11]
	s_cbranch_execz .LBB4_65
; %bb.54:                               ;   in Loop: Header=BB4_49 Depth=1
	v_and_b32_e32 v0, 64, v120
	s_mov_b32 s26, 0
	s_mov_b32 s40, 0
                                        ; implicit-def: $sgpr27
                                        ; implicit-def: $sgpr28
                                        ; implicit-def: $sgpr29
	s_delay_alu instid0(VALU_DEP_1)
	v_cmp_eq_u32_e32 vcc_lo, 0, v0
	s_branch .LBB4_57
.LBB4_55:                               ;   in Loop: Header=BB4_57 Depth=2
	s_or_b32 exec_lo, exec_lo, s45
	s_delay_alu instid0(SALU_CYCLE_1)
	s_and_not1_b32 s10, s29, exec_lo
	s_and_b32 s29, s43, exec_lo
	s_and_not1_b32 s28, s28, exec_lo
	s_and_b32 s42, s42, exec_lo
	s_or_b32 s29, s10, s29
	s_or_b32 s28, s28, s42
.LBB4_56:                               ;   in Loop: Header=BB4_57 Depth=2
	s_or_b32 exec_lo, exec_lo, s41
	s_delay_alu instid0(SALU_CYCLE_1) | instskip(NEXT) | instid1(SALU_CYCLE_1)
	s_and_b32 s10, exec_lo, s28
	s_or_b32 s26, s10, s26
	s_and_not1_b32 s10, s27, exec_lo
	s_and_b32 s27, s29, exec_lo
	s_delay_alu instid0(SALU_CYCLE_1)
	s_or_b32 s27, s10, s27
	s_and_not1_b32 exec_lo, exec_lo, s26
	s_cbranch_execz .LBB4_62
.LBB4_57:                               ;   Parent Loop BB4_49 Depth=1
                                        ; =>  This Inner Loop Header: Depth=2
	s_sleep 1
	s_wait_loadcnt_dscnt 0x0
	flat_load_b64 v[32:33], v[22:23] scope:SCOPE_SYS
	s_or_b32 s29, s29, exec_lo
	s_or_b32 s28, s28, exec_lo
                                        ; implicit-def: $vgpr0
	s_wait_xcnt 0x0
	s_and_saveexec_b32 s41, vcc_lo
	s_cbranch_execz .LBB4_56
; %bb.58:                               ;   in Loop: Header=BB4_57 Depth=2
	s_cmp_lt_i32 s40, 0x270f
	s_mov_b32 s42, -1
	s_cselect_b32 s44, -1, 0
	s_cmp_gt_i32 s40, 0x270e
	s_cbranch_scc0 .LBB4_60
; %bb.59:                               ;   in Loop: Header=BB4_57 Depth=2
	s_trap 2
	ds_load_b64 v[2:3], v0
	s_and_not1_b32 s40, s44, exec_lo
	s_mov_b32 s43, 0
	s_wait_storecnt 0x0
	s_wait_loadcnt_dscnt 0x0
	flat_load_b32 v0, v[2:3] scope:SCOPE_SYS
	s_wait_loadcnt_dscnt 0x0
	global_inv scope:SCOPE_SYS
	v_cmp_eq_u32_e64 s10, 0, v0
	s_and_b32 s10, s10, exec_lo
	s_delay_alu instid0(SALU_CYCLE_1)
	s_or_b32 s44, s40, s10
	s_mov_b32 s40, 0
	s_and_saveexec_b32 s45, s44
	s_cbranch_execz .LBB4_55
	s_branch .LBB4_61
.LBB4_60:                               ;   in Loop: Header=BB4_57 Depth=2
	s_add_co_i32 s40, s40, 1
	s_mov_b32 s43, -1
                                        ; implicit-def: $vgpr0
	s_and_saveexec_b32 s45, s44
	s_cbranch_execz .LBB4_55
.LBB4_61:                               ;   in Loop: Header=BB4_57 Depth=2
	s_wait_loadcnt_dscnt 0x0
	v_add_nc_u64_e32 v[2:3], v[32:33], v[12:13]
	s_or_b32 s43, s43, exec_lo
	s_delay_alu instid0(VALU_DEP_1)
	v_cmp_ge_u64_e64 s10, v[2:3], v[10:11]
	s_or_not1_b32 s42, s10, exec_lo
	s_branch .LBB4_55
.LBB4_62:                               ;   in Loop: Header=BB4_49 Depth=1
	s_or_b32 exec_lo, exec_lo, s26
	s_xor_b32 s10, s27, -1
	s_delay_alu instid0(SALU_CYCLE_1) | instskip(NEXT) | instid1(SALU_CYCLE_1)
	s_and_saveexec_b32 s26, s10
	s_xor_b32 s10, exec_lo, s26
	s_cbranch_execz .LBB4_64
; %bb.63:                               ;   in Loop: Header=BB4_49 Depth=1
	v_or_b32_e32 v120, 64, v120
	s_wait_storecnt 0x0
	s_wait_loadcnt_dscnt 0x0
	ds_store_b32 v0, v0
	s_trap 2
.LBB4_64:                               ;   in Loop: Header=BB4_49 Depth=1
	s_or_b32 exec_lo, exec_lo, s10
.LBB4_65:                               ;   in Loop: Header=BB4_49 Depth=1
	s_delay_alu instid0(SALU_CYCLE_1) | instskip(SKIP_4) | instid1(VALU_DEP_2)
	s_or_b32 exec_lo, exec_lo, s25
	v_and_b32_e32 v0, 0x108, v120
	v_and_b32_e32 v8, 7, v8
	s_mov_b32 s10, exec_lo
	;;#ASMSTART
	s_wakeup
	;;#ASMEND
	v_cmpx_ne_u32_e32 0x108, v0
	s_xor_b32 s10, exec_lo, s10
; %bb.66:                               ;   in Loop: Header=BB4_49 Depth=1
	v_mov_b32_e32 v9, v39
; %bb.67:                               ;   in Loop: Header=BB4_49 Depth=1
	s_and_not1_saveexec_b32 s10, s10
	s_cbranch_execz .LBB4_69
; %bb.68:                               ;   in Loop: Header=BB4_49 Depth=1
	v_mad_nc_u64_u32 v[2:3], v8, 24, v[6:7]
	v_dual_mov_b32 v81, v39 :: v_dual_mov_b32 v9, v39
	flat_store_b64 v[2:3], v[80:81] offset:8
.LBB4_69:                               ;   in Loop: Header=BB4_49 Depth=1
	s_wait_xcnt 0x0
	s_or_b32 exec_lo, exec_lo, s10
	v_and_b32_e32 v0, 0x100, v120
	s_mov_b32 s10, -1
	s_mov_b32 s25, exec_lo
                                        ; implicit-def: $vgpr14_vgpr15
	s_delay_alu instid0(VALU_DEP_1)
	v_cmpx_ne_u32_e32 0, v0
	s_cbranch_execz .LBB4_73
; %bb.70:                               ;   in Loop: Header=BB4_49 Depth=1
	v_mad_nc_u64_u32 v[16:17], v8, 24, v[6:7]
	s_mov_b32 s26, exec_lo
                                        ; implicit-def: $vgpr14_vgpr15
	s_delay_alu instid0(VALU_DEP_1)
	v_mad_u32 v17, v9, 24, v17
	flat_load_b32 v0, v[16:17]
	s_wait_loadcnt_dscnt 0x0
	v_cmp_ne_u32_e32 vcc_lo, 1, v0
	s_wait_xcnt 0x0
	v_cmpx_eq_u32_e32 1, v0
	s_cbranch_execz .LBB4_72
; %bb.71:                               ;   in Loop: Header=BB4_49 Depth=1
	flat_load_b32 v14, v[16:17] offset:4 scope:SCOPE_SYS
	s_wait_loadcnt_dscnt 0x0
	v_ashrrev_i32_e32 v15, 31, v14
.LBB4_72:                               ;   in Loop: Header=BB4_49 Depth=1
	s_wait_xcnt 0x0
	s_or_b32 exec_lo, exec_lo, s26
	s_delay_alu instid0(SALU_CYCLE_1)
	s_or_not1_b32 s10, vcc_lo, exec_lo
.LBB4_73:                               ;   in Loop: Header=BB4_49 Depth=1
	s_or_b32 exec_lo, exec_lo, s25
	s_and_saveexec_b32 s25, s10
	s_cbranch_execz .LBB4_75
; %bb.74:                               ;   in Loop: Header=BB4_49 Depth=1
	scratch_load_b64 v[2:3], off, s33 offset:188 ; 8-byte Folded Reload
	s_wait_loadcnt 0x0
	v_mul_u64_e32 v[14:15], v[8:9], v[2:3]
.LBB4_75:                               ;   in Loop: Header=BB4_49 Depth=1
	s_wait_xcnt 0x0
	s_or_b32 exec_lo, exec_lo, s25
	v_cmp_eq_u32_e32 vcc_lo, 0, v12
	s_delay_alu instid0(VALU_DEP_2) | instskip(SKIP_3) | instid1(VALU_DEP_1)
	v_add_nc_u64_e32 v[2:3], v[26:27], v[14:15]
	v_and_b32_e32 v8, 0x2000, v120
	s_mov_b32 s10, exec_lo
	v_cndmask_b32_e32 v0, 0xc8, v125, vcc_lo
	v_add_nc_u32_e32 v0, v0, v0
	ds_store_b64 v0, v[2:3] offset:584
	v_cmpx_ne_u32_e32 0, v8
	s_cbranch_execz .LBB4_77
; %bb.76:                               ;   in Loop: Header=BB4_49 Depth=1
	ds_load_b64 v[2:3], v0 offset:872
	s_wait_dscnt 0x0
	v_add_nc_u64_e32 v[2:3], 1, v[2:3]
	ds_store_b64 v0, v[2:3] offset:872
.LBB4_77:                               ;   in Loop: Header=BB4_49 Depth=1
	s_or_b32 exec_lo, exec_lo, s10
	v_mov_b64_e32 v[8:9], v[10:11]
.LBB4_78:                               ;   in Loop: Header=BB4_49 Depth=1
	s_or_b32 exec_lo, exec_lo, s11
	s_and_saveexec_b32 s10, s2
	s_cbranch_execz .LBB4_97
; %bb.79:                               ;   in Loop: Header=BB4_49 Depth=1
	s_and_saveexec_b32 s11, s3
	s_delay_alu instid0(SALU_CYCLE_1)
	s_xor_b32 s11, exec_lo, s11
	s_cbranch_execz .LBB4_94
; %bb.80:                               ;   in Loop: Header=BB4_49 Depth=1
	s_and_saveexec_b32 s25, s4
	s_cbranch_execz .LBB4_93
; %bb.81:                               ;   in Loop: Header=BB4_49 Depth=1
	s_mov_b32 s27, exec_lo
	s_mov_b32 s26, exec_lo
	v_mbcnt_lo_u32_b32 v0, s27, 0
	global_wb scope:SCOPE_DEV
	s_wait_storecnt 0x0
	s_wait_loadcnt_dscnt 0x0
	global_inv scope:SCOPE_DEV
	v_cmpx_eq_u32_e32 0, v0
	s_cbranch_execz .LBB4_83
; %bb.82:                               ;   in Loop: Header=BB4_49 Depth=1
	s_bcnt1_i32_b32 s27, s27
	s_delay_alu instid0(SALU_CYCLE_1)
	v_dual_mov_b32 v3, v39 :: v_dual_mov_b32 v2, s27
	s_wait_loadcnt 0x0
	ds_add_u64 v0, v[2:3]
	s_trap 2
.LBB4_83:                               ;   in Loop: Header=BB4_49 Depth=1
	s_or_b32 exec_lo, exec_lo, s26
	s_trap 2
	ds_load_b64 v[2:3], v0
	s_wait_dscnt 0x0
	v_add_nc_u64_e32 v[28:29], v[28:29], v[48:49]
	s_mov_b32 s26, exec_lo
	s_delay_alu instid0(VALU_DEP_1)
	v_cmpx_lt_u64_e64 v[2:3], v[28:29]
	s_cbranch_execz .LBB4_92
; %bb.84:                               ;   in Loop: Header=BB4_49 Depth=1
	s_mov_b32 s27, 0
	s_mov_b32 s40, 0
                                        ; implicit-def: $sgpr28
                                        ; implicit-def: $sgpr29
	s_branch .LBB4_86
.LBB4_85:                               ;   in Loop: Header=BB4_86 Depth=2
	s_or_b32 exec_lo, exec_lo, s42
	s_delay_alu instid0(SALU_CYCLE_1) | instskip(NEXT) | instid1(SALU_CYCLE_1)
	s_and_b32 s41, exec_lo, s43
	s_or_b32 s27, s41, s27
	s_and_not1_b32 s28, s28, exec_lo
	s_and_b32 s41, s29, exec_lo
	s_delay_alu instid0(SALU_CYCLE_1)
	s_or_b32 s28, s28, s41
	s_and_not1_b32 exec_lo, exec_lo, s27
	s_cbranch_execz .LBB4_90
.LBB4_86:                               ;   Parent Loop BB4_49 Depth=1
                                        ; =>  This Inner Loop Header: Depth=2
	s_add_co_i32 s40, s40, 1
	s_delay_alu instid0(SALU_CYCLE_1) | instskip(SKIP_1) | instid1(SALU_CYCLE_1)
	s_cmp_lg_u32 s40, 0x2710
	s_cselect_b32 s41, -1, 0
	s_and_b32 vcc_lo, exec_lo, s41
	s_cbranch_vccz .LBB4_88
; %bb.87:                               ;   in Loop: Header=BB4_86 Depth=2
	s_mov_b32 s43, -1
	s_or_b32 s29, s29, exec_lo
	s_and_saveexec_b32 s42, s41
	s_cbranch_execz .LBB4_85
	s_branch .LBB4_89
.LBB4_88:                               ;   in Loop: Header=BB4_86 Depth=2
	s_trap 2
	ds_load_b64 v[2:3], v0
	s_and_not1_b32 s41, s41, exec_lo
	s_mov_b32 s40, 0
	s_wait_loadcnt_dscnt 0x0
	flat_load_b32 v0, v[2:3] scope:SCOPE_SYS
	s_wait_loadcnt_dscnt 0x0
	global_inv scope:SCOPE_SYS
	v_cmp_eq_u32_e32 vcc_lo, 0, v0
	s_and_b32 s42, vcc_lo, exec_lo
	s_delay_alu instid0(SALU_CYCLE_1)
	s_or_b32 s41, s41, s42
	s_mov_b32 s43, -1
	s_or_b32 s29, s29, exec_lo
	s_and_saveexec_b32 s42, s41
	s_cbranch_execz .LBB4_85
.LBB4_89:                               ;   in Loop: Header=BB4_86 Depth=2
	s_sleep 1
	s_trap 2
	ds_load_b64 v[2:3], v0
	s_wait_dscnt 0x0
	s_and_not1_b32 s29, s29, exec_lo
	v_cmp_ge_u64_e32 vcc_lo, v[2:3], v[28:29]
	s_or_not1_b32 s43, vcc_lo, exec_lo
	s_branch .LBB4_85
.LBB4_90:                               ;   in Loop: Header=BB4_49 Depth=1
	s_or_b32 exec_lo, exec_lo, s27
	s_and_saveexec_b32 s27, s28
	s_delay_alu instid0(SALU_CYCLE_1)
	s_xor_b32 s27, exec_lo, s27
	s_cbranch_execz .LBB4_92
; %bb.91:                               ;   in Loop: Header=BB4_49 Depth=1
	ds_store_b32 v0, v124
	s_trap 2
.LBB4_92:                               ;   in Loop: Header=BB4_49 Depth=1
	s_or_b32 exec_lo, exec_lo, s26
	;;#ASMSTART
	s_wakeup
	;;#ASMEND
.LBB4_93:                               ;   in Loop: Header=BB4_49 Depth=1
	s_or_b32 exec_lo, exec_lo, s25
.LBB4_94:                               ;   in Loop: Header=BB4_49 Depth=1
	s_and_not1_saveexec_b32 s11, s11
	s_cbranch_execz .LBB4_96
; %bb.95:                               ;   in Loop: Header=BB4_49 Depth=1
	global_wb scope:SCOPE_DEV
	s_wait_storecnt 0x0
	s_wait_loadcnt_dscnt 0x0
	global_inv scope:SCOPE_DEV
	s_barrier_signal -1
	s_barrier_wait -1
.LBB4_96:                               ;   in Loop: Header=BB4_49 Depth=1
	s_or_b32 exec_lo, exec_lo, s11
.LBB4_97:                               ;   in Loop: Header=BB4_49 Depth=1
	s_delay_alu instid0(SALU_CYCLE_1) | instskip(SKIP_3) | instid1(VALU_DEP_1)
	s_or_b32 exec_lo, exec_lo, s10
	s_trap 2
	ds_load_b32 v0, v0
	v_and_b32_e32 v2, 0x4000, v120
	v_cmp_ne_u32_e32 vcc_lo, 0, v2
	s_and_b32 s11, s21, vcc_lo
	s_delay_alu instid0(SALU_CYCLE_1)
	s_and_saveexec_b32 s10, s11
	s_cbranch_execz .LBB4_116
; %bb.98:                               ;   in Loop: Header=BB4_49 Depth=1
	s_and_saveexec_b32 s11, s3
	s_delay_alu instid0(SALU_CYCLE_1)
	s_xor_b32 s11, exec_lo, s11
	s_cbranch_execz .LBB4_113
; %bb.99:                               ;   in Loop: Header=BB4_49 Depth=1
	s_and_saveexec_b32 s25, s4
	s_cbranch_execz .LBB4_112
; %bb.100:                              ;   in Loop: Header=BB4_49 Depth=1
	s_mov_b32 s27, exec_lo
	s_mov_b32 s26, exec_lo
	v_mbcnt_lo_u32_b32 v2, s27, 0
	global_wb scope:SCOPE_DEV
	s_wait_storecnt 0x0
	s_wait_loadcnt_dscnt 0x0
	global_inv scope:SCOPE_DEV
	v_cmpx_eq_u32_e32 0, v2
	s_cbranch_execz .LBB4_102
; %bb.101:                              ;   in Loop: Header=BB4_49 Depth=1
	s_bcnt1_i32_b32 s27, s27
	s_delay_alu instid0(SALU_CYCLE_1)
	v_dual_mov_b32 v3, v39 :: v_dual_mov_b32 v2, s27
	s_wait_loadcnt 0x0
	ds_add_u64 v0, v[2:3]
	s_trap 2
.LBB4_102:                              ;   in Loop: Header=BB4_49 Depth=1
	s_or_b32 exec_lo, exec_lo, s26
	s_trap 2
	ds_load_b64 v[2:3], v0
	s_wait_dscnt 0x0
	v_add_nc_u64_e32 v[28:29], v[28:29], v[48:49]
	s_mov_b32 s26, exec_lo
	s_delay_alu instid0(VALU_DEP_1)
	v_cmpx_lt_u64_e64 v[2:3], v[28:29]
	s_cbranch_execz .LBB4_111
; %bb.103:                              ;   in Loop: Header=BB4_49 Depth=1
	s_mov_b32 s27, 0
	s_mov_b32 s40, 0
                                        ; implicit-def: $sgpr28
                                        ; implicit-def: $sgpr29
	s_branch .LBB4_105
.LBB4_104:                              ;   in Loop: Header=BB4_105 Depth=2
	s_or_b32 exec_lo, exec_lo, s42
	s_delay_alu instid0(SALU_CYCLE_1) | instskip(NEXT) | instid1(SALU_CYCLE_1)
	s_and_b32 s41, exec_lo, s43
	s_or_b32 s27, s41, s27
	s_and_not1_b32 s28, s28, exec_lo
	s_and_b32 s41, s29, exec_lo
	s_delay_alu instid0(SALU_CYCLE_1)
	s_or_b32 s28, s28, s41
	s_and_not1_b32 exec_lo, exec_lo, s27
	s_cbranch_execz .LBB4_109
.LBB4_105:                              ;   Parent Loop BB4_49 Depth=1
                                        ; =>  This Inner Loop Header: Depth=2
	s_add_co_i32 s40, s40, 1
	s_delay_alu instid0(SALU_CYCLE_1) | instskip(SKIP_1) | instid1(SALU_CYCLE_1)
	s_cmp_lg_u32 s40, 0x2710
	s_cselect_b32 s41, -1, 0
	s_and_b32 vcc_lo, exec_lo, s41
	s_cbranch_vccz .LBB4_107
; %bb.106:                              ;   in Loop: Header=BB4_105 Depth=2
	s_mov_b32 s43, -1
	s_or_b32 s29, s29, exec_lo
	s_and_saveexec_b32 s42, s41
	s_cbranch_execz .LBB4_104
	s_branch .LBB4_108
.LBB4_107:                              ;   in Loop: Header=BB4_105 Depth=2
	s_trap 2
	ds_load_b64 v[2:3], v0
	s_and_not1_b32 s41, s41, exec_lo
	s_mov_b32 s40, 0
	s_wait_loadcnt_dscnt 0x0
	flat_load_b32 v2, v[2:3] scope:SCOPE_SYS
	s_wait_loadcnt_dscnt 0x0
	global_inv scope:SCOPE_SYS
	v_cmp_eq_u32_e32 vcc_lo, 0, v2
	s_and_b32 s42, vcc_lo, exec_lo
	s_delay_alu instid0(SALU_CYCLE_1)
	s_or_b32 s41, s41, s42
	s_mov_b32 s43, -1
	s_or_b32 s29, s29, exec_lo
	s_and_saveexec_b32 s42, s41
	s_cbranch_execz .LBB4_104
.LBB4_108:                              ;   in Loop: Header=BB4_105 Depth=2
	s_sleep 1
	s_trap 2
	ds_load_b64 v[2:3], v0
	s_wait_dscnt 0x0
	s_and_not1_b32 s29, s29, exec_lo
	v_cmp_ge_u64_e32 vcc_lo, v[2:3], v[28:29]
	s_or_not1_b32 s43, vcc_lo, exec_lo
	s_branch .LBB4_104
.LBB4_109:                              ;   in Loop: Header=BB4_49 Depth=1
	s_or_b32 exec_lo, exec_lo, s27
	s_and_saveexec_b32 s27, s28
	s_delay_alu instid0(SALU_CYCLE_1)
	s_xor_b32 s27, exec_lo, s27
	s_cbranch_execz .LBB4_111
; %bb.110:                              ;   in Loop: Header=BB4_49 Depth=1
	ds_store_b32 v0, v124
	s_trap 2
.LBB4_111:                              ;   in Loop: Header=BB4_49 Depth=1
	s_or_b32 exec_lo, exec_lo, s26
	;;#ASMSTART
	s_wakeup
	;;#ASMEND
.LBB4_112:                              ;   in Loop: Header=BB4_49 Depth=1
	s_or_b32 exec_lo, exec_lo, s25
.LBB4_113:                              ;   in Loop: Header=BB4_49 Depth=1
	s_and_not1_saveexec_b32 s11, s11
	s_cbranch_execz .LBB4_115
; %bb.114:                              ;   in Loop: Header=BB4_49 Depth=1
	global_wb scope:SCOPE_DEV
	s_wait_storecnt 0x0
	s_wait_loadcnt_dscnt 0x0
	global_inv scope:SCOPE_DEV
	s_barrier_signal -1
	s_barrier_wait -1
.LBB4_115:                              ;   in Loop: Header=BB4_49 Depth=1
	s_or_b32 exec_lo, exec_lo, s11
.LBB4_116:                              ;   in Loop: Header=BB4_49 Depth=1
	s_delay_alu instid0(SALU_CYCLE_1)
	s_or_b32 exec_lo, exec_lo, s10
	s_trap 2
	s_wait_dscnt 0x0
	ds_load_b64 v[82:83], v0
	s_wait_dscnt 0x0
	v_cmp_eq_u64_e32 vcc_lo, 0, v[82:83]
	s_cbranch_vccnz .LBB4_124
; %bb.117:                              ;   in Loop: Header=BB4_49 Depth=1
	s_trap 2
	ds_load_b64 v[84:85], v0
	s_wait_dscnt 0x0
	v_cmp_eq_u64_e32 vcc_lo, 0, v[84:85]
	s_cbranch_vccnz .LBB4_124
; %bb.118:                              ;   in Loop: Header=BB4_49 Depth=1
	s_mov_b32 s10, -1
	s_and_saveexec_b32 s11, s5
	s_cbranch_execz .LBB4_120
; %bb.119:                              ;   in Loop: Header=BB4_49 Depth=1
	ds_load_b32 v2, v0 offset:720
	s_wait_dscnt 0x0
	v_and_b32_e32 v2, 15, v2
	s_delay_alu instid0(VALU_DEP_1)
	v_cmp_eq_u32_e32 vcc_lo, 0, v2
	s_or_not1_b32 s10, vcc_lo, exec_lo
.LBB4_120:                              ;   in Loop: Header=BB4_49 Depth=1
	s_or_b32 exec_lo, exec_lo, s11
	s_and_saveexec_b32 s11, s6
	s_cbranch_execz .LBB4_122
; %bb.121:                              ;   in Loop: Header=BB4_49 Depth=1
	ds_load_b32 v2, v0 offset:784
	s_wait_dscnt 0x0
	v_and_b32_e32 v2, 15, v2
	s_delay_alu instid0(VALU_DEP_1) | instskip(SKIP_3) | instid1(SALU_CYCLE_1)
	v_cmp_eq_u32_e32 vcc_lo, 0, v2
	s_and_b32 s25, s10, vcc_lo
	s_and_not1_b32 s10, s10, exec_lo
	s_and_b32 s25, s25, exec_lo
	s_or_b32 s10, s10, s25
.LBB4_122:                              ;   in Loop: Header=BB4_49 Depth=1
	s_or_b32 exec_lo, exec_lo, s11
	v_cmp_eq_u32_e32 vcc_lo, 0, v0
	s_xor_b32 s10, s10, -1
	v_mov_b32_e32 v30, 0
	v_cndmask_b32_e64 v2, 0, 1, s10
	s_mov_b32 s10, -1
	v_dual_cndmask_b32 v123, 0, v80 :: v_dual_mov_b32 v0, v121
	s_delay_alu instid0(VALU_DEP_2) | instskip(NEXT) | instid1(VALU_DEP_2)
	v_cmp_ne_u32_e32 vcc_lo, 0, v2
	v_mov_b32_e32 v71, v123
	s_cbranch_vccz .LBB4_125
; %bb.123:                              ;   in Loop: Header=BB4_49 Depth=1
	s_and_saveexec_b32 s25, s10
	s_cbranch_execnz .LBB4_3448
	s_branch .LBB4_4798
.LBB4_124:                              ;   in Loop: Header=BB4_49 Depth=1
	s_mov_b32 s10, 0
	s_and_saveexec_b32 s11, s2
	s_cbranch_execnz .LBB4_4799
	s_branch .LBB4_4817
.LBB4_125:                              ;   in Loop: Header=BB4_49 Depth=1
	v_dual_lshrrev_b32 v0, 10, v123 :: v_dual_lshrrev_b32 v2, 5, v121
	s_mov_b32 s11, exec_lo
	s_delay_alu instid0(VALU_DEP_1) | instskip(NEXT) | instid1(VALU_DEP_1)
	v_sub_nc_u32_e32 v81, v0, v2
	v_cmpx_lt_i32_e32 0, v81
	s_cbranch_execz .LBB4_2377
; %bb.126:                              ;   in Loop: Header=BB4_49 Depth=1
	s_trap 2
	ds_load_b64 v[2:3], v0
	v_add_nc_u64_e32 v[86:87], v[82:83], v[50:51]
	v_add_nc_u64_e32 v[96:97], v[84:85], v[50:51]
	s_wait_dscnt 0x0
	v_readfirstlane_b32 s26, v2
	v_readfirstlane_b32 s27, v3
	v_add_nc_u64_e32 v[98:99], v[2:3], v[50:51]
	s_and_b32 s25, s26, 3
	s_bfe_i32 s10, s26, 0x80000
	s_clz_i32_u32 s40, s25
	s_bfe_u32 s28, s26, 0x50002
	s_min_u32 s40, s40, 32
	s_and_b32 s29, s26, 0x7c
	s_sub_co_i32 s43, s40, 29
	s_lshl_b32 s41, s26, 24
	s_sext_i32_i8 s42, s26
	s_lshl_b64 s[26:27], s[26:27], s43
	s_and_b32 s41, s41, 0x80000000
	s_sub_co_i32 s27, 30, s40
	s_and_b32 s26, s26, 3
	s_cmp_gt_i32 s42, -1
	s_cselect_b32 s40, s22, 0xff800000
	s_cmp_eq_u32 s25, 0
	s_cselect_b32 s40, s40, 0x7f800001
	s_cmp_eq_u32 s28, 0
	s_cselect_b32 s27, s27, s28
	s_cselect_b32 s25, s26, s25
	s_lshl_b32 s26, s27, 23
	s_lshl_b32 s25, s25, 21
	s_add_co_i32 s26, s26, s41
	s_delay_alu instid0(SALU_CYCLE_1)
	s_or_b32 s25, s26, s25
	s_mov_b32 s26, 0
	s_add_co_i32 s25, s25, 0x38000000
	s_cmp_eq_u32 s29, 0x7c
	s_cselect_b32 s25, s40, s25
	s_and_b32 s27, s10, 0xff
	s_delay_alu instid0(SALU_CYCLE_1)
	s_and_b32 s28, 0xffff, s27
	s_branch .LBB4_129
.LBB4_127:                              ;   in Loop: Header=BB4_129 Depth=2
	s_or_b32 exec_lo, exec_lo, s29
.LBB4_128:                              ;   in Loop: Header=BB4_129 Depth=2
	s_delay_alu instid0(SALU_CYCLE_1)
	s_or_b32 exec_lo, exec_lo, s10
	v_lshl_or_b32 v11, v60, 8, v45
	v_dual_lshlrev_b32 v12, 16, v102 :: v_dual_lshlrev_b32 v20, 24, v119
	v_dual_lshlrev_b32 v13, 24, v30 :: v_dual_lshlrev_b32 v24, 16, v63
	v_lshl_or_b32 v0, v0, 8, v112
	v_dual_lshlrev_b32 v15, 16, v114 :: v_dual_lshlrev_b32 v25, 24, v73
	v_lshl_or_b32 v21, v58, 8, v103
	s_delay_alu instid0(VALU_DEP_4) | instskip(SKIP_1) | instid1(VALU_DEP_4)
	v_or3_b32 v113, v11, v12, v13
	v_lshlrev_b32_e32 v11, 16, v100
	v_or3_b32 v112, v0, v15, v20
	v_lshlrev_b32_e32 v0, 24, v101
	v_lshl_or_b32 v12, v59, 8, v46
	v_or3_b32 v114, v21, v24, v25
	v_lshl_or_b32 v13, v42, 8, v116
	v_dual_lshlrev_b32 v15, 16, v16 :: v_dual_lshlrev_b32 v16, 24, v17
	v_lshl_or_b32 v17, v47, 8, v41
	v_dual_lshlrev_b32 v20, 16, v57 :: v_dual_lshlrev_b32 v24, 16, v40
	v_dual_lshlrev_b32 v21, 24, v61 :: v_dual_lshlrev_b32 v25, 24, v43
	v_lshl_or_b32 v3, v117, 8, v3
	v_dual_lshlrev_b32 v30, 24, v10 :: v_dual_sub_nc_u32 v81, v81, v48
	v_lshlrev_b32_e32 v14, 16, v14
	v_lshl_or_b32 v2, v2, 8, v71
	v_or3_b32 v115, v12, v11, v0
	v_or3_b32 v11, v13, v15, v16
	;; [unrolled: 1-line block ×5, first 2 shown]
	s_clause 0x1
	global_store_b128 v[96:97], v[112:115], off th:TH_STORE_NT
	global_store_b128 v[96:97], v[10:13], off offset:512 th:TH_STORE_NT
	v_add_nc_u64_e32 v[86:87], v[86:87], v[52:53]
	v_add_nc_u64_e32 v[98:99], v[98:99], v[52:53]
	v_cmp_gt_i32_e32 vcc_lo, 1, v81
	s_wait_xcnt 0x0
	v_add_nc_u64_e32 v[96:97], v[96:97], v[52:53]
	s_or_b32 s26, vcc_lo, s26
	s_delay_alu instid0(SALU_CYCLE_1)
	s_and_not1_b32 exec_lo, exec_lo, s26
	s_cbranch_execz .LBB4_2376
.LBB4_129:                              ;   Parent Loop BB4_49 Depth=1
                                        ; =>  This Inner Loop Header: Depth=2
	s_cmp_lt_i32 s27, 0x80
	s_cbranch_scc1 .LBB4_133
; %bb.130:                              ;   in Loop: Header=BB4_129 Depth=2
	s_cmp_eq_u32 s28, 0x80
	s_mov_b32 s10, -1
	s_cbranch_scc0 .LBB4_132
; %bb.131:                              ;   in Loop: Header=BB4_129 Depth=2
	s_mov_b32 s10, 0
.LBB4_132:                              ;   in Loop: Header=BB4_129 Depth=2
	s_brev_b32 s29, 1
	s_branch .LBB4_135
.LBB4_133:                              ;   in Loop: Header=BB4_129 Depth=2
	s_mov_b32 s10, 0
	s_brev_b32 s29, 1
	s_cbranch_execz .LBB4_135
; %bb.134:                              ;   in Loop: Header=BB4_129 Depth=2
	s_cmp_lg_u32 s28, 0
	s_mov_b32 s29, 0
	s_cselect_b32 s10, -1, 0
.LBB4_135:                              ;   in Loop: Header=BB4_129 Depth=2
	s_delay_alu instid0(SALU_CYCLE_1)
	s_and_not1_b32 vcc_lo, exec_lo, s10
	s_cbranch_vccnz .LBB4_137
; %bb.136:                              ;   in Loop: Header=BB4_129 Depth=2
	s_mov_b32 s29, s25
.LBB4_137:                              ;   in Loop: Header=BB4_129 Depth=2
	global_load_b128 v[10:13], v[86:87], off th:TH_LOAD_NT
	s_wait_loadcnt 0x0
	v_and_b32_e32 v0, 0xff, v10
	s_delay_alu instid0(VALU_DEP_1)
	v_cmp_ne_u16_e32 vcc_lo, 0, v0
	v_mov_b32_e32 v0, 0
	s_wait_xcnt 0x0
	s_and_saveexec_b32 s10, vcc_lo
	s_cbranch_execz .LBB4_147
; %bb.138:                              ;   in Loop: Header=BB4_129 Depth=2
	v_bfe_i32 v3, v10, 0, 8
	v_bfrev_b32_e32 v0, 1
	s_mov_b32 s40, exec_lo
	s_delay_alu instid0(VALU_DEP_2)
	v_cmpx_ne_u16_e32 0xff80, v3
	s_cbranch_execz .LBB4_146
; %bb.139:                              ;   in Loop: Header=BB4_129 Depth=2
	v_and_b32_e32 v0, 0x7c, v10
	v_and_b32_e32 v2, 3, v10
	s_delay_alu instid0(VALU_DEP_2) | instskip(SKIP_1) | instid1(SALU_CYCLE_1)
	v_cmp_ne_u32_e32 vcc_lo, 0x7c, v0
                                        ; implicit-def: $vgpr0
	s_and_saveexec_b32 s41, vcc_lo
	s_xor_b32 s41, exec_lo, s41
	s_cbranch_execz .LBB4_143
; %bb.140:                              ;   in Loop: Header=BB4_129 Depth=2
	v_bfe_u32 v0, v10, 2, 5
	s_mov_b32 s42, exec_lo
	s_delay_alu instid0(VALU_DEP_1)
	v_cmpx_eq_u32_e32 0, v0
; %bb.141:                              ;   in Loop: Header=BB4_129 Depth=2
	v_clz_i32_u32_e32 v0, v2
	s_delay_alu instid0(VALU_DEP_1) | instskip(NEXT) | instid1(VALU_DEP_1)
	v_min_u32_e32 v0, 32, v0
	v_subrev_nc_u32_e32 v2, 29, v0
	s_delay_alu instid0(VALU_DEP_1) | instskip(NEXT) | instid1(VALU_DEP_1)
	v_lshlrev_b64_e32 v[2:3], v2, v[10:11]
	v_dual_sub_nc_u32 v0, 30, v0 :: v_dual_bitop2_b32 v2, 3, v2 bitop3:0x40
; %bb.142:                              ;   in Loop: Header=BB4_129 Depth=2
	s_or_b32 exec_lo, exec_lo, s42
	v_lshlrev_b32_e32 v3, 24, v10
	s_delay_alu instid0(VALU_DEP_1) | instskip(NEXT) | instid1(VALU_DEP_1)
	v_and_b32_e32 v3, 0x80000000, v3
	v_lshl_add_u32 v0, v0, 23, v3
                                        ; implicit-def: $vgpr3
	s_delay_alu instid0(VALU_DEP_1) | instskip(NEXT) | instid1(VALU_DEP_1)
	v_lshl_or_b32 v0, v2, 21, v0
                                        ; implicit-def: $vgpr2
	v_add_nc_u32_e32 v0, 0x38000000, v0
.LBB4_143:                              ;   in Loop: Header=BB4_129 Depth=2
	s_and_not1_saveexec_b32 s41, s41
; %bb.144:                              ;   in Loop: Header=BB4_129 Depth=2
	v_cmp_lt_i16_e32 vcc_lo, -1, v3
	v_cndmask_b32_e32 v0, 0xff800000, v126, vcc_lo
	v_cmp_eq_u32_e32 vcc_lo, 0, v2
	s_delay_alu instid0(VALU_DEP_2)
	v_cndmask_b32_e32 v0, 0x7f800001, v0, vcc_lo
; %bb.145:                              ;   in Loop: Header=BB4_129 Depth=2
	s_or_b32 exec_lo, exec_lo, s41
.LBB4_146:                              ;   in Loop: Header=BB4_129 Depth=2
	s_delay_alu instid0(SALU_CYCLE_1)
	s_or_b32 exec_lo, exec_lo, s40
.LBB4_147:                              ;   in Loop: Header=BB4_129 Depth=2
	s_delay_alu instid0(SALU_CYCLE_1) | instskip(NEXT) | instid1(VALU_DEP_1)
	s_or_b32 exec_lo, exec_lo, s10
	v_dual_mul_f32 v3, s29, v0 :: v_dual_mov_b32 v15, v39
                                        ; implicit-def: $vgpr0
	s_mov_b32 s10, exec_lo
	s_delay_alu instid0(VALU_DEP_1) | instskip(SKIP_2) | instid1(VALU_DEP_3)
	v_and_b32_e32 v14, 0x7f800000, v3
	v_and_b32_e32 v38, 0x7fffff, v3
	v_lshrrev_b32_e32 v2, 24, v3
	v_cmpx_ne_u64_e32 0x7f800000, v[14:15]
	s_xor_b32 s40, exec_lo, s10
	s_cbranch_execz .LBB4_161
; %bb.148:                              ;   in Loop: Header=BB4_129 Depth=2
	v_and_b32_e32 v14, 0x7fffffff, v3
	v_mov_b32_e32 v15, v39
	v_and_b32_e32 v2, 0x80, v2
                                        ; implicit-def: $vgpr0
	s_mov_b32 s10, exec_lo
	s_delay_alu instid0(VALU_DEP_2)
	v_cmpx_gt_u64_e32 0x47600001, v[14:15]
	s_xor_b32 s41, exec_lo, s10
	s_cbranch_execz .LBB4_158
; %bb.149:                              ;   in Loop: Header=BB4_129 Depth=2
	v_mov_b32_e32 v0, 0
	s_mov_b32 s42, exec_lo
	v_cmpx_ne_u32_e32 0, v3
	s_cbranch_execz .LBB4_157
; %bb.150:                              ;   in Loop: Header=BB4_129 Depth=2
	v_bfe_u32 v0, v3, 23, 8
	v_or_b32_e32 v16, 0x800000, v38
	s_mov_b32 s43, exec_lo
	v_mov_b32_e32 v17, v39
	s_delay_alu instid0(VALU_DEP_3) | instskip(SKIP_1) | instid1(VALU_DEP_2)
	v_sub_nc_u32_e32 v3, 0x71, v0
	v_cmp_gt_u32_e32 vcc_lo, 0x72, v0
	v_cndmask_b32_e32 v3, 0, v3, vcc_lo
	v_cmp_eq_u32_e32 vcc_lo, 0, v0
	s_delay_alu instid0(VALU_DEP_2) | instskip(NEXT) | instid1(VALU_DEP_1)
	v_cndmask_b32_e64 v3, v3, 0x70, vcc_lo
	v_dual_cndmask_b32 v16, v16, v38, vcc_lo :: v_dual_add_nc_u32 v14, 21, v3
	v_add_nc_u32_e32 v20, 20, v3
	s_delay_alu instid0(VALU_DEP_2) | instskip(NEXT) | instid1(VALU_DEP_2)
	v_lshlrev_b64_e64 v[14:15], v14, -1
	v_lshlrev_b64_e64 v[20:21], v20, 1
	s_delay_alu instid0(VALU_DEP_2) | instskip(NEXT) | instid1(VALU_DEP_3)
	v_bfi_b32 v25, v15, 0, 0
	v_bfi_b32 v24, v14, 0, v16
	v_lshrrev_b64 v[14:15], v3, v[16:17]
	s_delay_alu instid0(VALU_DEP_1) | instskip(NEXT) | instid1(VALU_DEP_3)
	v_mov_b64_e32 v[16:17], v[14:15]
	v_cmpx_eq_u64_e64 v[24:25], v[20:21]
; %bb.151:                              ;   in Loop: Header=BB4_129 Depth=2
	v_bfe_u32 v16, v14, 21, 1
	v_mov_b32_e32 v17, v39
	s_delay_alu instid0(VALU_DEP_1) | instskip(NEXT) | instid1(VALU_DEP_1)
	v_add_nc_u64_e32 v[16:17], v[14:15], v[16:17]
	v_add_nc_u64_e32 v[16:17], -1, v[16:17]
; %bb.152:                              ;   in Loop: Header=BB4_129 Depth=2
	s_or_b32 exec_lo, exec_lo, s43
	v_add_nc_u32_e32 v0, 0xffffff81, v0
	v_lshrrev_b32_e32 v15, 23, v14
	s_mov_b32 s10, exec_lo
	s_delay_alu instid0(VALU_DEP_2) | instskip(NEXT) | instid1(VALU_DEP_1)
	v_cndmask_b32_e64 v0, v0, 0xffffff82, vcc_lo
	v_add3_u32 v3, v3, v0, v15
	v_and_b32_e32 v0, 0x1fffff, v16
	s_delay_alu instid0(VALU_DEP_1) | instskip(NEXT) | instid1(VALU_DEP_1)
	v_dual_add_nc_u32 v16, 14, v3 :: v_dual_add_nc_u32 v38, v0, v14
                                        ; implicit-def: $vgpr14_vgpr15
                                        ; implicit-def: $vgpr0
	v_cmpx_ne_u32_e32 0, v16
	s_xor_b32 s10, exec_lo, s10
; %bb.153:                              ;   in Loop: Header=BB4_129 Depth=2
	s_delay_alu instid0(VALU_DEP_2) | instskip(SKIP_2) | instid1(VALU_DEP_2)
	v_cmp_lt_u64_e32 vcc_lo, 0xffffff, v[38:39]
	v_add_nc_u32_e32 v0, 15, v3
	v_cndmask_b32_e64 v3, 0, 1, vcc_lo
	v_cndmask_b32_e32 v0, v16, v0, vcc_lo
	s_delay_alu instid0(VALU_DEP_2)
	v_lshrrev_b64 v[14:15], v3, v[38:39]
; %bb.154:                              ;   in Loop: Header=BB4_129 Depth=2
	s_and_not1_saveexec_b32 s10, s10
; %bb.155:                              ;   in Loop: Header=BB4_129 Depth=2
	v_mov_b64_e32 v[14:15], v[38:39]
	v_bfe_u32 v0, v38, 23, 1
; %bb.156:                              ;   in Loop: Header=BB4_129 Depth=2
	s_or_b32 exec_lo, exec_lo, s10
	s_delay_alu instid0(VALU_DEP_2) | instskip(NEXT) | instid1(VALU_DEP_2)
	v_lshrrev_b64 v[14:15], 21, v[14:15]
	v_cmp_gt_i32_e32 vcc_lo, 32, v0
	v_min_i32_e32 v3, 31, v0
	v_cmp_eq_u32_e64 s10, 0, v0
	s_delay_alu instid0(VALU_DEP_4) | instskip(NEXT) | instid1(VALU_DEP_3)
	v_cndmask_b32_e32 v15, 0, v15, vcc_lo
	v_dual_cndmask_b32 v14, 3, v14 :: v_dual_lshlrev_b32 v3, 2, v3
	s_delay_alu instid0(VALU_DEP_1) | instskip(NEXT) | instid1(VALU_DEP_2)
	v_and_b32_e32 v3, 0xfc, v3
	v_cmp_eq_u64_e32 vcc_lo, 0, v[14:15]
	s_delay_alu instid0(VALU_DEP_2)
	v_and_or_b32 v0, v14, 3, v3
	s_and_b32 s10, s10, vcc_lo
	s_delay_alu instid0(VALU_DEP_1) | instid1(SALU_CYCLE_1)
	v_cndmask_b32_e64 v0, v0, 0, s10
	s_delay_alu instid0(VALU_DEP_1)
	v_or_b32_e32 v0, v0, v2
.LBB4_157:                              ;   in Loop: Header=BB4_129 Depth=2
	s_or_b32 exec_lo, exec_lo, s42
                                        ; implicit-def: $vgpr2
.LBB4_158:                              ;   in Loop: Header=BB4_129 Depth=2
	s_and_not1_saveexec_b32 s10, s41
; %bb.159:                              ;   in Loop: Header=BB4_129 Depth=2
	v_or_b32_e32 v0, 0x7b, v2
; %bb.160:                              ;   in Loop: Header=BB4_129 Depth=2
	s_or_b32 exec_lo, exec_lo, s10
                                        ; implicit-def: $vgpr3
                                        ; implicit-def: $vgpr2
.LBB4_161:                              ;   in Loop: Header=BB4_129 Depth=2
	s_and_not1_saveexec_b32 s10, s40
	s_cbranch_execz .LBB4_167
; %bb.162:                              ;   in Loop: Header=BB4_129 Depth=2
	s_mov_b32 s40, exec_lo
                                        ; implicit-def: $vgpr0
	v_cmpx_ne_u64_e32 0, v[38:39]
	s_xor_b32 s40, exec_lo, s40
; %bb.163:                              ;   in Loop: Header=BB4_129 Depth=2
	v_or_b32_e32 v0, 0x7f, v2
                                        ; implicit-def: $vgpr3
; %bb.164:                              ;   in Loop: Header=BB4_129 Depth=2
	s_and_not1_saveexec_b32 s40, s40
; %bb.165:                              ;   in Loop: Header=BB4_129 Depth=2
	v_cmp_lt_i32_e32 vcc_lo, -1, v3
	v_cndmask_b32_e32 v0, 0xfc, v122, vcc_lo
; %bb.166:                              ;   in Loop: Header=BB4_129 Depth=2
	s_or_b32 exec_lo, exec_lo, s40
.LBB4_167:                              ;   in Loop: Header=BB4_129 Depth=2
	s_delay_alu instid0(SALU_CYCLE_1) | instskip(SKIP_3) | instid1(VALU_DEP_2)
	s_or_b32 exec_lo, exec_lo, s10
	v_lshrrev_b16 v14, 8, v10
	v_mov_b32_e32 v3, 0
	s_mov_b32 s10, exec_lo
	v_cmpx_ne_u16_e32 0, v14
	s_cbranch_execz .LBB4_177
; %bb.168:                              ;   in Loop: Header=BB4_129 Depth=2
	v_bfrev_b32_e32 v3, 1
	s_mov_b32 s40, exec_lo
	v_cmpx_ne_u16_e32 0x80, v14
	s_cbranch_execz .LBB4_176
; %bb.169:                              ;   in Loop: Header=BB4_129 Depth=2
	v_and_b32_e32 v15, 0xffff, v14
	s_delay_alu instid0(VALU_DEP_1) | instskip(SKIP_1) | instid1(VALU_DEP_2)
	v_and_b32_e32 v3, 0x7c, v15
	v_and_b32_e32 v2, 3, v15
	v_cmp_ne_u32_e32 vcc_lo, 0x7c, v3
                                        ; implicit-def: $vgpr3
	s_and_saveexec_b32 s41, vcc_lo
	s_delay_alu instid0(SALU_CYCLE_1)
	s_xor_b32 s41, exec_lo, s41
	s_cbranch_execz .LBB4_173
; %bb.170:                              ;   in Loop: Header=BB4_129 Depth=2
	v_bfe_u32 v3, v15, 2, 5
	s_mov_b32 s42, exec_lo
	s_delay_alu instid0(VALU_DEP_1)
	v_cmpx_eq_u32_e32 0, v3
; %bb.171:                              ;   in Loop: Header=BB4_129 Depth=2
	v_clz_i32_u32_e32 v2, v2
	s_delay_alu instid0(VALU_DEP_1) | instskip(SKIP_1) | instid1(VALU_DEP_2)
	v_min_u32_e32 v16, 32, v2
	v_mov_b32_e32 v15, v39
	v_subrev_nc_u32_e32 v2, 29, v16
	s_delay_alu instid0(VALU_DEP_1) | instskip(NEXT) | instid1(VALU_DEP_1)
	v_lshlrev_b64_e32 v[2:3], v2, v[14:15]
	v_dual_sub_nc_u32 v3, 30, v16 :: v_dual_bitop2_b32 v2, 3, v2 bitop3:0x40
; %bb.172:                              ;   in Loop: Header=BB4_129 Depth=2
	s_or_b32 exec_lo, exec_lo, s42
	v_lshlrev_b32_e32 v14, 16, v10
	s_delay_alu instid0(VALU_DEP_1) | instskip(NEXT) | instid1(VALU_DEP_1)
	v_and_b32_e32 v14, 0x80000000, v14
	v_lshl_add_u32 v3, v3, 23, v14
	s_delay_alu instid0(VALU_DEP_1) | instskip(NEXT) | instid1(VALU_DEP_1)
	v_lshl_or_b32 v2, v2, 21, v3
	v_add_nc_u32_e32 v3, 0x38000000, v2
                                        ; implicit-def: $vgpr2
.LBB4_173:                              ;   in Loop: Header=BB4_129 Depth=2
	s_and_not1_saveexec_b32 s41, s41
; %bb.174:                              ;   in Loop: Header=BB4_129 Depth=2
	v_cmp_lt_i16_e32 vcc_lo, -1, v10
	v_cndmask_b32_e32 v3, 0xff800000, v126, vcc_lo
	v_cmp_eq_u32_e32 vcc_lo, 0, v2
	s_delay_alu instid0(VALU_DEP_2)
	v_cndmask_b32_e32 v3, 0x7f800001, v3, vcc_lo
; %bb.175:                              ;   in Loop: Header=BB4_129 Depth=2
	s_or_b32 exec_lo, exec_lo, s41
.LBB4_176:                              ;   in Loop: Header=BB4_129 Depth=2
	s_delay_alu instid0(SALU_CYCLE_1)
	s_or_b32 exec_lo, exec_lo, s40
.LBB4_177:                              ;   in Loop: Header=BB4_129 Depth=2
	s_delay_alu instid0(SALU_CYCLE_1) | instskip(NEXT) | instid1(VALU_DEP_1)
	s_or_b32 exec_lo, exec_lo, s10
	v_dual_mul_f32 v3, s29, v3 :: v_dual_mov_b32 v15, v39
                                        ; implicit-def: $vgpr30
	s_mov_b32 s10, exec_lo
	s_delay_alu instid0(VALU_DEP_1) | instskip(SKIP_2) | instid1(VALU_DEP_3)
	v_and_b32_e32 v14, 0x7f800000, v3
	v_and_b32_e32 v38, 0x7fffff, v3
	v_lshrrev_b32_e32 v2, 24, v3
	v_cmpx_ne_u64_e32 0x7f800000, v[14:15]
	s_xor_b32 s40, exec_lo, s10
	s_cbranch_execz .LBB4_191
; %bb.178:                              ;   in Loop: Header=BB4_129 Depth=2
	v_and_b32_e32 v14, 0x7fffffff, v3
	v_mov_b32_e32 v15, v39
	v_and_b32_e32 v2, 0x80, v2
                                        ; implicit-def: $vgpr30
	s_mov_b32 s10, exec_lo
	s_delay_alu instid0(VALU_DEP_2)
	v_cmpx_gt_u64_e32 0x47600001, v[14:15]
	s_xor_b32 s41, exec_lo, s10
	s_cbranch_execz .LBB4_188
; %bb.179:                              ;   in Loop: Header=BB4_129 Depth=2
	v_mov_b32_e32 v30, 0
	s_mov_b32 s42, exec_lo
	v_cmpx_ne_u32_e32 0, v3
	s_cbranch_execz .LBB4_187
; %bb.180:                              ;   in Loop: Header=BB4_129 Depth=2
	v_bfe_u32 v3, v3, 23, 8
	v_or_b32_e32 v16, 0x800000, v38
	s_mov_b32 s43, exec_lo
	s_delay_alu instid0(VALU_DEP_2) | instskip(SKIP_1) | instid1(VALU_DEP_2)
	v_dual_mov_b32 v17, v39 :: v_dual_sub_nc_u32 v14, 0x71, v3
	v_cmp_gt_u32_e32 vcc_lo, 0x72, v3
	v_cndmask_b32_e32 v14, 0, v14, vcc_lo
	v_cmp_eq_u32_e32 vcc_lo, 0, v3
	s_delay_alu instid0(VALU_DEP_2) | instskip(NEXT) | instid1(VALU_DEP_1)
	v_cndmask_b32_e64 v20, v14, 0x70, vcc_lo
	v_dual_cndmask_b32 v16, v16, v38, vcc_lo :: v_dual_add_nc_u32 v14, 21, v20
	v_add_nc_u32_e32 v21, 20, v20
	s_delay_alu instid0(VALU_DEP_2) | instskip(NEXT) | instid1(VALU_DEP_2)
	v_lshlrev_b64_e64 v[14:15], v14, -1
	v_lshlrev_b64_e64 v[24:25], v21, 1
	s_delay_alu instid0(VALU_DEP_2) | instskip(NEXT) | instid1(VALU_DEP_3)
	v_bfi_b32 v31, v15, 0, 0
	v_bfi_b32 v30, v14, 0, v16
	v_lshrrev_b64 v[14:15], v20, v[16:17]
	s_delay_alu instid0(VALU_DEP_1) | instskip(NEXT) | instid1(VALU_DEP_3)
	v_mov_b64_e32 v[16:17], v[14:15]
	v_cmpx_eq_u64_e64 v[30:31], v[24:25]
; %bb.181:                              ;   in Loop: Header=BB4_129 Depth=2
	v_bfe_u32 v16, v14, 21, 1
	v_mov_b32_e32 v17, v39
	s_delay_alu instid0(VALU_DEP_1) | instskip(NEXT) | instid1(VALU_DEP_1)
	v_add_nc_u64_e32 v[16:17], v[14:15], v[16:17]
	v_add_nc_u64_e32 v[16:17], -1, v[16:17]
; %bb.182:                              ;   in Loop: Header=BB4_129 Depth=2
	s_or_b32 exec_lo, exec_lo, s43
	v_add_nc_u32_e32 v3, 0xffffff81, v3
	v_lshrrev_b32_e32 v15, 23, v14
	s_mov_b32 s10, exec_lo
	s_delay_alu instid0(VALU_DEP_2) | instskip(NEXT) | instid1(VALU_DEP_1)
	v_cndmask_b32_e64 v3, v3, 0xffffff82, vcc_lo
	v_add3_u32 v17, v20, v3, v15
	v_and_b32_e32 v3, 0x1fffff, v16
	s_delay_alu instid0(VALU_DEP_1) | instskip(NEXT) | instid1(VALU_DEP_1)
	v_dual_add_nc_u32 v16, 14, v17 :: v_dual_add_nc_u32 v38, v3, v14
                                        ; implicit-def: $vgpr14_vgpr15
                                        ; implicit-def: $vgpr3
	v_cmpx_ne_u32_e32 0, v16
	s_xor_b32 s10, exec_lo, s10
; %bb.183:                              ;   in Loop: Header=BB4_129 Depth=2
	s_delay_alu instid0(VALU_DEP_2) | instskip(SKIP_2) | instid1(VALU_DEP_2)
	v_cmp_lt_u64_e32 vcc_lo, 0xffffff, v[38:39]
	v_add_nc_u32_e32 v3, 15, v17
	v_cndmask_b32_e64 v14, 0, 1, vcc_lo
	v_cndmask_b32_e32 v3, v16, v3, vcc_lo
	s_delay_alu instid0(VALU_DEP_2)
	v_lshrrev_b64 v[14:15], v14, v[38:39]
; %bb.184:                              ;   in Loop: Header=BB4_129 Depth=2
	s_and_not1_saveexec_b32 s10, s10
; %bb.185:                              ;   in Loop: Header=BB4_129 Depth=2
	v_mov_b64_e32 v[14:15], v[38:39]
	v_bfe_u32 v3, v38, 23, 1
; %bb.186:                              ;   in Loop: Header=BB4_129 Depth=2
	s_or_b32 exec_lo, exec_lo, s10
	s_delay_alu instid0(VALU_DEP_2) | instskip(NEXT) | instid1(VALU_DEP_2)
	v_lshrrev_b64 v[14:15], 21, v[14:15]
	v_cmp_gt_i32_e32 vcc_lo, 32, v3
	v_min_i32_e32 v16, 31, v3
	v_cmp_eq_u32_e64 s10, 0, v3
	s_delay_alu instid0(VALU_DEP_2) | instskip(SKIP_1) | instid1(VALU_DEP_2)
	v_dual_cndmask_b32 v14, 3, v14, vcc_lo :: v_dual_lshlrev_b32 v16, 2, v16
	v_cndmask_b32_e32 v15, 0, v15, vcc_lo
	v_and_b32_e32 v16, 0xfc, v16
	s_delay_alu instid0(VALU_DEP_2) | instskip(NEXT) | instid1(VALU_DEP_2)
	v_cmp_eq_u64_e32 vcc_lo, 0, v[14:15]
	v_and_or_b32 v3, v14, 3, v16
	s_and_b32 s10, s10, vcc_lo
	s_delay_alu instid0(VALU_DEP_1) | instid1(SALU_CYCLE_1)
	v_cndmask_b32_e64 v3, v3, 0, s10
	s_delay_alu instid0(VALU_DEP_1)
	v_or_b32_e32 v30, v3, v2
.LBB4_187:                              ;   in Loop: Header=BB4_129 Depth=2
	s_or_b32 exec_lo, exec_lo, s42
                                        ; implicit-def: $vgpr2
.LBB4_188:                              ;   in Loop: Header=BB4_129 Depth=2
	s_and_not1_saveexec_b32 s10, s41
; %bb.189:                              ;   in Loop: Header=BB4_129 Depth=2
	v_or_b32_e32 v30, 0x7b, v2
; %bb.190:                              ;   in Loop: Header=BB4_129 Depth=2
	s_or_b32 exec_lo, exec_lo, s10
                                        ; implicit-def: $vgpr3
                                        ; implicit-def: $vgpr2
.LBB4_191:                              ;   in Loop: Header=BB4_129 Depth=2
	s_and_not1_saveexec_b32 s10, s40
	s_cbranch_execz .LBB4_197
; %bb.192:                              ;   in Loop: Header=BB4_129 Depth=2
	s_mov_b32 s40, exec_lo
                                        ; implicit-def: $vgpr30
	v_cmpx_ne_u64_e32 0, v[38:39]
	s_xor_b32 s40, exec_lo, s40
; %bb.193:                              ;   in Loop: Header=BB4_129 Depth=2
	v_or_b32_e32 v30, 0x7f, v2
                                        ; implicit-def: $vgpr3
; %bb.194:                              ;   in Loop: Header=BB4_129 Depth=2
	s_and_not1_saveexec_b32 s40, s40
; %bb.195:                              ;   in Loop: Header=BB4_129 Depth=2
	v_cmp_lt_i32_e32 vcc_lo, -1, v3
	v_cndmask_b32_e32 v30, 0xfc, v122, vcc_lo
; %bb.196:                              ;   in Loop: Header=BB4_129 Depth=2
	s_or_b32 exec_lo, exec_lo, s40
.LBB4_197:                              ;   in Loop: Header=BB4_129 Depth=2
	s_delay_alu instid0(SALU_CYCLE_1) | instskip(SKIP_2) | instid1(VALU_DEP_1)
	s_or_b32 exec_lo, exec_lo, s10
	v_dual_lshrrev_b32 v14, 16, v10 :: v_dual_mov_b32 v2, 0
	s_mov_b32 s10, exec_lo
	v_and_b32_e32 v3, 0xff, v14
	s_delay_alu instid0(VALU_DEP_1)
	v_cmpx_ne_u16_e32 0, v3
	s_cbranch_execz .LBB4_207
; %bb.198:                              ;   in Loop: Header=BB4_129 Depth=2
	v_bfrev_b32_e32 v2, 1
	s_mov_b32 s40, exec_lo
	v_cmpx_ne_u16_e32 0x80, v3
	s_cbranch_execz .LBB4_206
; %bb.199:                              ;   in Loop: Header=BB4_129 Depth=2
	v_and_b32_e32 v2, 0x7c0000, v10
	v_bfe_u32 v3, v10, 16, 2
	s_delay_alu instid0(VALU_DEP_2) | instskip(SKIP_1) | instid1(SALU_CYCLE_1)
	v_cmp_ne_u32_e32 vcc_lo, 0x7c0000, v2
                                        ; implicit-def: $vgpr2
	s_and_saveexec_b32 s41, vcc_lo
	s_xor_b32 s41, exec_lo, s41
	s_cbranch_execz .LBB4_203
; %bb.200:                              ;   in Loop: Header=BB4_129 Depth=2
	v_bfe_u32 v2, v10, 18, 5
	s_mov_b32 s42, exec_lo
	s_delay_alu instid0(VALU_DEP_1)
	v_cmpx_eq_u32_e32 0, v2
; %bb.201:                              ;   in Loop: Header=BB4_129 Depth=2
	v_clz_i32_u32_e32 v2, v3
	s_delay_alu instid0(VALU_DEP_1) | instskip(NEXT) | instid1(VALU_DEP_1)
	v_min_u32_e32 v2, 32, v2
	v_subrev_nc_u32_e32 v3, 29, v2
	s_delay_alu instid0(VALU_DEP_1) | instskip(NEXT) | instid1(VALU_DEP_1)
	v_lshlrev_b64_e32 v[16:17], v3, v[14:15]
	v_dual_sub_nc_u32 v2, 30, v2 :: v_dual_bitop2_b32 v3, 3, v16 bitop3:0x40
; %bb.202:                              ;   in Loop: Header=BB4_129 Depth=2
	s_or_b32 exec_lo, exec_lo, s42
	v_lshlrev_b32_e32 v14, 24, v14
	s_delay_alu instid0(VALU_DEP_1) | instskip(NEXT) | instid1(VALU_DEP_1)
	v_and_b32_e32 v14, 0x80000000, v14
	v_lshl_add_u32 v2, v2, 23, v14
                                        ; implicit-def: $vgpr14
	s_delay_alu instid0(VALU_DEP_1) | instskip(NEXT) | instid1(VALU_DEP_1)
	v_lshl_or_b32 v2, v3, 21, v2
                                        ; implicit-def: $vgpr3
	v_add_nc_u32_e32 v2, 0x38000000, v2
.LBB4_203:                              ;   in Loop: Header=BB4_129 Depth=2
	s_and_not1_saveexec_b32 s41, s41
; %bb.204:                              ;   in Loop: Header=BB4_129 Depth=2
	v_bfe_i32 v2, v14, 0, 8
	s_delay_alu instid0(VALU_DEP_1) | instskip(SKIP_2) | instid1(VALU_DEP_2)
	v_cmp_lt_i16_e32 vcc_lo, -1, v2
	v_cndmask_b32_e32 v2, 0xff800000, v126, vcc_lo
	v_cmp_eq_u32_e32 vcc_lo, 0, v3
	v_cndmask_b32_e32 v2, 0x7f800001, v2, vcc_lo
; %bb.205:                              ;   in Loop: Header=BB4_129 Depth=2
	s_or_b32 exec_lo, exec_lo, s41
.LBB4_206:                              ;   in Loop: Header=BB4_129 Depth=2
	s_delay_alu instid0(SALU_CYCLE_1)
	s_or_b32 exec_lo, exec_lo, s40
.LBB4_207:                              ;   in Loop: Header=BB4_129 Depth=2
	s_delay_alu instid0(SALU_CYCLE_1) | instskip(NEXT) | instid1(VALU_DEP_1)
	s_or_b32 exec_lo, exec_lo, s10
	v_dual_mul_f32 v3, s29, v2 :: v_dual_mov_b32 v15, v39
                                        ; implicit-def: $vgpr100
	s_mov_b32 s10, exec_lo
	s_delay_alu instid0(VALU_DEP_1) | instskip(SKIP_2) | instid1(VALU_DEP_3)
	v_and_b32_e32 v14, 0x7f800000, v3
	v_and_b32_e32 v38, 0x7fffff, v3
	v_lshrrev_b32_e32 v2, 24, v3
	v_cmpx_ne_u64_e32 0x7f800000, v[14:15]
	s_xor_b32 s40, exec_lo, s10
	s_cbranch_execz .LBB4_221
; %bb.208:                              ;   in Loop: Header=BB4_129 Depth=2
	v_and_b32_e32 v14, 0x7fffffff, v3
	v_mov_b32_e32 v15, v39
	v_and_b32_e32 v2, 0x80, v2
                                        ; implicit-def: $vgpr100
	s_mov_b32 s10, exec_lo
	s_delay_alu instid0(VALU_DEP_2)
	v_cmpx_gt_u64_e32 0x47600001, v[14:15]
	s_xor_b32 s41, exec_lo, s10
	s_cbranch_execz .LBB4_218
; %bb.209:                              ;   in Loop: Header=BB4_129 Depth=2
	v_mov_b32_e32 v100, 0
	s_mov_b32 s42, exec_lo
	v_cmpx_ne_u32_e32 0, v3
	s_cbranch_execz .LBB4_217
; %bb.210:                              ;   in Loop: Header=BB4_129 Depth=2
	v_bfe_u32 v3, v3, 23, 8
	v_or_b32_e32 v16, 0x800000, v38
	s_mov_b32 s43, exec_lo
	s_delay_alu instid0(VALU_DEP_2) | instskip(SKIP_1) | instid1(VALU_DEP_2)
	v_dual_mov_b32 v17, v39 :: v_dual_sub_nc_u32 v14, 0x71, v3
	v_cmp_gt_u32_e32 vcc_lo, 0x72, v3
	v_cndmask_b32_e32 v14, 0, v14, vcc_lo
	v_cmp_eq_u32_e32 vcc_lo, 0, v3
	s_delay_alu instid0(VALU_DEP_2) | instskip(NEXT) | instid1(VALU_DEP_1)
	v_cndmask_b32_e64 v20, v14, 0x70, vcc_lo
	v_dual_cndmask_b32 v16, v16, v38, vcc_lo :: v_dual_add_nc_u32 v14, 21, v20
	v_add_nc_u32_e32 v21, 20, v20
	s_delay_alu instid0(VALU_DEP_2) | instskip(NEXT) | instid1(VALU_DEP_2)
	v_lshlrev_b64_e64 v[14:15], v14, -1
	v_lshlrev_b64_e64 v[24:25], v21, 1
	s_delay_alu instid0(VALU_DEP_2) | instskip(NEXT) | instid1(VALU_DEP_3)
	v_bfi_b32 v101, v15, 0, 0
	v_bfi_b32 v100, v14, 0, v16
	v_lshrrev_b64 v[14:15], v20, v[16:17]
	s_delay_alu instid0(VALU_DEP_1) | instskip(NEXT) | instid1(VALU_DEP_3)
	v_mov_b64_e32 v[16:17], v[14:15]
	v_cmpx_eq_u64_e64 v[100:101], v[24:25]
; %bb.211:                              ;   in Loop: Header=BB4_129 Depth=2
	v_bfe_u32 v16, v14, 21, 1
	v_mov_b32_e32 v17, v39
	s_delay_alu instid0(VALU_DEP_1) | instskip(NEXT) | instid1(VALU_DEP_1)
	v_add_nc_u64_e32 v[16:17], v[14:15], v[16:17]
	v_add_nc_u64_e32 v[16:17], -1, v[16:17]
; %bb.212:                              ;   in Loop: Header=BB4_129 Depth=2
	s_or_b32 exec_lo, exec_lo, s43
	v_add_nc_u32_e32 v3, 0xffffff81, v3
	v_lshrrev_b32_e32 v15, 23, v14
	s_mov_b32 s10, exec_lo
	s_delay_alu instid0(VALU_DEP_2) | instskip(NEXT) | instid1(VALU_DEP_1)
	v_cndmask_b32_e64 v3, v3, 0xffffff82, vcc_lo
	v_add3_u32 v17, v20, v3, v15
	v_and_b32_e32 v3, 0x1fffff, v16
	s_delay_alu instid0(VALU_DEP_1) | instskip(NEXT) | instid1(VALU_DEP_1)
	v_dual_add_nc_u32 v16, 14, v17 :: v_dual_add_nc_u32 v38, v3, v14
                                        ; implicit-def: $vgpr14_vgpr15
                                        ; implicit-def: $vgpr3
	v_cmpx_ne_u32_e32 0, v16
	s_xor_b32 s10, exec_lo, s10
; %bb.213:                              ;   in Loop: Header=BB4_129 Depth=2
	s_delay_alu instid0(VALU_DEP_2) | instskip(SKIP_2) | instid1(VALU_DEP_2)
	v_cmp_lt_u64_e32 vcc_lo, 0xffffff, v[38:39]
	v_add_nc_u32_e32 v3, 15, v17
	v_cndmask_b32_e64 v14, 0, 1, vcc_lo
	v_cndmask_b32_e32 v3, v16, v3, vcc_lo
	s_delay_alu instid0(VALU_DEP_2)
	v_lshrrev_b64 v[14:15], v14, v[38:39]
; %bb.214:                              ;   in Loop: Header=BB4_129 Depth=2
	s_and_not1_saveexec_b32 s10, s10
; %bb.215:                              ;   in Loop: Header=BB4_129 Depth=2
	v_mov_b64_e32 v[14:15], v[38:39]
	v_bfe_u32 v3, v38, 23, 1
; %bb.216:                              ;   in Loop: Header=BB4_129 Depth=2
	s_or_b32 exec_lo, exec_lo, s10
	s_delay_alu instid0(VALU_DEP_2) | instskip(NEXT) | instid1(VALU_DEP_2)
	v_lshrrev_b64 v[14:15], 21, v[14:15]
	v_cmp_gt_i32_e32 vcc_lo, 32, v3
	v_min_i32_e32 v16, 31, v3
	v_cmp_eq_u32_e64 s10, 0, v3
	s_delay_alu instid0(VALU_DEP_2) | instskip(SKIP_1) | instid1(VALU_DEP_2)
	v_dual_cndmask_b32 v14, 3, v14, vcc_lo :: v_dual_lshlrev_b32 v16, 2, v16
	v_cndmask_b32_e32 v15, 0, v15, vcc_lo
	v_and_b32_e32 v16, 0xfc, v16
	s_delay_alu instid0(VALU_DEP_2) | instskip(NEXT) | instid1(VALU_DEP_2)
	v_cmp_eq_u64_e32 vcc_lo, 0, v[14:15]
	v_and_or_b32 v3, v14, 3, v16
	s_and_b32 s10, s10, vcc_lo
	s_delay_alu instid0(VALU_DEP_1) | instid1(SALU_CYCLE_1)
	v_cndmask_b32_e64 v3, v3, 0, s10
	s_delay_alu instid0(VALU_DEP_1)
	v_or_b32_e32 v100, v3, v2
.LBB4_217:                              ;   in Loop: Header=BB4_129 Depth=2
	s_or_b32 exec_lo, exec_lo, s42
                                        ; implicit-def: $vgpr2
.LBB4_218:                              ;   in Loop: Header=BB4_129 Depth=2
	s_and_not1_saveexec_b32 s10, s41
; %bb.219:                              ;   in Loop: Header=BB4_129 Depth=2
	v_or_b32_e32 v100, 0x7b, v2
; %bb.220:                              ;   in Loop: Header=BB4_129 Depth=2
	s_or_b32 exec_lo, exec_lo, s10
                                        ; implicit-def: $vgpr3
                                        ; implicit-def: $vgpr2
.LBB4_221:                              ;   in Loop: Header=BB4_129 Depth=2
	s_and_not1_saveexec_b32 s10, s40
	s_cbranch_execz .LBB4_227
; %bb.222:                              ;   in Loop: Header=BB4_129 Depth=2
	s_mov_b32 s40, exec_lo
                                        ; implicit-def: $vgpr100
	v_cmpx_ne_u64_e32 0, v[38:39]
	s_xor_b32 s40, exec_lo, s40
; %bb.223:                              ;   in Loop: Header=BB4_129 Depth=2
	v_or_b32_e32 v100, 0x7f, v2
                                        ; implicit-def: $vgpr3
; %bb.224:                              ;   in Loop: Header=BB4_129 Depth=2
	s_and_not1_saveexec_b32 s40, s40
; %bb.225:                              ;   in Loop: Header=BB4_129 Depth=2
	v_cmp_lt_i32_e32 vcc_lo, -1, v3
	v_cndmask_b32_e32 v100, 0xfc, v122, vcc_lo
; %bb.226:                              ;   in Loop: Header=BB4_129 Depth=2
	s_or_b32 exec_lo, exec_lo, s40
.LBB4_227:                              ;   in Loop: Header=BB4_129 Depth=2
	s_delay_alu instid0(SALU_CYCLE_1)
	s_or_b32 exec_lo, exec_lo, s10
	v_mov_b32_e32 v2, 0
	s_mov_b32 s10, exec_lo
	v_cmpx_lt_u32_e32 0xffffff, v10
	s_cbranch_execz .LBB4_237
; %bb.228:                              ;   in Loop: Header=BB4_129 Depth=2
	v_lshrrev_b32_e32 v14, 24, v10
	v_bfrev_b32_e32 v2, 1
	s_mov_b32 s40, exec_lo
	s_delay_alu instid0(VALU_DEP_2)
	v_cmpx_ne_u32_e32 0x80, v14
	s_cbranch_execz .LBB4_236
; %bb.229:                              ;   in Loop: Header=BB4_129 Depth=2
	v_and_b32_e32 v2, 0x7c000000, v10
	v_bfe_u32 v3, v10, 24, 2
	s_delay_alu instid0(VALU_DEP_2) | instskip(SKIP_1) | instid1(SALU_CYCLE_1)
	v_cmp_ne_u32_e32 vcc_lo, 0x7c000000, v2
                                        ; implicit-def: $vgpr2
	s_and_saveexec_b32 s41, vcc_lo
	s_xor_b32 s41, exec_lo, s41
	s_cbranch_execz .LBB4_233
; %bb.230:                              ;   in Loop: Header=BB4_129 Depth=2
	v_bfe_u32 v2, v10, 26, 5
	s_mov_b32 s42, exec_lo
	s_delay_alu instid0(VALU_DEP_1)
	v_cmpx_eq_u32_e32 0, v2
; %bb.231:                              ;   in Loop: Header=BB4_129 Depth=2
	v_clz_i32_u32_e32 v2, v3
	s_delay_alu instid0(VALU_DEP_1) | instskip(NEXT) | instid1(VALU_DEP_1)
	v_min_u32_e32 v2, 32, v2
	v_subrev_nc_u32_e32 v3, 29, v2
	v_sub_nc_u32_e32 v2, 30, v2
	s_delay_alu instid0(VALU_DEP_2) | instskip(NEXT) | instid1(VALU_DEP_1)
	v_lshlrev_b64_e32 v[14:15], v3, v[14:15]
	v_and_b32_e32 v3, 3, v14
; %bb.232:                              ;   in Loop: Header=BB4_129 Depth=2
	s_or_b32 exec_lo, exec_lo, s42
	v_and_b32_e32 v14, 0x80000000, v10
	s_delay_alu instid0(VALU_DEP_1) | instskip(NEXT) | instid1(VALU_DEP_1)
	v_lshl_add_u32 v2, v2, 23, v14
	v_lshl_or_b32 v2, v3, 21, v2
                                        ; implicit-def: $vgpr3
	s_delay_alu instid0(VALU_DEP_1)
	v_add_nc_u32_e32 v2, 0x38000000, v2
.LBB4_233:                              ;   in Loop: Header=BB4_129 Depth=2
	s_and_not1_saveexec_b32 s41, s41
; %bb.234:                              ;   in Loop: Header=BB4_129 Depth=2
	v_cmp_lt_i32_e32 vcc_lo, -1, v10
	v_cndmask_b32_e32 v2, 0xff800000, v126, vcc_lo
	v_cmp_eq_u32_e32 vcc_lo, 0, v3
	s_delay_alu instid0(VALU_DEP_2)
	v_cndmask_b32_e32 v2, 0x7f800001, v2, vcc_lo
; %bb.235:                              ;   in Loop: Header=BB4_129 Depth=2
	s_or_b32 exec_lo, exec_lo, s41
.LBB4_236:                              ;   in Loop: Header=BB4_129 Depth=2
	s_delay_alu instid0(SALU_CYCLE_1)
	s_or_b32 exec_lo, exec_lo, s40
.LBB4_237:                              ;   in Loop: Header=BB4_129 Depth=2
	s_delay_alu instid0(SALU_CYCLE_1) | instskip(NEXT) | instid1(VALU_DEP_1)
	s_or_b32 exec_lo, exec_lo, s10
	v_dual_mul_f32 v3, s29, v2 :: v_dual_mov_b32 v15, v39
                                        ; implicit-def: $vgpr101
	s_mov_b32 s10, exec_lo
	s_delay_alu instid0(VALU_DEP_1) | instskip(SKIP_2) | instid1(VALU_DEP_3)
	v_and_b32_e32 v14, 0x7f800000, v3
	v_and_b32_e32 v38, 0x7fffff, v3
	v_lshrrev_b32_e32 v2, 24, v3
	v_cmpx_ne_u64_e32 0x7f800000, v[14:15]
	s_xor_b32 s40, exec_lo, s10
	s_cbranch_execz .LBB4_251
; %bb.238:                              ;   in Loop: Header=BB4_129 Depth=2
	v_and_b32_e32 v14, 0x7fffffff, v3
	v_mov_b32_e32 v15, v39
	v_and_b32_e32 v2, 0x80, v2
                                        ; implicit-def: $vgpr101
	s_mov_b32 s10, exec_lo
	s_delay_alu instid0(VALU_DEP_2)
	v_cmpx_gt_u64_e32 0x47600001, v[14:15]
	s_xor_b32 s41, exec_lo, s10
	s_cbranch_execz .LBB4_248
; %bb.239:                              ;   in Loop: Header=BB4_129 Depth=2
	v_mov_b32_e32 v101, 0
	s_mov_b32 s42, exec_lo
	v_cmpx_ne_u32_e32 0, v3
	s_cbranch_execz .LBB4_247
; %bb.240:                              ;   in Loop: Header=BB4_129 Depth=2
	v_bfe_u32 v3, v3, 23, 8
	v_or_b32_e32 v16, 0x800000, v38
	s_mov_b32 s43, exec_lo
	s_delay_alu instid0(VALU_DEP_2) | instskip(SKIP_1) | instid1(VALU_DEP_2)
	v_dual_mov_b32 v17, v39 :: v_dual_sub_nc_u32 v14, 0x71, v3
	v_cmp_gt_u32_e32 vcc_lo, 0x72, v3
	v_cndmask_b32_e32 v14, 0, v14, vcc_lo
	v_cmp_eq_u32_e32 vcc_lo, 0, v3
	s_delay_alu instid0(VALU_DEP_2) | instskip(NEXT) | instid1(VALU_DEP_1)
	v_cndmask_b32_e64 v20, v14, 0x70, vcc_lo
	v_dual_cndmask_b32 v16, v16, v38, vcc_lo :: v_dual_add_nc_u32 v14, 21, v20
	v_add_nc_u32_e32 v21, 20, v20
	s_delay_alu instid0(VALU_DEP_2) | instskip(NEXT) | instid1(VALU_DEP_2)
	v_lshlrev_b64_e64 v[14:15], v14, -1
	v_lshlrev_b64_e64 v[24:25], v21, 1
	s_delay_alu instid0(VALU_DEP_2) | instskip(NEXT) | instid1(VALU_DEP_3)
	v_bfi_b32 v103, v15, 0, 0
	v_bfi_b32 v102, v14, 0, v16
	v_lshrrev_b64 v[14:15], v20, v[16:17]
	s_delay_alu instid0(VALU_DEP_1) | instskip(NEXT) | instid1(VALU_DEP_3)
	v_mov_b64_e32 v[16:17], v[14:15]
	v_cmpx_eq_u64_e64 v[102:103], v[24:25]
; %bb.241:                              ;   in Loop: Header=BB4_129 Depth=2
	v_bfe_u32 v16, v14, 21, 1
	v_mov_b32_e32 v17, v39
	s_delay_alu instid0(VALU_DEP_1) | instskip(NEXT) | instid1(VALU_DEP_1)
	v_add_nc_u64_e32 v[16:17], v[14:15], v[16:17]
	v_add_nc_u64_e32 v[16:17], -1, v[16:17]
; %bb.242:                              ;   in Loop: Header=BB4_129 Depth=2
	s_or_b32 exec_lo, exec_lo, s43
	v_add_nc_u32_e32 v3, 0xffffff81, v3
	v_lshrrev_b32_e32 v15, 23, v14
	s_mov_b32 s10, exec_lo
	s_delay_alu instid0(VALU_DEP_2) | instskip(NEXT) | instid1(VALU_DEP_1)
	v_cndmask_b32_e64 v3, v3, 0xffffff82, vcc_lo
	v_add3_u32 v17, v20, v3, v15
	v_and_b32_e32 v3, 0x1fffff, v16
	s_delay_alu instid0(VALU_DEP_1) | instskip(NEXT) | instid1(VALU_DEP_1)
	v_dual_add_nc_u32 v16, 14, v17 :: v_dual_add_nc_u32 v38, v3, v14
                                        ; implicit-def: $vgpr14_vgpr15
                                        ; implicit-def: $vgpr3
	v_cmpx_ne_u32_e32 0, v16
	s_xor_b32 s10, exec_lo, s10
; %bb.243:                              ;   in Loop: Header=BB4_129 Depth=2
	s_delay_alu instid0(VALU_DEP_2) | instskip(SKIP_2) | instid1(VALU_DEP_2)
	v_cmp_lt_u64_e32 vcc_lo, 0xffffff, v[38:39]
	v_add_nc_u32_e32 v3, 15, v17
	v_cndmask_b32_e64 v14, 0, 1, vcc_lo
	v_cndmask_b32_e32 v3, v16, v3, vcc_lo
	s_delay_alu instid0(VALU_DEP_2)
	v_lshrrev_b64 v[14:15], v14, v[38:39]
; %bb.244:                              ;   in Loop: Header=BB4_129 Depth=2
	s_and_not1_saveexec_b32 s10, s10
; %bb.245:                              ;   in Loop: Header=BB4_129 Depth=2
	v_mov_b64_e32 v[14:15], v[38:39]
	v_bfe_u32 v3, v38, 23, 1
; %bb.246:                              ;   in Loop: Header=BB4_129 Depth=2
	s_or_b32 exec_lo, exec_lo, s10
	s_delay_alu instid0(VALU_DEP_2) | instskip(NEXT) | instid1(VALU_DEP_2)
	v_lshrrev_b64 v[14:15], 21, v[14:15]
	v_cmp_gt_i32_e32 vcc_lo, 32, v3
	v_min_i32_e32 v16, 31, v3
	v_cmp_eq_u32_e64 s10, 0, v3
	s_delay_alu instid0(VALU_DEP_2) | instskip(SKIP_1) | instid1(VALU_DEP_2)
	v_dual_cndmask_b32 v14, 3, v14, vcc_lo :: v_dual_lshlrev_b32 v16, 2, v16
	v_cndmask_b32_e32 v15, 0, v15, vcc_lo
	v_and_b32_e32 v16, 0xfc, v16
	s_delay_alu instid0(VALU_DEP_2) | instskip(NEXT) | instid1(VALU_DEP_2)
	v_cmp_eq_u64_e32 vcc_lo, 0, v[14:15]
	v_and_or_b32 v3, v14, 3, v16
	s_and_b32 s10, s10, vcc_lo
	s_delay_alu instid0(VALU_DEP_1) | instid1(SALU_CYCLE_1)
	v_cndmask_b32_e64 v3, v3, 0, s10
	s_delay_alu instid0(VALU_DEP_1)
	v_or_b32_e32 v101, v3, v2
.LBB4_247:                              ;   in Loop: Header=BB4_129 Depth=2
	s_or_b32 exec_lo, exec_lo, s42
                                        ; implicit-def: $vgpr2
.LBB4_248:                              ;   in Loop: Header=BB4_129 Depth=2
	s_and_not1_saveexec_b32 s10, s41
; %bb.249:                              ;   in Loop: Header=BB4_129 Depth=2
	v_or_b32_e32 v101, 0x7b, v2
; %bb.250:                              ;   in Loop: Header=BB4_129 Depth=2
	s_or_b32 exec_lo, exec_lo, s10
                                        ; implicit-def: $vgpr3
                                        ; implicit-def: $vgpr2
.LBB4_251:                              ;   in Loop: Header=BB4_129 Depth=2
	s_and_not1_saveexec_b32 s10, s40
	s_cbranch_execz .LBB4_257
; %bb.252:                              ;   in Loop: Header=BB4_129 Depth=2
	s_mov_b32 s40, exec_lo
                                        ; implicit-def: $vgpr101
	v_cmpx_ne_u64_e32 0, v[38:39]
	s_xor_b32 s40, exec_lo, s40
; %bb.253:                              ;   in Loop: Header=BB4_129 Depth=2
	v_or_b32_e32 v101, 0x7f, v2
                                        ; implicit-def: $vgpr3
; %bb.254:                              ;   in Loop: Header=BB4_129 Depth=2
	s_and_not1_saveexec_b32 s40, s40
; %bb.255:                              ;   in Loop: Header=BB4_129 Depth=2
	v_cmp_lt_i32_e32 vcc_lo, -1, v3
	v_cndmask_b32_e32 v101, 0xfc, v122, vcc_lo
; %bb.256:                              ;   in Loop: Header=BB4_129 Depth=2
	s_or_b32 exec_lo, exec_lo, s40
.LBB4_257:                              ;   in Loop: Header=BB4_129 Depth=2
	s_delay_alu instid0(SALU_CYCLE_1) | instskip(SKIP_3) | instid1(VALU_DEP_2)
	s_or_b32 exec_lo, exec_lo, s10
	v_and_b32_e32 v3, 0xff, v11
	v_dual_mov_b32 v38, v11 :: v_dual_mov_b32 v2, 0
	s_mov_b32 s10, exec_lo
	v_cmpx_ne_u16_e32 0, v3
	s_cbranch_execz .LBB4_267
; %bb.258:                              ;   in Loop: Header=BB4_129 Depth=2
	v_bfrev_b32_e32 v2, 1
	s_mov_b32 s40, exec_lo
	v_cmpx_ne_u16_e32 0x80, v3
	s_cbranch_execz .LBB4_266
; %bb.259:                              ;   in Loop: Header=BB4_129 Depth=2
	v_and_b32_e32 v2, 0x7c, v11
	v_and_b32_e32 v3, 3, v11
	s_delay_alu instid0(VALU_DEP_2) | instskip(SKIP_1) | instid1(SALU_CYCLE_1)
	v_cmp_ne_u32_e32 vcc_lo, 0x7c, v2
                                        ; implicit-def: $vgpr2
	s_and_saveexec_b32 s41, vcc_lo
	s_xor_b32 s41, exec_lo, s41
	s_cbranch_execz .LBB4_263
; %bb.260:                              ;   in Loop: Header=BB4_129 Depth=2
	v_bfe_u32 v2, v11, 2, 5
	s_mov_b32 s42, exec_lo
	s_delay_alu instid0(VALU_DEP_1)
	v_cmpx_eq_u32_e32 0, v2
; %bb.261:                              ;   in Loop: Header=BB4_129 Depth=2
	v_clz_i32_u32_e32 v2, v3
	s_delay_alu instid0(VALU_DEP_1) | instskip(NEXT) | instid1(VALU_DEP_1)
	v_min_u32_e32 v2, 32, v2
	v_subrev_nc_u32_e32 v3, 29, v2
	v_sub_nc_u32_e32 v2, 30, v2
	s_delay_alu instid0(VALU_DEP_2) | instskip(NEXT) | instid1(VALU_DEP_1)
	v_lshlrev_b64_e32 v[14:15], v3, v[38:39]
	v_and_b32_e32 v3, 3, v14
; %bb.262:                              ;   in Loop: Header=BB4_129 Depth=2
	s_or_b32 exec_lo, exec_lo, s42
	v_lshlrev_b32_e32 v14, 24, v11
	s_delay_alu instid0(VALU_DEP_1) | instskip(NEXT) | instid1(VALU_DEP_1)
	v_and_b32_e32 v14, 0x80000000, v14
	v_lshl_add_u32 v2, v2, 23, v14
	s_delay_alu instid0(VALU_DEP_1) | instskip(NEXT) | instid1(VALU_DEP_1)
	v_lshl_or_b32 v2, v3, 21, v2
                                        ; implicit-def: $vgpr3
	v_add_nc_u32_e32 v2, 0x38000000, v2
.LBB4_263:                              ;   in Loop: Header=BB4_129 Depth=2
	s_and_not1_saveexec_b32 s41, s41
; %bb.264:                              ;   in Loop: Header=BB4_129 Depth=2
	v_bfe_i32 v2, v11, 0, 8
	s_delay_alu instid0(VALU_DEP_1) | instskip(SKIP_2) | instid1(VALU_DEP_2)
	v_cmp_lt_i16_e32 vcc_lo, -1, v2
	v_cndmask_b32_e32 v2, 0xff800000, v126, vcc_lo
	v_cmp_eq_u32_e32 vcc_lo, 0, v3
	v_cndmask_b32_e32 v2, 0x7f800001, v2, vcc_lo
; %bb.265:                              ;   in Loop: Header=BB4_129 Depth=2
	s_or_b32 exec_lo, exec_lo, s41
.LBB4_266:                              ;   in Loop: Header=BB4_129 Depth=2
	s_delay_alu instid0(SALU_CYCLE_1)
	s_or_b32 exec_lo, exec_lo, s40
.LBB4_267:                              ;   in Loop: Header=BB4_129 Depth=2
	s_delay_alu instid0(SALU_CYCLE_1) | instskip(NEXT) | instid1(VALU_DEP_1)
	s_or_b32 exec_lo, exec_lo, s10
	v_dual_mul_f32 v3, s29, v2 :: v_dual_mov_b32 v17, v39
	v_mov_b32_e32 v15, v39
                                        ; implicit-def: $vgpr45
	s_mov_b32 s10, exec_lo
	s_delay_alu instid0(VALU_DEP_2) | instskip(SKIP_2) | instid1(VALU_DEP_3)
	v_and_b32_e32 v16, 0x7f800000, v3
	v_and_b32_e32 v14, 0x7fffff, v3
	v_lshrrev_b32_e32 v2, 24, v3
	v_cmpx_ne_u64_e32 0x7f800000, v[16:17]
	s_xor_b32 s40, exec_lo, s10
	s_cbranch_execz .LBB4_281
; %bb.268:                              ;   in Loop: Header=BB4_129 Depth=2
	v_and_b32_e32 v16, 0x7fffffff, v3
	v_mov_b32_e32 v17, v39
	v_and_b32_e32 v2, 0x80, v2
                                        ; implicit-def: $vgpr45
	s_mov_b32 s10, exec_lo
	s_delay_alu instid0(VALU_DEP_2)
	v_cmpx_gt_u64_e32 0x47600001, v[16:17]
	s_xor_b32 s41, exec_lo, s10
	s_cbranch_execz .LBB4_278
; %bb.269:                              ;   in Loop: Header=BB4_129 Depth=2
	v_mov_b32_e32 v45, 0
	s_mov_b32 s42, exec_lo
	v_cmpx_ne_u32_e32 0, v3
	s_cbranch_execz .LBB4_277
; %bb.270:                              ;   in Loop: Header=BB4_129 Depth=2
	v_bfe_u32 v3, v3, 23, 8
	v_or_b32_e32 v21, 0x800000, v14
	s_delay_alu instid0(VALU_DEP_2) | instskip(SKIP_1) | instid1(VALU_DEP_2)
	v_sub_nc_u32_e32 v16, 0x71, v3
	v_cmp_gt_u32_e32 vcc_lo, 0x72, v3
	v_cndmask_b32_e32 v16, 0, v16, vcc_lo
	v_cmp_eq_u32_e32 vcc_lo, 0, v3
	v_cndmask_b32_e32 v14, v21, v14, vcc_lo
	s_delay_alu instid0(VALU_DEP_3) | instskip(NEXT) | instid1(VALU_DEP_1)
	v_cndmask_b32_e64 v20, v16, 0x70, vcc_lo
	v_dual_add_nc_u32 v16, 21, v20 :: v_dual_add_nc_u32 v24, 20, v20
	s_delay_alu instid0(VALU_DEP_1) | instskip(NEXT) | instid1(VALU_DEP_2)
	v_lshlrev_b64_e64 v[16:17], v16, -1
	v_lshlrev_b64_e64 v[24:25], v24, 1
	s_delay_alu instid0(VALU_DEP_2) | instskip(SKIP_1) | instid1(VALU_DEP_4)
	v_bfi_b32 v16, v16, 0, v14
	v_lshrrev_b64 v[14:15], v20, v[14:15]
	v_bfi_b32 v17, v17, 0, 0
	s_delay_alu instid0(VALU_DEP_1) | instskip(NEXT) | instid1(VALU_DEP_3)
	v_cmp_eq_u64_e64 s10, v[16:17], v[24:25]
	v_mov_b64_e32 v[16:17], v[14:15]
	s_and_saveexec_b32 s43, s10
; %bb.271:                              ;   in Loop: Header=BB4_129 Depth=2
	v_bfe_u32 v16, v14, 21, 1
	v_mov_b32_e32 v17, v39
	s_delay_alu instid0(VALU_DEP_1) | instskip(NEXT) | instid1(VALU_DEP_1)
	v_add_nc_u64_e32 v[16:17], v[14:15], v[16:17]
	v_add_nc_u64_e32 v[16:17], -1, v[16:17]
; %bb.272:                              ;   in Loop: Header=BB4_129 Depth=2
	s_or_b32 exec_lo, exec_lo, s43
	v_add_nc_u32_e32 v3, 0xffffff81, v3
	v_lshrrev_b32_e32 v15, 23, v14
	s_mov_b32 s10, exec_lo
	s_delay_alu instid0(VALU_DEP_2) | instskip(NEXT) | instid1(VALU_DEP_1)
	v_cndmask_b32_e64 v3, v3, 0xffffff82, vcc_lo
	v_add3_u32 v17, v20, v3, v15
	v_and_b32_e32 v3, 0x1fffff, v16
	s_delay_alu instid0(VALU_DEP_2) | instskip(NEXT) | instid1(VALU_DEP_2)
	v_dual_mov_b32 v15, v39 :: v_dual_add_nc_u32 v16, 14, v17
	v_add_nc_u32_e32 v14, v3, v14
                                        ; implicit-def: $vgpr3
	s_delay_alu instid0(VALU_DEP_2)
	v_cmpx_ne_u32_e32 0, v16
	s_xor_b32 s10, exec_lo, s10
; %bb.273:                              ;   in Loop: Header=BB4_129 Depth=2
	s_delay_alu instid0(VALU_DEP_2) | instskip(SKIP_1) | instid1(VALU_DEP_1)
	v_cmp_lt_u64_e32 vcc_lo, 0xffffff, v[14:15]
	v_add_nc_u32_e32 v3, 15, v17
	v_cndmask_b32_e32 v3, v16, v3, vcc_lo
	v_cndmask_b32_e64 v16, 0, 1, vcc_lo
	s_delay_alu instid0(VALU_DEP_1)
	v_lshrrev_b64 v[14:15], v16, v[14:15]
; %bb.274:                              ;   in Loop: Header=BB4_129 Depth=2
	s_and_not1_saveexec_b32 s10, s10
; %bb.275:                              ;   in Loop: Header=BB4_129 Depth=2
	s_delay_alu instid0(VALU_DEP_1)
	v_bfe_u32 v3, v14, 23, 1
; %bb.276:                              ;   in Loop: Header=BB4_129 Depth=2
	s_or_b32 exec_lo, exec_lo, s10
	s_delay_alu instid0(VALU_DEP_2) | instskip(NEXT) | instid1(VALU_DEP_2)
	v_lshrrev_b64 v[14:15], 21, v[14:15]
	v_cmp_gt_i32_e32 vcc_lo, 32, v3
	v_min_i32_e32 v16, 31, v3
	v_cmp_eq_u32_e64 s10, 0, v3
	s_delay_alu instid0(VALU_DEP_2) | instskip(SKIP_1) | instid1(VALU_DEP_2)
	v_dual_cndmask_b32 v14, 3, v14, vcc_lo :: v_dual_lshlrev_b32 v16, 2, v16
	v_cndmask_b32_e32 v15, 0, v15, vcc_lo
	v_and_b32_e32 v16, 0xfc, v16
	s_delay_alu instid0(VALU_DEP_2) | instskip(NEXT) | instid1(VALU_DEP_2)
	v_cmp_eq_u64_e32 vcc_lo, 0, v[14:15]
	v_and_or_b32 v3, v14, 3, v16
	s_and_b32 s10, s10, vcc_lo
	s_delay_alu instid0(VALU_DEP_1) | instid1(SALU_CYCLE_1)
	v_cndmask_b32_e64 v3, v3, 0, s10
	s_delay_alu instid0(VALU_DEP_1)
	v_or_b32_e32 v45, v3, v2
.LBB4_277:                              ;   in Loop: Header=BB4_129 Depth=2
	s_or_b32 exec_lo, exec_lo, s42
                                        ; implicit-def: $vgpr2
.LBB4_278:                              ;   in Loop: Header=BB4_129 Depth=2
	s_and_not1_saveexec_b32 s10, s41
; %bb.279:                              ;   in Loop: Header=BB4_129 Depth=2
	v_or_b32_e32 v45, 0x7b, v2
; %bb.280:                              ;   in Loop: Header=BB4_129 Depth=2
	s_or_b32 exec_lo, exec_lo, s10
                                        ; implicit-def: $vgpr3
                                        ; implicit-def: $vgpr14_vgpr15
                                        ; implicit-def: $vgpr2
.LBB4_281:                              ;   in Loop: Header=BB4_129 Depth=2
	s_and_not1_saveexec_b32 s10, s40
	s_cbranch_execz .LBB4_287
; %bb.282:                              ;   in Loop: Header=BB4_129 Depth=2
	s_mov_b32 s40, exec_lo
                                        ; implicit-def: $vgpr45
	v_cmpx_ne_u64_e32 0, v[14:15]
	s_xor_b32 s40, exec_lo, s40
; %bb.283:                              ;   in Loop: Header=BB4_129 Depth=2
	v_or_b32_e32 v45, 0x7f, v2
                                        ; implicit-def: $vgpr3
; %bb.284:                              ;   in Loop: Header=BB4_129 Depth=2
	s_and_not1_saveexec_b32 s40, s40
; %bb.285:                              ;   in Loop: Header=BB4_129 Depth=2
	v_cmp_lt_i32_e32 vcc_lo, -1, v3
	v_cndmask_b32_e32 v45, 0xfc, v122, vcc_lo
; %bb.286:                              ;   in Loop: Header=BB4_129 Depth=2
	s_or_b32 exec_lo, exec_lo, s40
.LBB4_287:                              ;   in Loop: Header=BB4_129 Depth=2
	s_delay_alu instid0(SALU_CYCLE_1) | instskip(SKIP_3) | instid1(VALU_DEP_2)
	s_or_b32 exec_lo, exec_lo, s10
	v_lshrrev_b16 v14, 8, v38
	v_mov_b32_e32 v3, 0
	s_mov_b32 s10, exec_lo
	v_cmpx_ne_u16_e32 0, v14
	s_cbranch_execz .LBB4_297
; %bb.288:                              ;   in Loop: Header=BB4_129 Depth=2
	v_bfrev_b32_e32 v3, 1
	s_mov_b32 s40, exec_lo
	v_cmpx_ne_u16_e32 0x80, v14
	s_cbranch_execz .LBB4_296
; %bb.289:                              ;   in Loop: Header=BB4_129 Depth=2
	v_and_b32_e32 v15, 0xffff, v14
	s_delay_alu instid0(VALU_DEP_1) | instskip(SKIP_1) | instid1(VALU_DEP_2)
	v_and_b32_e32 v3, 0x7c, v15
	v_and_b32_e32 v2, 3, v15
	v_cmp_ne_u32_e32 vcc_lo, 0x7c, v3
                                        ; implicit-def: $vgpr3
	s_and_saveexec_b32 s41, vcc_lo
	s_delay_alu instid0(SALU_CYCLE_1)
	s_xor_b32 s41, exec_lo, s41
	s_cbranch_execz .LBB4_293
; %bb.290:                              ;   in Loop: Header=BB4_129 Depth=2
	v_bfe_u32 v3, v15, 2, 5
	s_mov_b32 s42, exec_lo
	s_delay_alu instid0(VALU_DEP_1)
	v_cmpx_eq_u32_e32 0, v3
; %bb.291:                              ;   in Loop: Header=BB4_129 Depth=2
	v_clz_i32_u32_e32 v2, v2
	s_delay_alu instid0(VALU_DEP_1) | instskip(SKIP_1) | instid1(VALU_DEP_2)
	v_min_u32_e32 v16, 32, v2
	v_mov_b32_e32 v15, v39
	v_subrev_nc_u32_e32 v2, 29, v16
	s_delay_alu instid0(VALU_DEP_1) | instskip(NEXT) | instid1(VALU_DEP_1)
	v_lshlrev_b64_e32 v[2:3], v2, v[14:15]
	v_dual_sub_nc_u32 v3, 30, v16 :: v_dual_bitop2_b32 v2, 3, v2 bitop3:0x40
; %bb.292:                              ;   in Loop: Header=BB4_129 Depth=2
	s_or_b32 exec_lo, exec_lo, s42
	v_lshlrev_b32_e32 v14, 16, v38
	s_delay_alu instid0(VALU_DEP_1) | instskip(NEXT) | instid1(VALU_DEP_1)
	v_and_b32_e32 v14, 0x80000000, v14
	v_lshl_add_u32 v3, v3, 23, v14
	s_delay_alu instid0(VALU_DEP_1) | instskip(NEXT) | instid1(VALU_DEP_1)
	v_lshl_or_b32 v2, v2, 21, v3
	v_add_nc_u32_e32 v3, 0x38000000, v2
                                        ; implicit-def: $vgpr2
.LBB4_293:                              ;   in Loop: Header=BB4_129 Depth=2
	s_and_not1_saveexec_b32 s41, s41
; %bb.294:                              ;   in Loop: Header=BB4_129 Depth=2
	v_cmp_lt_i16_e32 vcc_lo, -1, v38
	v_cndmask_b32_e32 v3, 0xff800000, v126, vcc_lo
	v_cmp_eq_u32_e32 vcc_lo, 0, v2
	s_delay_alu instid0(VALU_DEP_2)
	v_cndmask_b32_e32 v3, 0x7f800001, v3, vcc_lo
; %bb.295:                              ;   in Loop: Header=BB4_129 Depth=2
	s_or_b32 exec_lo, exec_lo, s41
.LBB4_296:                              ;   in Loop: Header=BB4_129 Depth=2
	s_delay_alu instid0(SALU_CYCLE_1)
	s_or_b32 exec_lo, exec_lo, s40
.LBB4_297:                              ;   in Loop: Header=BB4_129 Depth=2
	s_delay_alu instid0(SALU_CYCLE_1) | instskip(NEXT) | instid1(VALU_DEP_1)
	s_or_b32 exec_lo, exec_lo, s10
	v_dual_mul_f32 v3, s29, v3 :: v_dual_mov_b32 v15, v39
                                        ; implicit-def: $vgpr60
	s_mov_b32 s10, exec_lo
	s_delay_alu instid0(VALU_DEP_1) | instskip(SKIP_2) | instid1(VALU_DEP_3)
	v_and_b32_e32 v14, 0x7f800000, v3
	v_and_b32_e32 v38, 0x7fffff, v3
	v_lshrrev_b32_e32 v2, 24, v3
	v_cmpx_ne_u64_e32 0x7f800000, v[14:15]
	s_xor_b32 s40, exec_lo, s10
	s_cbranch_execz .LBB4_311
; %bb.298:                              ;   in Loop: Header=BB4_129 Depth=2
	v_and_b32_e32 v14, 0x7fffffff, v3
	v_mov_b32_e32 v15, v39
	v_and_b32_e32 v2, 0x80, v2
                                        ; implicit-def: $vgpr60
	s_mov_b32 s10, exec_lo
	s_delay_alu instid0(VALU_DEP_2)
	v_cmpx_gt_u64_e32 0x47600001, v[14:15]
	s_xor_b32 s41, exec_lo, s10
	s_cbranch_execz .LBB4_308
; %bb.299:                              ;   in Loop: Header=BB4_129 Depth=2
	v_mov_b32_e32 v60, 0
	s_mov_b32 s42, exec_lo
	v_cmpx_ne_u32_e32 0, v3
	s_cbranch_execz .LBB4_307
; %bb.300:                              ;   in Loop: Header=BB4_129 Depth=2
	v_bfe_u32 v3, v3, 23, 8
	v_or_b32_e32 v16, 0x800000, v38
	s_mov_b32 s43, exec_lo
	s_delay_alu instid0(VALU_DEP_2) | instskip(SKIP_1) | instid1(VALU_DEP_2)
	v_dual_mov_b32 v17, v39 :: v_dual_sub_nc_u32 v14, 0x71, v3
	v_cmp_gt_u32_e32 vcc_lo, 0x72, v3
	v_cndmask_b32_e32 v14, 0, v14, vcc_lo
	v_cmp_eq_u32_e32 vcc_lo, 0, v3
	s_delay_alu instid0(VALU_DEP_2) | instskip(NEXT) | instid1(VALU_DEP_1)
	v_cndmask_b32_e64 v20, v14, 0x70, vcc_lo
	v_dual_cndmask_b32 v16, v16, v38, vcc_lo :: v_dual_add_nc_u32 v14, 21, v20
	v_add_nc_u32_e32 v21, 20, v20
	s_delay_alu instid0(VALU_DEP_2) | instskip(NEXT) | instid1(VALU_DEP_2)
	v_lshlrev_b64_e64 v[14:15], v14, -1
	v_lshlrev_b64_e64 v[24:25], v21, 1
	s_delay_alu instid0(VALU_DEP_2) | instskip(NEXT) | instid1(VALU_DEP_3)
	v_bfi_b32 v103, v15, 0, 0
	v_bfi_b32 v102, v14, 0, v16
	v_lshrrev_b64 v[14:15], v20, v[16:17]
	s_delay_alu instid0(VALU_DEP_1) | instskip(NEXT) | instid1(VALU_DEP_3)
	v_mov_b64_e32 v[16:17], v[14:15]
	v_cmpx_eq_u64_e64 v[102:103], v[24:25]
; %bb.301:                              ;   in Loop: Header=BB4_129 Depth=2
	v_bfe_u32 v16, v14, 21, 1
	v_mov_b32_e32 v17, v39
	s_delay_alu instid0(VALU_DEP_1) | instskip(NEXT) | instid1(VALU_DEP_1)
	v_add_nc_u64_e32 v[16:17], v[14:15], v[16:17]
	v_add_nc_u64_e32 v[16:17], -1, v[16:17]
; %bb.302:                              ;   in Loop: Header=BB4_129 Depth=2
	s_or_b32 exec_lo, exec_lo, s43
	v_add_nc_u32_e32 v3, 0xffffff81, v3
	v_lshrrev_b32_e32 v15, 23, v14
	s_mov_b32 s10, exec_lo
	s_delay_alu instid0(VALU_DEP_2) | instskip(NEXT) | instid1(VALU_DEP_1)
	v_cndmask_b32_e64 v3, v3, 0xffffff82, vcc_lo
	v_add3_u32 v17, v20, v3, v15
	v_and_b32_e32 v3, 0x1fffff, v16
	s_delay_alu instid0(VALU_DEP_1) | instskip(NEXT) | instid1(VALU_DEP_1)
	v_dual_add_nc_u32 v16, 14, v17 :: v_dual_add_nc_u32 v38, v3, v14
                                        ; implicit-def: $vgpr14_vgpr15
                                        ; implicit-def: $vgpr3
	v_cmpx_ne_u32_e32 0, v16
	s_xor_b32 s10, exec_lo, s10
; %bb.303:                              ;   in Loop: Header=BB4_129 Depth=2
	s_delay_alu instid0(VALU_DEP_2) | instskip(SKIP_2) | instid1(VALU_DEP_2)
	v_cmp_lt_u64_e32 vcc_lo, 0xffffff, v[38:39]
	v_add_nc_u32_e32 v3, 15, v17
	v_cndmask_b32_e64 v14, 0, 1, vcc_lo
	v_cndmask_b32_e32 v3, v16, v3, vcc_lo
	s_delay_alu instid0(VALU_DEP_2)
	v_lshrrev_b64 v[14:15], v14, v[38:39]
; %bb.304:                              ;   in Loop: Header=BB4_129 Depth=2
	s_and_not1_saveexec_b32 s10, s10
; %bb.305:                              ;   in Loop: Header=BB4_129 Depth=2
	v_mov_b64_e32 v[14:15], v[38:39]
	v_bfe_u32 v3, v38, 23, 1
; %bb.306:                              ;   in Loop: Header=BB4_129 Depth=2
	s_or_b32 exec_lo, exec_lo, s10
	s_delay_alu instid0(VALU_DEP_2) | instskip(NEXT) | instid1(VALU_DEP_2)
	v_lshrrev_b64 v[14:15], 21, v[14:15]
	v_cmp_gt_i32_e32 vcc_lo, 32, v3
	v_min_i32_e32 v16, 31, v3
	v_cmp_eq_u32_e64 s10, 0, v3
	s_delay_alu instid0(VALU_DEP_2) | instskip(SKIP_1) | instid1(VALU_DEP_2)
	v_dual_cndmask_b32 v14, 3, v14, vcc_lo :: v_dual_lshlrev_b32 v16, 2, v16
	v_cndmask_b32_e32 v15, 0, v15, vcc_lo
	v_and_b32_e32 v16, 0xfc, v16
	s_delay_alu instid0(VALU_DEP_2) | instskip(NEXT) | instid1(VALU_DEP_2)
	v_cmp_eq_u64_e32 vcc_lo, 0, v[14:15]
	v_and_or_b32 v3, v14, 3, v16
	s_and_b32 s10, s10, vcc_lo
	s_delay_alu instid0(VALU_DEP_1) | instid1(SALU_CYCLE_1)
	v_cndmask_b32_e64 v3, v3, 0, s10
	s_delay_alu instid0(VALU_DEP_1)
	v_or_b32_e32 v60, v3, v2
.LBB4_307:                              ;   in Loop: Header=BB4_129 Depth=2
	s_or_b32 exec_lo, exec_lo, s42
                                        ; implicit-def: $vgpr2
.LBB4_308:                              ;   in Loop: Header=BB4_129 Depth=2
	s_and_not1_saveexec_b32 s10, s41
; %bb.309:                              ;   in Loop: Header=BB4_129 Depth=2
	v_or_b32_e32 v60, 0x7b, v2
; %bb.310:                              ;   in Loop: Header=BB4_129 Depth=2
	s_or_b32 exec_lo, exec_lo, s10
                                        ; implicit-def: $vgpr3
                                        ; implicit-def: $vgpr2
.LBB4_311:                              ;   in Loop: Header=BB4_129 Depth=2
	s_and_not1_saveexec_b32 s10, s40
	s_cbranch_execz .LBB4_317
; %bb.312:                              ;   in Loop: Header=BB4_129 Depth=2
	s_mov_b32 s40, exec_lo
                                        ; implicit-def: $vgpr60
	v_cmpx_ne_u64_e32 0, v[38:39]
	s_xor_b32 s40, exec_lo, s40
; %bb.313:                              ;   in Loop: Header=BB4_129 Depth=2
	v_or_b32_e32 v60, 0x7f, v2
                                        ; implicit-def: $vgpr3
; %bb.314:                              ;   in Loop: Header=BB4_129 Depth=2
	s_and_not1_saveexec_b32 s40, s40
; %bb.315:                              ;   in Loop: Header=BB4_129 Depth=2
	v_cmp_lt_i32_e32 vcc_lo, -1, v3
	v_cndmask_b32_e32 v60, 0xfc, v122, vcc_lo
; %bb.316:                              ;   in Loop: Header=BB4_129 Depth=2
	s_or_b32 exec_lo, exec_lo, s40
.LBB4_317:                              ;   in Loop: Header=BB4_129 Depth=2
	s_delay_alu instid0(SALU_CYCLE_1) | instskip(SKIP_2) | instid1(VALU_DEP_1)
	s_or_b32 exec_lo, exec_lo, s10
	v_dual_lshrrev_b32 v14, 16, v11 :: v_dual_mov_b32 v2, 0
	s_mov_b32 s10, exec_lo
	v_and_b32_e32 v3, 0xff, v14
	s_delay_alu instid0(VALU_DEP_1)
	v_cmpx_ne_u16_e32 0, v3
	s_cbranch_execz .LBB4_327
; %bb.318:                              ;   in Loop: Header=BB4_129 Depth=2
	v_bfrev_b32_e32 v2, 1
	s_mov_b32 s40, exec_lo
	v_cmpx_ne_u16_e32 0x80, v3
	s_cbranch_execz .LBB4_326
; %bb.319:                              ;   in Loop: Header=BB4_129 Depth=2
	v_and_b32_e32 v2, 0x7c0000, v11
	v_bfe_u32 v3, v11, 16, 2
	s_delay_alu instid0(VALU_DEP_2) | instskip(SKIP_1) | instid1(SALU_CYCLE_1)
	v_cmp_ne_u32_e32 vcc_lo, 0x7c0000, v2
                                        ; implicit-def: $vgpr2
	s_and_saveexec_b32 s41, vcc_lo
	s_xor_b32 s41, exec_lo, s41
	s_cbranch_execz .LBB4_323
; %bb.320:                              ;   in Loop: Header=BB4_129 Depth=2
	v_bfe_u32 v2, v11, 18, 5
	s_mov_b32 s42, exec_lo
	s_delay_alu instid0(VALU_DEP_1)
	v_cmpx_eq_u32_e32 0, v2
; %bb.321:                              ;   in Loop: Header=BB4_129 Depth=2
	v_clz_i32_u32_e32 v2, v3
	s_delay_alu instid0(VALU_DEP_1) | instskip(NEXT) | instid1(VALU_DEP_1)
	v_min_u32_e32 v2, 32, v2
	v_subrev_nc_u32_e32 v3, 29, v2
	s_delay_alu instid0(VALU_DEP_1) | instskip(NEXT) | instid1(VALU_DEP_1)
	v_lshlrev_b64_e32 v[16:17], v3, v[14:15]
	v_dual_sub_nc_u32 v2, 30, v2 :: v_dual_bitop2_b32 v3, 3, v16 bitop3:0x40
; %bb.322:                              ;   in Loop: Header=BB4_129 Depth=2
	s_or_b32 exec_lo, exec_lo, s42
	v_lshlrev_b32_e32 v14, 24, v14
	s_delay_alu instid0(VALU_DEP_1) | instskip(NEXT) | instid1(VALU_DEP_1)
	v_and_b32_e32 v14, 0x80000000, v14
	v_lshl_add_u32 v2, v2, 23, v14
                                        ; implicit-def: $vgpr14
	s_delay_alu instid0(VALU_DEP_1) | instskip(NEXT) | instid1(VALU_DEP_1)
	v_lshl_or_b32 v2, v3, 21, v2
                                        ; implicit-def: $vgpr3
	v_add_nc_u32_e32 v2, 0x38000000, v2
.LBB4_323:                              ;   in Loop: Header=BB4_129 Depth=2
	s_and_not1_saveexec_b32 s41, s41
; %bb.324:                              ;   in Loop: Header=BB4_129 Depth=2
	v_bfe_i32 v2, v14, 0, 8
	s_delay_alu instid0(VALU_DEP_1) | instskip(SKIP_2) | instid1(VALU_DEP_2)
	v_cmp_lt_i16_e32 vcc_lo, -1, v2
	v_cndmask_b32_e32 v2, 0xff800000, v126, vcc_lo
	v_cmp_eq_u32_e32 vcc_lo, 0, v3
	v_cndmask_b32_e32 v2, 0x7f800001, v2, vcc_lo
; %bb.325:                              ;   in Loop: Header=BB4_129 Depth=2
	s_or_b32 exec_lo, exec_lo, s41
.LBB4_326:                              ;   in Loop: Header=BB4_129 Depth=2
	s_delay_alu instid0(SALU_CYCLE_1)
	s_or_b32 exec_lo, exec_lo, s40
.LBB4_327:                              ;   in Loop: Header=BB4_129 Depth=2
	s_delay_alu instid0(SALU_CYCLE_1) | instskip(NEXT) | instid1(VALU_DEP_1)
	s_or_b32 exec_lo, exec_lo, s10
	v_dual_mul_f32 v3, s29, v2 :: v_dual_mov_b32 v15, v39
                                        ; implicit-def: $vgpr75
	s_mov_b32 s10, exec_lo
	s_delay_alu instid0(VALU_DEP_1) | instskip(SKIP_2) | instid1(VALU_DEP_3)
	v_and_b32_e32 v14, 0x7f800000, v3
	v_and_b32_e32 v38, 0x7fffff, v3
	v_lshrrev_b32_e32 v2, 24, v3
	v_cmpx_ne_u64_e32 0x7f800000, v[14:15]
	s_xor_b32 s40, exec_lo, s10
	s_cbranch_execz .LBB4_341
; %bb.328:                              ;   in Loop: Header=BB4_129 Depth=2
	v_and_b32_e32 v14, 0x7fffffff, v3
	v_mov_b32_e32 v15, v39
	v_and_b32_e32 v2, 0x80, v2
                                        ; implicit-def: $vgpr75
	s_mov_b32 s10, exec_lo
	s_delay_alu instid0(VALU_DEP_2)
	v_cmpx_gt_u64_e32 0x47600001, v[14:15]
	s_xor_b32 s41, exec_lo, s10
	s_cbranch_execz .LBB4_338
; %bb.329:                              ;   in Loop: Header=BB4_129 Depth=2
	v_mov_b32_e32 v75, 0
	s_mov_b32 s42, exec_lo
	v_cmpx_ne_u32_e32 0, v3
	s_cbranch_execz .LBB4_337
; %bb.330:                              ;   in Loop: Header=BB4_129 Depth=2
	v_bfe_u32 v3, v3, 23, 8
	v_or_b32_e32 v16, 0x800000, v38
	s_mov_b32 s43, exec_lo
	s_delay_alu instid0(VALU_DEP_2) | instskip(SKIP_1) | instid1(VALU_DEP_2)
	v_dual_mov_b32 v17, v39 :: v_dual_sub_nc_u32 v14, 0x71, v3
	v_cmp_gt_u32_e32 vcc_lo, 0x72, v3
	v_cndmask_b32_e32 v14, 0, v14, vcc_lo
	v_cmp_eq_u32_e32 vcc_lo, 0, v3
	s_delay_alu instid0(VALU_DEP_2) | instskip(NEXT) | instid1(VALU_DEP_1)
	v_cndmask_b32_e64 v20, v14, 0x70, vcc_lo
	v_dual_cndmask_b32 v16, v16, v38, vcc_lo :: v_dual_add_nc_u32 v14, 21, v20
	v_add_nc_u32_e32 v21, 20, v20
	s_delay_alu instid0(VALU_DEP_2) | instskip(NEXT) | instid1(VALU_DEP_2)
	v_lshlrev_b64_e64 v[14:15], v14, -1
	v_lshlrev_b64_e64 v[24:25], v21, 1
	s_delay_alu instid0(VALU_DEP_2) | instskip(NEXT) | instid1(VALU_DEP_3)
	v_bfi_b32 v103, v15, 0, 0
	v_bfi_b32 v102, v14, 0, v16
	v_lshrrev_b64 v[14:15], v20, v[16:17]
	s_delay_alu instid0(VALU_DEP_1) | instskip(NEXT) | instid1(VALU_DEP_3)
	v_mov_b64_e32 v[16:17], v[14:15]
	v_cmpx_eq_u64_e64 v[102:103], v[24:25]
; %bb.331:                              ;   in Loop: Header=BB4_129 Depth=2
	v_bfe_u32 v16, v14, 21, 1
	v_mov_b32_e32 v17, v39
	s_delay_alu instid0(VALU_DEP_1) | instskip(NEXT) | instid1(VALU_DEP_1)
	v_add_nc_u64_e32 v[16:17], v[14:15], v[16:17]
	v_add_nc_u64_e32 v[16:17], -1, v[16:17]
; %bb.332:                              ;   in Loop: Header=BB4_129 Depth=2
	s_or_b32 exec_lo, exec_lo, s43
	v_add_nc_u32_e32 v3, 0xffffff81, v3
	v_lshrrev_b32_e32 v15, 23, v14
	s_mov_b32 s10, exec_lo
	s_delay_alu instid0(VALU_DEP_2) | instskip(NEXT) | instid1(VALU_DEP_1)
	v_cndmask_b32_e64 v3, v3, 0xffffff82, vcc_lo
	v_add3_u32 v17, v20, v3, v15
	v_and_b32_e32 v3, 0x1fffff, v16
	s_delay_alu instid0(VALU_DEP_1) | instskip(NEXT) | instid1(VALU_DEP_1)
	v_dual_add_nc_u32 v16, 14, v17 :: v_dual_add_nc_u32 v38, v3, v14
                                        ; implicit-def: $vgpr14_vgpr15
                                        ; implicit-def: $vgpr3
	v_cmpx_ne_u32_e32 0, v16
	s_xor_b32 s10, exec_lo, s10
; %bb.333:                              ;   in Loop: Header=BB4_129 Depth=2
	s_delay_alu instid0(VALU_DEP_2) | instskip(SKIP_2) | instid1(VALU_DEP_2)
	v_cmp_lt_u64_e32 vcc_lo, 0xffffff, v[38:39]
	v_add_nc_u32_e32 v3, 15, v17
	v_cndmask_b32_e64 v14, 0, 1, vcc_lo
	v_cndmask_b32_e32 v3, v16, v3, vcc_lo
	s_delay_alu instid0(VALU_DEP_2)
	v_lshrrev_b64 v[14:15], v14, v[38:39]
; %bb.334:                              ;   in Loop: Header=BB4_129 Depth=2
	s_and_not1_saveexec_b32 s10, s10
; %bb.335:                              ;   in Loop: Header=BB4_129 Depth=2
	v_mov_b64_e32 v[14:15], v[38:39]
	v_bfe_u32 v3, v38, 23, 1
; %bb.336:                              ;   in Loop: Header=BB4_129 Depth=2
	s_or_b32 exec_lo, exec_lo, s10
	s_delay_alu instid0(VALU_DEP_2) | instskip(NEXT) | instid1(VALU_DEP_2)
	v_lshrrev_b64 v[14:15], 21, v[14:15]
	v_cmp_gt_i32_e32 vcc_lo, 32, v3
	v_min_i32_e32 v16, 31, v3
	v_cmp_eq_u32_e64 s10, 0, v3
	s_delay_alu instid0(VALU_DEP_2) | instskip(SKIP_1) | instid1(VALU_DEP_2)
	v_dual_cndmask_b32 v14, 3, v14, vcc_lo :: v_dual_lshlrev_b32 v16, 2, v16
	v_cndmask_b32_e32 v15, 0, v15, vcc_lo
	v_and_b32_e32 v16, 0xfc, v16
	s_delay_alu instid0(VALU_DEP_2) | instskip(NEXT) | instid1(VALU_DEP_2)
	v_cmp_eq_u64_e32 vcc_lo, 0, v[14:15]
	v_and_or_b32 v3, v14, 3, v16
	s_and_b32 s10, s10, vcc_lo
	s_delay_alu instid0(VALU_DEP_1) | instid1(SALU_CYCLE_1)
	v_cndmask_b32_e64 v3, v3, 0, s10
	s_delay_alu instid0(VALU_DEP_1)
	v_or_b32_e32 v75, v3, v2
.LBB4_337:                              ;   in Loop: Header=BB4_129 Depth=2
	s_or_b32 exec_lo, exec_lo, s42
                                        ; implicit-def: $vgpr2
.LBB4_338:                              ;   in Loop: Header=BB4_129 Depth=2
	s_and_not1_saveexec_b32 s10, s41
; %bb.339:                              ;   in Loop: Header=BB4_129 Depth=2
	v_or_b32_e32 v75, 0x7b, v2
; %bb.340:                              ;   in Loop: Header=BB4_129 Depth=2
	s_or_b32 exec_lo, exec_lo, s10
                                        ; implicit-def: $vgpr3
                                        ; implicit-def: $vgpr2
.LBB4_341:                              ;   in Loop: Header=BB4_129 Depth=2
	s_and_not1_saveexec_b32 s10, s40
	s_cbranch_execz .LBB4_347
; %bb.342:                              ;   in Loop: Header=BB4_129 Depth=2
	s_mov_b32 s40, exec_lo
                                        ; implicit-def: $vgpr75
	v_cmpx_ne_u64_e32 0, v[38:39]
	s_xor_b32 s40, exec_lo, s40
; %bb.343:                              ;   in Loop: Header=BB4_129 Depth=2
	v_or_b32_e32 v75, 0x7f, v2
                                        ; implicit-def: $vgpr3
; %bb.344:                              ;   in Loop: Header=BB4_129 Depth=2
	s_and_not1_saveexec_b32 s40, s40
; %bb.345:                              ;   in Loop: Header=BB4_129 Depth=2
	v_cmp_lt_i32_e32 vcc_lo, -1, v3
	v_cndmask_b32_e32 v75, 0xfc, v122, vcc_lo
; %bb.346:                              ;   in Loop: Header=BB4_129 Depth=2
	s_or_b32 exec_lo, exec_lo, s40
.LBB4_347:                              ;   in Loop: Header=BB4_129 Depth=2
	s_delay_alu instid0(SALU_CYCLE_1)
	s_or_b32 exec_lo, exec_lo, s10
	v_mov_b32_e32 v2, 0
	s_mov_b32 s10, exec_lo
	v_cmpx_lt_u64_e64 s[12:13], v[10:11]
	s_cbranch_execz .LBB4_357
; %bb.348:                              ;   in Loop: Header=BB4_129 Depth=2
	v_lshrrev_b32_e32 v14, 24, v11
	v_bfrev_b32_e32 v2, 1
	s_mov_b32 s40, exec_lo
	s_delay_alu instid0(VALU_DEP_2)
	v_cmpx_ne_u32_e32 0x80, v14
	s_cbranch_execz .LBB4_356
; %bb.349:                              ;   in Loop: Header=BB4_129 Depth=2
	v_and_b32_e32 v2, 0x7c000000, v11
	v_bfe_u32 v3, v11, 24, 2
	s_delay_alu instid0(VALU_DEP_2) | instskip(SKIP_1) | instid1(SALU_CYCLE_1)
	v_cmp_ne_u32_e32 vcc_lo, 0x7c000000, v2
                                        ; implicit-def: $vgpr2
	s_and_saveexec_b32 s41, vcc_lo
	s_xor_b32 s41, exec_lo, s41
	s_cbranch_execz .LBB4_353
; %bb.350:                              ;   in Loop: Header=BB4_129 Depth=2
	v_bfe_u32 v2, v11, 26, 5
	s_mov_b32 s42, exec_lo
	s_delay_alu instid0(VALU_DEP_1)
	v_cmpx_eq_u32_e32 0, v2
; %bb.351:                              ;   in Loop: Header=BB4_129 Depth=2
	v_clz_i32_u32_e32 v2, v3
	s_delay_alu instid0(VALU_DEP_1) | instskip(NEXT) | instid1(VALU_DEP_1)
	v_min_u32_e32 v2, 32, v2
	v_subrev_nc_u32_e32 v3, 29, v2
	v_sub_nc_u32_e32 v2, 30, v2
	s_delay_alu instid0(VALU_DEP_2) | instskip(NEXT) | instid1(VALU_DEP_1)
	v_lshlrev_b64_e32 v[14:15], v3, v[14:15]
	v_and_b32_e32 v3, 3, v14
; %bb.352:                              ;   in Loop: Header=BB4_129 Depth=2
	s_or_b32 exec_lo, exec_lo, s42
	v_and_b32_e32 v14, 0x80000000, v11
	s_delay_alu instid0(VALU_DEP_1) | instskip(NEXT) | instid1(VALU_DEP_1)
	v_lshl_add_u32 v2, v2, 23, v14
	v_lshl_or_b32 v2, v3, 21, v2
                                        ; implicit-def: $vgpr3
	s_delay_alu instid0(VALU_DEP_1)
	v_add_nc_u32_e32 v2, 0x38000000, v2
.LBB4_353:                              ;   in Loop: Header=BB4_129 Depth=2
	s_and_not1_saveexec_b32 s41, s41
; %bb.354:                              ;   in Loop: Header=BB4_129 Depth=2
	v_cmp_lt_i64_e32 vcc_lo, -1, v[10:11]
	v_cndmask_b32_e32 v2, 0xff800000, v126, vcc_lo
	v_cmp_eq_u32_e32 vcc_lo, 0, v3
	s_delay_alu instid0(VALU_DEP_2)
	v_cndmask_b32_e32 v2, 0x7f800001, v2, vcc_lo
; %bb.355:                              ;   in Loop: Header=BB4_129 Depth=2
	s_or_b32 exec_lo, exec_lo, s41
.LBB4_356:                              ;   in Loop: Header=BB4_129 Depth=2
	s_delay_alu instid0(SALU_CYCLE_1)
	s_or_b32 exec_lo, exec_lo, s40
.LBB4_357:                              ;   in Loop: Header=BB4_129 Depth=2
	s_delay_alu instid0(SALU_CYCLE_1) | instskip(NEXT) | instid1(VALU_DEP_1)
	s_or_b32 exec_lo, exec_lo, s10
	v_dual_mul_f32 v3, s29, v2 :: v_dual_mov_b32 v11, v39
                                        ; implicit-def: $vgpr76
	s_mov_b32 s10, exec_lo
	s_delay_alu instid0(VALU_DEP_1) | instskip(SKIP_2) | instid1(VALU_DEP_3)
	v_and_b32_e32 v10, 0x7f800000, v3
	v_and_b32_e32 v38, 0x7fffff, v3
	v_lshrrev_b32_e32 v2, 24, v3
	v_cmpx_ne_u64_e32 0x7f800000, v[10:11]
	s_xor_b32 s40, exec_lo, s10
	s_cbranch_execz .LBB4_371
; %bb.358:                              ;   in Loop: Header=BB4_129 Depth=2
	v_and_b32_e32 v10, 0x7fffffff, v3
	v_mov_b32_e32 v11, v39
	v_and_b32_e32 v2, 0x80, v2
                                        ; implicit-def: $vgpr76
	s_mov_b32 s10, exec_lo
	s_delay_alu instid0(VALU_DEP_2)
	v_cmpx_gt_u64_e32 0x47600001, v[10:11]
	s_xor_b32 s41, exec_lo, s10
	s_cbranch_execz .LBB4_368
; %bb.359:                              ;   in Loop: Header=BB4_129 Depth=2
	v_mov_b32_e32 v76, 0
	s_mov_b32 s42, exec_lo
	v_cmpx_ne_u32_e32 0, v3
	s_cbranch_execz .LBB4_367
; %bb.360:                              ;   in Loop: Header=BB4_129 Depth=2
	v_bfe_u32 v3, v3, 23, 8
	v_or_b32_e32 v14, 0x800000, v38
	s_mov_b32 s43, exec_lo
	s_delay_alu instid0(VALU_DEP_2) | instskip(SKIP_1) | instid1(VALU_DEP_2)
	v_dual_mov_b32 v15, v39 :: v_dual_sub_nc_u32 v10, 0x71, v3
	v_cmp_gt_u32_e32 vcc_lo, 0x72, v3
	v_cndmask_b32_e32 v10, 0, v10, vcc_lo
	v_cmp_eq_u32_e32 vcc_lo, 0, v3
	s_delay_alu instid0(VALU_DEP_2) | instskip(NEXT) | instid1(VALU_DEP_1)
	v_cndmask_b32_e64 v16, v10, 0x70, vcc_lo
	v_dual_cndmask_b32 v14, v14, v38, vcc_lo :: v_dual_add_nc_u32 v10, 21, v16
	v_add_nc_u32_e32 v17, 20, v16
	s_delay_alu instid0(VALU_DEP_2) | instskip(NEXT) | instid1(VALU_DEP_2)
	v_lshlrev_b64_e64 v[10:11], v10, -1
	v_lshlrev_b64_e64 v[20:21], v17, 1
	s_delay_alu instid0(VALU_DEP_2) | instskip(NEXT) | instid1(VALU_DEP_3)
	v_bfi_b32 v25, v11, 0, 0
	v_bfi_b32 v24, v10, 0, v14
	v_lshrrev_b64 v[10:11], v16, v[14:15]
	s_delay_alu instid0(VALU_DEP_1) | instskip(NEXT) | instid1(VALU_DEP_3)
	v_mov_b64_e32 v[14:15], v[10:11]
	v_cmpx_eq_u64_e64 v[24:25], v[20:21]
; %bb.361:                              ;   in Loop: Header=BB4_129 Depth=2
	v_bfe_u32 v14, v10, 21, 1
	v_mov_b32_e32 v15, v39
	s_delay_alu instid0(VALU_DEP_1) | instskip(NEXT) | instid1(VALU_DEP_1)
	v_add_nc_u64_e32 v[14:15], v[10:11], v[14:15]
	v_add_nc_u64_e32 v[14:15], -1, v[14:15]
; %bb.362:                              ;   in Loop: Header=BB4_129 Depth=2
	s_or_b32 exec_lo, exec_lo, s43
	v_add_nc_u32_e32 v3, 0xffffff81, v3
	v_lshrrev_b32_e32 v11, 23, v10
	s_mov_b32 s10, exec_lo
	s_delay_alu instid0(VALU_DEP_2) | instskip(NEXT) | instid1(VALU_DEP_1)
	v_cndmask_b32_e64 v3, v3, 0xffffff82, vcc_lo
	v_add3_u32 v15, v16, v3, v11
	v_and_b32_e32 v3, 0x1fffff, v14
	s_delay_alu instid0(VALU_DEP_1) | instskip(NEXT) | instid1(VALU_DEP_1)
	v_dual_add_nc_u32 v14, 14, v15 :: v_dual_add_nc_u32 v38, v3, v10
                                        ; implicit-def: $vgpr10_vgpr11
                                        ; implicit-def: $vgpr3
	v_cmpx_ne_u32_e32 0, v14
	s_xor_b32 s10, exec_lo, s10
; %bb.363:                              ;   in Loop: Header=BB4_129 Depth=2
	s_delay_alu instid0(VALU_DEP_2) | instskip(SKIP_2) | instid1(VALU_DEP_2)
	v_cmp_lt_u64_e32 vcc_lo, 0xffffff, v[38:39]
	v_add_nc_u32_e32 v3, 15, v15
	v_cndmask_b32_e64 v10, 0, 1, vcc_lo
	v_cndmask_b32_e32 v3, v14, v3, vcc_lo
	s_delay_alu instid0(VALU_DEP_2)
	v_lshrrev_b64 v[10:11], v10, v[38:39]
; %bb.364:                              ;   in Loop: Header=BB4_129 Depth=2
	s_and_not1_saveexec_b32 s10, s10
; %bb.365:                              ;   in Loop: Header=BB4_129 Depth=2
	v_mov_b64_e32 v[10:11], v[38:39]
	v_bfe_u32 v3, v38, 23, 1
; %bb.366:                              ;   in Loop: Header=BB4_129 Depth=2
	s_or_b32 exec_lo, exec_lo, s10
	s_delay_alu instid0(VALU_DEP_2) | instskip(NEXT) | instid1(VALU_DEP_2)
	v_lshrrev_b64 v[10:11], 21, v[10:11]
	v_cmp_gt_i32_e32 vcc_lo, 32, v3
	v_min_i32_e32 v14, 31, v3
	v_cmp_eq_u32_e64 s10, 0, v3
	s_delay_alu instid0(VALU_DEP_4) | instskip(NEXT) | instid1(VALU_DEP_3)
	v_cndmask_b32_e32 v10, 3, v10, vcc_lo
	v_dual_cndmask_b32 v11, 0, v11 :: v_dual_lshlrev_b32 v14, 2, v14
	s_delay_alu instid0(VALU_DEP_1) | instskip(NEXT) | instid1(VALU_DEP_2)
	v_and_b32_e32 v14, 0xfc, v14
	v_cmp_eq_u64_e32 vcc_lo, 0, v[10:11]
	s_delay_alu instid0(VALU_DEP_2)
	v_and_or_b32 v3, v10, 3, v14
	s_and_b32 s10, s10, vcc_lo
	s_delay_alu instid0(VALU_DEP_1) | instid1(SALU_CYCLE_1)
	v_cndmask_b32_e64 v3, v3, 0, s10
	s_delay_alu instid0(VALU_DEP_1)
	v_or_b32_e32 v76, v3, v2
.LBB4_367:                              ;   in Loop: Header=BB4_129 Depth=2
	s_or_b32 exec_lo, exec_lo, s42
                                        ; implicit-def: $vgpr2
.LBB4_368:                              ;   in Loop: Header=BB4_129 Depth=2
	s_and_not1_saveexec_b32 s10, s41
; %bb.369:                              ;   in Loop: Header=BB4_129 Depth=2
	v_or_b32_e32 v76, 0x7b, v2
; %bb.370:                              ;   in Loop: Header=BB4_129 Depth=2
	s_or_b32 exec_lo, exec_lo, s10
                                        ; implicit-def: $vgpr3
                                        ; implicit-def: $vgpr2
.LBB4_371:                              ;   in Loop: Header=BB4_129 Depth=2
	s_and_not1_saveexec_b32 s10, s40
	s_cbranch_execz .LBB4_377
; %bb.372:                              ;   in Loop: Header=BB4_129 Depth=2
	s_mov_b32 s40, exec_lo
                                        ; implicit-def: $vgpr76
	v_cmpx_ne_u64_e32 0, v[38:39]
	s_xor_b32 s40, exec_lo, s40
; %bb.373:                              ;   in Loop: Header=BB4_129 Depth=2
	v_or_b32_e32 v76, 0x7f, v2
                                        ; implicit-def: $vgpr3
; %bb.374:                              ;   in Loop: Header=BB4_129 Depth=2
	s_and_not1_saveexec_b32 s40, s40
; %bb.375:                              ;   in Loop: Header=BB4_129 Depth=2
	v_cmp_lt_i32_e32 vcc_lo, -1, v3
	v_cndmask_b32_e32 v76, 0xfc, v122, vcc_lo
; %bb.376:                              ;   in Loop: Header=BB4_129 Depth=2
	s_or_b32 exec_lo, exec_lo, s40
.LBB4_377:                              ;   in Loop: Header=BB4_129 Depth=2
	s_delay_alu instid0(SALU_CYCLE_1) | instskip(SKIP_1) | instid1(VALU_DEP_1)
	s_or_b32 exec_lo, exec_lo, s10
	v_and_b32_e32 v2, 0xff, v12
	v_cmp_ne_u16_e32 vcc_lo, 0, v2
	v_mov_b32_e32 v2, 0
	s_and_saveexec_b32 s10, vcc_lo
	s_cbranch_execz .LBB4_387
; %bb.378:                              ;   in Loop: Header=BB4_129 Depth=2
	v_bfe_i32 v10, v12, 0, 8
	v_bfrev_b32_e32 v2, 1
	s_mov_b32 s40, exec_lo
	s_delay_alu instid0(VALU_DEP_2)
	v_cmpx_ne_u16_e32 0xff80, v10
	s_cbranch_execz .LBB4_386
; %bb.379:                              ;   in Loop: Header=BB4_129 Depth=2
	v_and_b32_e32 v2, 0x7c, v12
	v_and_b32_e32 v3, 3, v12
	s_delay_alu instid0(VALU_DEP_2) | instskip(SKIP_1) | instid1(SALU_CYCLE_1)
	v_cmp_ne_u32_e32 vcc_lo, 0x7c, v2
                                        ; implicit-def: $vgpr2
	s_and_saveexec_b32 s41, vcc_lo
	s_xor_b32 s41, exec_lo, s41
	s_cbranch_execz .LBB4_383
; %bb.380:                              ;   in Loop: Header=BB4_129 Depth=2
	v_bfe_u32 v2, v12, 2, 5
	s_mov_b32 s42, exec_lo
	s_delay_alu instid0(VALU_DEP_1)
	v_cmpx_eq_u32_e32 0, v2
; %bb.381:                              ;   in Loop: Header=BB4_129 Depth=2
	v_clz_i32_u32_e32 v2, v3
	s_delay_alu instid0(VALU_DEP_1) | instskip(NEXT) | instid1(VALU_DEP_1)
	v_min_u32_e32 v2, 32, v2
	v_subrev_nc_u32_e32 v3, 29, v2
	v_sub_nc_u32_e32 v2, 30, v2
	s_delay_alu instid0(VALU_DEP_2) | instskip(NEXT) | instid1(VALU_DEP_1)
	v_lshlrev_b64_e32 v[10:11], v3, v[12:13]
	v_and_b32_e32 v3, 3, v10
; %bb.382:                              ;   in Loop: Header=BB4_129 Depth=2
	s_or_b32 exec_lo, exec_lo, s42
	v_lshlrev_b32_e32 v10, 24, v12
	s_delay_alu instid0(VALU_DEP_1) | instskip(NEXT) | instid1(VALU_DEP_1)
	v_and_b32_e32 v10, 0x80000000, v10
	v_lshl_add_u32 v2, v2, 23, v10
                                        ; implicit-def: $vgpr10
	s_delay_alu instid0(VALU_DEP_1) | instskip(NEXT) | instid1(VALU_DEP_1)
	v_lshl_or_b32 v2, v3, 21, v2
                                        ; implicit-def: $vgpr3
	v_add_nc_u32_e32 v2, 0x38000000, v2
.LBB4_383:                              ;   in Loop: Header=BB4_129 Depth=2
	s_and_not1_saveexec_b32 s41, s41
; %bb.384:                              ;   in Loop: Header=BB4_129 Depth=2
	v_cmp_lt_i16_e32 vcc_lo, -1, v10
	v_cndmask_b32_e32 v2, 0xff800000, v126, vcc_lo
	v_cmp_eq_u32_e32 vcc_lo, 0, v3
	s_delay_alu instid0(VALU_DEP_2)
	v_cndmask_b32_e32 v2, 0x7f800001, v2, vcc_lo
; %bb.385:                              ;   in Loop: Header=BB4_129 Depth=2
	s_or_b32 exec_lo, exec_lo, s41
.LBB4_386:                              ;   in Loop: Header=BB4_129 Depth=2
	s_delay_alu instid0(SALU_CYCLE_1)
	s_or_b32 exec_lo, exec_lo, s40
.LBB4_387:                              ;   in Loop: Header=BB4_129 Depth=2
	s_delay_alu instid0(SALU_CYCLE_1) | instskip(NEXT) | instid1(VALU_DEP_1)
	s_or_b32 exec_lo, exec_lo, s10
	v_dual_mul_f32 v3, s29, v2 :: v_dual_mov_b32 v11, v39
                                        ; implicit-def: $vgpr58
	s_mov_b32 s10, exec_lo
	s_delay_alu instid0(VALU_DEP_1) | instskip(SKIP_2) | instid1(VALU_DEP_3)
	v_and_b32_e32 v10, 0x7f800000, v3
	v_and_b32_e32 v38, 0x7fffff, v3
	v_lshrrev_b32_e32 v2, 24, v3
	v_cmpx_ne_u64_e32 0x7f800000, v[10:11]
	s_xor_b32 s40, exec_lo, s10
	s_cbranch_execz .LBB4_401
; %bb.388:                              ;   in Loop: Header=BB4_129 Depth=2
	v_and_b32_e32 v10, 0x7fffffff, v3
	v_mov_b32_e32 v11, v39
	v_and_b32_e32 v2, 0x80, v2
                                        ; implicit-def: $vgpr58
	s_mov_b32 s10, exec_lo
	s_delay_alu instid0(VALU_DEP_2)
	v_cmpx_gt_u64_e32 0x47600001, v[10:11]
	s_xor_b32 s41, exec_lo, s10
	s_cbranch_execz .LBB4_398
; %bb.389:                              ;   in Loop: Header=BB4_129 Depth=2
	v_mov_b32_e32 v58, 0
	s_mov_b32 s42, exec_lo
	v_cmpx_ne_u32_e32 0, v3
	s_cbranch_execz .LBB4_397
; %bb.390:                              ;   in Loop: Header=BB4_129 Depth=2
	v_bfe_u32 v3, v3, 23, 8
	v_or_b32_e32 v14, 0x800000, v38
	s_mov_b32 s43, exec_lo
	s_delay_alu instid0(VALU_DEP_2) | instskip(SKIP_1) | instid1(VALU_DEP_2)
	v_dual_mov_b32 v15, v39 :: v_dual_sub_nc_u32 v10, 0x71, v3
	v_cmp_gt_u32_e32 vcc_lo, 0x72, v3
	v_cndmask_b32_e32 v10, 0, v10, vcc_lo
	v_cmp_eq_u32_e32 vcc_lo, 0, v3
	s_delay_alu instid0(VALU_DEP_2) | instskip(NEXT) | instid1(VALU_DEP_1)
	v_cndmask_b32_e64 v16, v10, 0x70, vcc_lo
	v_dual_cndmask_b32 v14, v14, v38, vcc_lo :: v_dual_add_nc_u32 v10, 21, v16
	v_add_nc_u32_e32 v17, 20, v16
	s_delay_alu instid0(VALU_DEP_2) | instskip(NEXT) | instid1(VALU_DEP_2)
	v_lshlrev_b64_e64 v[10:11], v10, -1
	v_lshlrev_b64_e64 v[20:21], v17, 1
	s_delay_alu instid0(VALU_DEP_2) | instskip(NEXT) | instid1(VALU_DEP_3)
	v_bfi_b32 v25, v11, 0, 0
	v_bfi_b32 v24, v10, 0, v14
	v_lshrrev_b64 v[10:11], v16, v[14:15]
	s_delay_alu instid0(VALU_DEP_1) | instskip(NEXT) | instid1(VALU_DEP_3)
	v_mov_b64_e32 v[14:15], v[10:11]
	v_cmpx_eq_u64_e64 v[24:25], v[20:21]
; %bb.391:                              ;   in Loop: Header=BB4_129 Depth=2
	v_bfe_u32 v14, v10, 21, 1
	v_mov_b32_e32 v15, v39
	s_delay_alu instid0(VALU_DEP_1) | instskip(NEXT) | instid1(VALU_DEP_1)
	v_add_nc_u64_e32 v[14:15], v[10:11], v[14:15]
	v_add_nc_u64_e32 v[14:15], -1, v[14:15]
; %bb.392:                              ;   in Loop: Header=BB4_129 Depth=2
	s_or_b32 exec_lo, exec_lo, s43
	v_add_nc_u32_e32 v3, 0xffffff81, v3
	v_lshrrev_b32_e32 v11, 23, v10
	s_mov_b32 s10, exec_lo
	s_delay_alu instid0(VALU_DEP_2) | instskip(NEXT) | instid1(VALU_DEP_1)
	v_cndmask_b32_e64 v3, v3, 0xffffff82, vcc_lo
	v_add3_u32 v15, v16, v3, v11
	v_and_b32_e32 v3, 0x1fffff, v14
	s_delay_alu instid0(VALU_DEP_1) | instskip(NEXT) | instid1(VALU_DEP_1)
	v_dual_add_nc_u32 v14, 14, v15 :: v_dual_add_nc_u32 v38, v3, v10
                                        ; implicit-def: $vgpr10_vgpr11
                                        ; implicit-def: $vgpr3
	v_cmpx_ne_u32_e32 0, v14
	s_xor_b32 s10, exec_lo, s10
; %bb.393:                              ;   in Loop: Header=BB4_129 Depth=2
	s_delay_alu instid0(VALU_DEP_2) | instskip(SKIP_2) | instid1(VALU_DEP_2)
	v_cmp_lt_u64_e32 vcc_lo, 0xffffff, v[38:39]
	v_add_nc_u32_e32 v3, 15, v15
	v_cndmask_b32_e64 v10, 0, 1, vcc_lo
	v_cndmask_b32_e32 v3, v14, v3, vcc_lo
	s_delay_alu instid0(VALU_DEP_2)
	v_lshrrev_b64 v[10:11], v10, v[38:39]
; %bb.394:                              ;   in Loop: Header=BB4_129 Depth=2
	s_and_not1_saveexec_b32 s10, s10
; %bb.395:                              ;   in Loop: Header=BB4_129 Depth=2
	v_mov_b64_e32 v[10:11], v[38:39]
	v_bfe_u32 v3, v38, 23, 1
; %bb.396:                              ;   in Loop: Header=BB4_129 Depth=2
	s_or_b32 exec_lo, exec_lo, s10
	s_delay_alu instid0(VALU_DEP_2) | instskip(NEXT) | instid1(VALU_DEP_2)
	v_lshrrev_b64 v[10:11], 21, v[10:11]
	v_cmp_gt_i32_e32 vcc_lo, 32, v3
	v_min_i32_e32 v14, 31, v3
	v_cmp_eq_u32_e64 s10, 0, v3
	s_delay_alu instid0(VALU_DEP_4) | instskip(NEXT) | instid1(VALU_DEP_3)
	v_cndmask_b32_e32 v10, 3, v10, vcc_lo
	v_dual_cndmask_b32 v11, 0, v11 :: v_dual_lshlrev_b32 v14, 2, v14
	s_delay_alu instid0(VALU_DEP_1) | instskip(NEXT) | instid1(VALU_DEP_2)
	v_and_b32_e32 v14, 0xfc, v14
	v_cmp_eq_u64_e32 vcc_lo, 0, v[10:11]
	s_delay_alu instid0(VALU_DEP_2)
	v_and_or_b32 v3, v10, 3, v14
	s_and_b32 s10, s10, vcc_lo
	s_delay_alu instid0(VALU_DEP_1) | instid1(SALU_CYCLE_1)
	v_cndmask_b32_e64 v3, v3, 0, s10
	s_delay_alu instid0(VALU_DEP_1)
	v_or_b32_e32 v58, v3, v2
.LBB4_397:                              ;   in Loop: Header=BB4_129 Depth=2
	s_or_b32 exec_lo, exec_lo, s42
                                        ; implicit-def: $vgpr2
.LBB4_398:                              ;   in Loop: Header=BB4_129 Depth=2
	s_and_not1_saveexec_b32 s10, s41
; %bb.399:                              ;   in Loop: Header=BB4_129 Depth=2
	v_or_b32_e32 v58, 0x7b, v2
; %bb.400:                              ;   in Loop: Header=BB4_129 Depth=2
	s_or_b32 exec_lo, exec_lo, s10
                                        ; implicit-def: $vgpr3
                                        ; implicit-def: $vgpr2
.LBB4_401:                              ;   in Loop: Header=BB4_129 Depth=2
	s_and_not1_saveexec_b32 s10, s40
	s_cbranch_execz .LBB4_407
; %bb.402:                              ;   in Loop: Header=BB4_129 Depth=2
	s_mov_b32 s40, exec_lo
                                        ; implicit-def: $vgpr58
	v_cmpx_ne_u64_e32 0, v[38:39]
	s_xor_b32 s40, exec_lo, s40
; %bb.403:                              ;   in Loop: Header=BB4_129 Depth=2
	v_or_b32_e32 v58, 0x7f, v2
                                        ; implicit-def: $vgpr3
; %bb.404:                              ;   in Loop: Header=BB4_129 Depth=2
	s_and_not1_saveexec_b32 s40, s40
; %bb.405:                              ;   in Loop: Header=BB4_129 Depth=2
	v_cmp_lt_i32_e32 vcc_lo, -1, v3
	v_cndmask_b32_e32 v58, 0xfc, v122, vcc_lo
; %bb.406:                              ;   in Loop: Header=BB4_129 Depth=2
	s_or_b32 exec_lo, exec_lo, s40
.LBB4_407:                              ;   in Loop: Header=BB4_129 Depth=2
	s_delay_alu instid0(SALU_CYCLE_1) | instskip(SKIP_3) | instid1(VALU_DEP_2)
	s_or_b32 exec_lo, exec_lo, s10
	v_lshrrev_b16 v10, 8, v12
	v_mov_b32_e32 v3, 0
	s_mov_b32 s10, exec_lo
	v_cmpx_ne_u16_e32 0, v10
	s_cbranch_execz .LBB4_417
; %bb.408:                              ;   in Loop: Header=BB4_129 Depth=2
	v_bfrev_b32_e32 v3, 1
	s_mov_b32 s40, exec_lo
	v_cmpx_ne_u16_e32 0x80, v10
	s_cbranch_execz .LBB4_416
; %bb.409:                              ;   in Loop: Header=BB4_129 Depth=2
	v_and_b32_e32 v11, 0xffff, v10
	s_delay_alu instid0(VALU_DEP_1) | instskip(SKIP_1) | instid1(VALU_DEP_2)
	v_and_b32_e32 v3, 0x7c, v11
	v_and_b32_e32 v2, 3, v11
	v_cmp_ne_u32_e32 vcc_lo, 0x7c, v3
                                        ; implicit-def: $vgpr3
	s_and_saveexec_b32 s41, vcc_lo
	s_delay_alu instid0(SALU_CYCLE_1)
	s_xor_b32 s41, exec_lo, s41
	s_cbranch_execz .LBB4_413
; %bb.410:                              ;   in Loop: Header=BB4_129 Depth=2
	v_bfe_u32 v3, v11, 2, 5
	s_mov_b32 s42, exec_lo
	s_delay_alu instid0(VALU_DEP_1)
	v_cmpx_eq_u32_e32 0, v3
	s_cbranch_execz .LBB4_412
; %bb.411:                              ;   in Loop: Header=BB4_129 Depth=2
	v_clz_i32_u32_e32 v2, v2
	s_delay_alu instid0(VALU_DEP_1) | instskip(SKIP_1) | instid1(VALU_DEP_2)
	v_min_u32_e32 v14, 32, v2
	v_mov_b32_e32 v11, v39
	v_subrev_nc_u32_e32 v2, 29, v14
	s_delay_alu instid0(VALU_DEP_1) | instskip(SKIP_1) | instid1(VALU_DEP_2)
	v_lshlrev_b64_e32 v[2:3], v2, v[10:11]
	v_sub_nc_u32_e32 v3, 30, v14
	v_and_b32_e32 v2, 3, v2
.LBB4_412:                              ;   in Loop: Header=BB4_129 Depth=2
	s_or_b32 exec_lo, exec_lo, s42
	v_lshlrev_b32_e32 v10, 16, v12
	s_delay_alu instid0(VALU_DEP_1) | instskip(NEXT) | instid1(VALU_DEP_1)
	v_and_b32_e32 v10, 0x80000000, v10
	v_lshl_add_u32 v3, v3, 23, v10
	s_delay_alu instid0(VALU_DEP_1) | instskip(NEXT) | instid1(VALU_DEP_1)
	v_lshl_or_b32 v2, v2, 21, v3
	v_add_nc_u32_e32 v3, 0x38000000, v2
                                        ; implicit-def: $vgpr2
.LBB4_413:                              ;   in Loop: Header=BB4_129 Depth=2
	s_and_not1_saveexec_b32 s41, s41
; %bb.414:                              ;   in Loop: Header=BB4_129 Depth=2
	v_cmp_lt_i16_e32 vcc_lo, -1, v12
	v_cndmask_b32_e32 v3, 0xff800000, v126, vcc_lo
	v_cmp_eq_u32_e32 vcc_lo, 0, v2
	s_delay_alu instid0(VALU_DEP_2)
	v_cndmask_b32_e32 v3, 0x7f800001, v3, vcc_lo
; %bb.415:                              ;   in Loop: Header=BB4_129 Depth=2
	s_or_b32 exec_lo, exec_lo, s41
.LBB4_416:                              ;   in Loop: Header=BB4_129 Depth=2
	s_delay_alu instid0(SALU_CYCLE_1)
	s_or_b32 exec_lo, exec_lo, s40
.LBB4_417:                              ;   in Loop: Header=BB4_129 Depth=2
	s_delay_alu instid0(SALU_CYCLE_1) | instskip(NEXT) | instid1(VALU_DEP_1)
	s_or_b32 exec_lo, exec_lo, s10
	v_dual_mul_f32 v3, s29, v3 :: v_dual_mov_b32 v11, v39
                                        ; implicit-def: $vgpr63
	s_mov_b32 s10, exec_lo
	s_delay_alu instid0(VALU_DEP_1) | instskip(SKIP_2) | instid1(VALU_DEP_3)
	v_and_b32_e32 v10, 0x7f800000, v3
	v_and_b32_e32 v38, 0x7fffff, v3
	v_lshrrev_b32_e32 v2, 24, v3
	v_cmpx_ne_u64_e32 0x7f800000, v[10:11]
	s_xor_b32 s40, exec_lo, s10
	s_cbranch_execz .LBB4_431
; %bb.418:                              ;   in Loop: Header=BB4_129 Depth=2
	v_and_b32_e32 v10, 0x7fffffff, v3
	v_mov_b32_e32 v11, v39
	v_and_b32_e32 v2, 0x80, v2
                                        ; implicit-def: $vgpr63
	s_mov_b32 s10, exec_lo
	s_delay_alu instid0(VALU_DEP_2)
	v_cmpx_gt_u64_e32 0x47600001, v[10:11]
	s_xor_b32 s41, exec_lo, s10
	s_cbranch_execz .LBB4_428
; %bb.419:                              ;   in Loop: Header=BB4_129 Depth=2
	v_mov_b32_e32 v63, 0
	s_mov_b32 s42, exec_lo
	v_cmpx_ne_u32_e32 0, v3
	s_cbranch_execz .LBB4_427
; %bb.420:                              ;   in Loop: Header=BB4_129 Depth=2
	v_bfe_u32 v3, v3, 23, 8
	v_or_b32_e32 v14, 0x800000, v38
	s_mov_b32 s43, exec_lo
	s_delay_alu instid0(VALU_DEP_2) | instskip(SKIP_1) | instid1(VALU_DEP_2)
	v_dual_mov_b32 v15, v39 :: v_dual_sub_nc_u32 v10, 0x71, v3
	v_cmp_gt_u32_e32 vcc_lo, 0x72, v3
	v_cndmask_b32_e32 v10, 0, v10, vcc_lo
	v_cmp_eq_u32_e32 vcc_lo, 0, v3
	s_delay_alu instid0(VALU_DEP_2) | instskip(NEXT) | instid1(VALU_DEP_1)
	v_cndmask_b32_e64 v16, v10, 0x70, vcc_lo
	v_dual_cndmask_b32 v14, v14, v38, vcc_lo :: v_dual_add_nc_u32 v10, 21, v16
	v_add_nc_u32_e32 v17, 20, v16
	s_delay_alu instid0(VALU_DEP_2) | instskip(NEXT) | instid1(VALU_DEP_2)
	v_lshlrev_b64_e64 v[10:11], v10, -1
	v_lshlrev_b64_e64 v[20:21], v17, 1
	s_delay_alu instid0(VALU_DEP_2) | instskip(NEXT) | instid1(VALU_DEP_3)
	v_bfi_b32 v25, v11, 0, 0
	v_bfi_b32 v24, v10, 0, v14
	v_lshrrev_b64 v[10:11], v16, v[14:15]
	s_delay_alu instid0(VALU_DEP_1) | instskip(NEXT) | instid1(VALU_DEP_3)
	v_mov_b64_e32 v[14:15], v[10:11]
	v_cmpx_eq_u64_e64 v[24:25], v[20:21]
; %bb.421:                              ;   in Loop: Header=BB4_129 Depth=2
	v_bfe_u32 v14, v10, 21, 1
	v_mov_b32_e32 v15, v39
	s_delay_alu instid0(VALU_DEP_1) | instskip(NEXT) | instid1(VALU_DEP_1)
	v_add_nc_u64_e32 v[14:15], v[10:11], v[14:15]
	v_add_nc_u64_e32 v[14:15], -1, v[14:15]
; %bb.422:                              ;   in Loop: Header=BB4_129 Depth=2
	s_or_b32 exec_lo, exec_lo, s43
	v_add_nc_u32_e32 v3, 0xffffff81, v3
	v_lshrrev_b32_e32 v11, 23, v10
	s_mov_b32 s10, exec_lo
	s_delay_alu instid0(VALU_DEP_2) | instskip(NEXT) | instid1(VALU_DEP_1)
	v_cndmask_b32_e64 v3, v3, 0xffffff82, vcc_lo
	v_add3_u32 v15, v16, v3, v11
	v_and_b32_e32 v3, 0x1fffff, v14
	s_delay_alu instid0(VALU_DEP_1) | instskip(NEXT) | instid1(VALU_DEP_1)
	v_dual_add_nc_u32 v14, 14, v15 :: v_dual_add_nc_u32 v38, v3, v10
                                        ; implicit-def: $vgpr10_vgpr11
                                        ; implicit-def: $vgpr3
	v_cmpx_ne_u32_e32 0, v14
	s_xor_b32 s10, exec_lo, s10
; %bb.423:                              ;   in Loop: Header=BB4_129 Depth=2
	s_delay_alu instid0(VALU_DEP_2) | instskip(SKIP_2) | instid1(VALU_DEP_2)
	v_cmp_lt_u64_e32 vcc_lo, 0xffffff, v[38:39]
	v_add_nc_u32_e32 v3, 15, v15
	v_cndmask_b32_e64 v10, 0, 1, vcc_lo
	v_cndmask_b32_e32 v3, v14, v3, vcc_lo
	s_delay_alu instid0(VALU_DEP_2)
	v_lshrrev_b64 v[10:11], v10, v[38:39]
; %bb.424:                              ;   in Loop: Header=BB4_129 Depth=2
	s_and_not1_saveexec_b32 s10, s10
; %bb.425:                              ;   in Loop: Header=BB4_129 Depth=2
	v_mov_b64_e32 v[10:11], v[38:39]
	v_bfe_u32 v3, v38, 23, 1
; %bb.426:                              ;   in Loop: Header=BB4_129 Depth=2
	s_or_b32 exec_lo, exec_lo, s10
	s_delay_alu instid0(VALU_DEP_2) | instskip(NEXT) | instid1(VALU_DEP_2)
	v_lshrrev_b64 v[10:11], 21, v[10:11]
	v_cmp_gt_i32_e32 vcc_lo, 32, v3
	v_min_i32_e32 v14, 31, v3
	v_cmp_eq_u32_e64 s10, 0, v3
	s_delay_alu instid0(VALU_DEP_4) | instskip(NEXT) | instid1(VALU_DEP_3)
	v_cndmask_b32_e32 v10, 3, v10, vcc_lo
	v_dual_cndmask_b32 v11, 0, v11 :: v_dual_lshlrev_b32 v14, 2, v14
	s_delay_alu instid0(VALU_DEP_1) | instskip(NEXT) | instid1(VALU_DEP_2)
	v_and_b32_e32 v14, 0xfc, v14
	v_cmp_eq_u64_e32 vcc_lo, 0, v[10:11]
	s_delay_alu instid0(VALU_DEP_2)
	v_and_or_b32 v3, v10, 3, v14
	s_and_b32 s10, s10, vcc_lo
	s_delay_alu instid0(VALU_DEP_1) | instid1(SALU_CYCLE_1)
	v_cndmask_b32_e64 v3, v3, 0, s10
	s_delay_alu instid0(VALU_DEP_1)
	v_or_b32_e32 v63, v3, v2
.LBB4_427:                              ;   in Loop: Header=BB4_129 Depth=2
	s_or_b32 exec_lo, exec_lo, s42
                                        ; implicit-def: $vgpr2
.LBB4_428:                              ;   in Loop: Header=BB4_129 Depth=2
	s_and_not1_saveexec_b32 s10, s41
; %bb.429:                              ;   in Loop: Header=BB4_129 Depth=2
	v_or_b32_e32 v63, 0x7b, v2
; %bb.430:                              ;   in Loop: Header=BB4_129 Depth=2
	s_or_b32 exec_lo, exec_lo, s10
                                        ; implicit-def: $vgpr3
                                        ; implicit-def: $vgpr2
.LBB4_431:                              ;   in Loop: Header=BB4_129 Depth=2
	s_and_not1_saveexec_b32 s10, s40
	s_cbranch_execz .LBB4_437
; %bb.432:                              ;   in Loop: Header=BB4_129 Depth=2
	s_mov_b32 s40, exec_lo
                                        ; implicit-def: $vgpr63
	v_cmpx_ne_u64_e32 0, v[38:39]
	s_xor_b32 s40, exec_lo, s40
; %bb.433:                              ;   in Loop: Header=BB4_129 Depth=2
	v_or_b32_e32 v63, 0x7f, v2
                                        ; implicit-def: $vgpr3
; %bb.434:                              ;   in Loop: Header=BB4_129 Depth=2
	s_and_not1_saveexec_b32 s40, s40
; %bb.435:                              ;   in Loop: Header=BB4_129 Depth=2
	v_cmp_lt_i32_e32 vcc_lo, -1, v3
	v_cndmask_b32_e32 v63, 0xfc, v122, vcc_lo
; %bb.436:                              ;   in Loop: Header=BB4_129 Depth=2
	s_or_b32 exec_lo, exec_lo, s40
.LBB4_437:                              ;   in Loop: Header=BB4_129 Depth=2
	s_delay_alu instid0(SALU_CYCLE_1) | instskip(SKIP_2) | instid1(VALU_DEP_1)
	s_or_b32 exec_lo, exec_lo, s10
	v_dual_lshrrev_b32 v10, 16, v12 :: v_dual_mov_b32 v2, 0
	s_mov_b32 s10, exec_lo
	v_and_b32_e32 v3, 0xff, v10
	s_delay_alu instid0(VALU_DEP_1)
	v_cmpx_ne_u16_e32 0, v3
	s_cbranch_execz .LBB4_447
; %bb.438:                              ;   in Loop: Header=BB4_129 Depth=2
	v_bfrev_b32_e32 v2, 1
	s_mov_b32 s40, exec_lo
	v_cmpx_ne_u16_e32 0x80, v3
	s_cbranch_execz .LBB4_446
; %bb.439:                              ;   in Loop: Header=BB4_129 Depth=2
	v_and_b32_e32 v2, 0x7c0000, v12
	v_bfe_u32 v3, v12, 16, 2
	s_delay_alu instid0(VALU_DEP_2) | instskip(SKIP_1) | instid1(SALU_CYCLE_1)
	v_cmp_ne_u32_e32 vcc_lo, 0x7c0000, v2
                                        ; implicit-def: $vgpr2
	s_and_saveexec_b32 s41, vcc_lo
	s_xor_b32 s41, exec_lo, s41
	s_cbranch_execz .LBB4_443
; %bb.440:                              ;   in Loop: Header=BB4_129 Depth=2
	v_bfe_u32 v2, v12, 18, 5
	s_mov_b32 s42, exec_lo
	s_delay_alu instid0(VALU_DEP_1)
	v_cmpx_eq_u32_e32 0, v2
; %bb.441:                              ;   in Loop: Header=BB4_129 Depth=2
	v_clz_i32_u32_e32 v2, v3
	s_delay_alu instid0(VALU_DEP_1) | instskip(NEXT) | instid1(VALU_DEP_1)
	v_min_u32_e32 v2, 32, v2
	v_subrev_nc_u32_e32 v3, 29, v2
	v_sub_nc_u32_e32 v2, 30, v2
	s_delay_alu instid0(VALU_DEP_2) | instskip(NEXT) | instid1(VALU_DEP_1)
	v_lshlrev_b64_e32 v[14:15], v3, v[10:11]
	v_and_b32_e32 v3, 3, v14
; %bb.442:                              ;   in Loop: Header=BB4_129 Depth=2
	s_or_b32 exec_lo, exec_lo, s42
	v_lshlrev_b32_e32 v10, 24, v10
	s_delay_alu instid0(VALU_DEP_1) | instskip(NEXT) | instid1(VALU_DEP_1)
	v_and_b32_e32 v10, 0x80000000, v10
	v_lshl_add_u32 v2, v2, 23, v10
                                        ; implicit-def: $vgpr10
	s_delay_alu instid0(VALU_DEP_1) | instskip(NEXT) | instid1(VALU_DEP_1)
	v_lshl_or_b32 v2, v3, 21, v2
                                        ; implicit-def: $vgpr3
	v_add_nc_u32_e32 v2, 0x38000000, v2
.LBB4_443:                              ;   in Loop: Header=BB4_129 Depth=2
	s_and_not1_saveexec_b32 s41, s41
; %bb.444:                              ;   in Loop: Header=BB4_129 Depth=2
	v_bfe_i32 v2, v10, 0, 8
	s_delay_alu instid0(VALU_DEP_1) | instskip(SKIP_2) | instid1(VALU_DEP_2)
	v_cmp_lt_i16_e32 vcc_lo, -1, v2
	v_cndmask_b32_e32 v2, 0xff800000, v126, vcc_lo
	v_cmp_eq_u32_e32 vcc_lo, 0, v3
	v_cndmask_b32_e32 v2, 0x7f800001, v2, vcc_lo
; %bb.445:                              ;   in Loop: Header=BB4_129 Depth=2
	s_or_b32 exec_lo, exec_lo, s41
.LBB4_446:                              ;   in Loop: Header=BB4_129 Depth=2
	s_delay_alu instid0(SALU_CYCLE_1)
	s_or_b32 exec_lo, exec_lo, s40
.LBB4_447:                              ;   in Loop: Header=BB4_129 Depth=2
	s_delay_alu instid0(SALU_CYCLE_1) | instskip(NEXT) | instid1(VALU_DEP_1)
	s_or_b32 exec_lo, exec_lo, s10
	v_dual_mul_f32 v3, s29, v2 :: v_dual_mov_b32 v11, v39
                                        ; implicit-def: $vgpr73
	s_mov_b32 s10, exec_lo
	s_delay_alu instid0(VALU_DEP_1) | instskip(SKIP_2) | instid1(VALU_DEP_3)
	v_and_b32_e32 v10, 0x7f800000, v3
	v_and_b32_e32 v38, 0x7fffff, v3
	v_lshrrev_b32_e32 v2, 24, v3
	v_cmpx_ne_u64_e32 0x7f800000, v[10:11]
	s_xor_b32 s40, exec_lo, s10
	s_cbranch_execz .LBB4_461
; %bb.448:                              ;   in Loop: Header=BB4_129 Depth=2
	v_and_b32_e32 v10, 0x7fffffff, v3
	v_mov_b32_e32 v11, v39
	v_and_b32_e32 v2, 0x80, v2
                                        ; implicit-def: $vgpr73
	s_mov_b32 s10, exec_lo
	s_delay_alu instid0(VALU_DEP_2)
	v_cmpx_gt_u64_e32 0x47600001, v[10:11]
	s_xor_b32 s41, exec_lo, s10
	s_cbranch_execz .LBB4_458
; %bb.449:                              ;   in Loop: Header=BB4_129 Depth=2
	v_mov_b32_e32 v73, 0
	s_mov_b32 s42, exec_lo
	v_cmpx_ne_u32_e32 0, v3
	s_cbranch_execz .LBB4_457
; %bb.450:                              ;   in Loop: Header=BB4_129 Depth=2
	v_bfe_u32 v3, v3, 23, 8
	v_or_b32_e32 v14, 0x800000, v38
	s_mov_b32 s43, exec_lo
	s_delay_alu instid0(VALU_DEP_2) | instskip(SKIP_1) | instid1(VALU_DEP_2)
	v_dual_mov_b32 v15, v39 :: v_dual_sub_nc_u32 v10, 0x71, v3
	v_cmp_gt_u32_e32 vcc_lo, 0x72, v3
	v_cndmask_b32_e32 v10, 0, v10, vcc_lo
	v_cmp_eq_u32_e32 vcc_lo, 0, v3
	s_delay_alu instid0(VALU_DEP_2) | instskip(NEXT) | instid1(VALU_DEP_1)
	v_cndmask_b32_e64 v16, v10, 0x70, vcc_lo
	v_dual_cndmask_b32 v14, v14, v38, vcc_lo :: v_dual_add_nc_u32 v10, 21, v16
	v_add_nc_u32_e32 v17, 20, v16
	s_delay_alu instid0(VALU_DEP_2) | instskip(NEXT) | instid1(VALU_DEP_2)
	v_lshlrev_b64_e64 v[10:11], v10, -1
	v_lshlrev_b64_e64 v[20:21], v17, 1
	s_delay_alu instid0(VALU_DEP_2) | instskip(NEXT) | instid1(VALU_DEP_3)
	v_bfi_b32 v25, v11, 0, 0
	v_bfi_b32 v24, v10, 0, v14
	v_lshrrev_b64 v[10:11], v16, v[14:15]
	s_delay_alu instid0(VALU_DEP_1) | instskip(NEXT) | instid1(VALU_DEP_3)
	v_mov_b64_e32 v[14:15], v[10:11]
	v_cmpx_eq_u64_e64 v[24:25], v[20:21]
; %bb.451:                              ;   in Loop: Header=BB4_129 Depth=2
	v_bfe_u32 v14, v10, 21, 1
	v_mov_b32_e32 v15, v39
	s_delay_alu instid0(VALU_DEP_1) | instskip(NEXT) | instid1(VALU_DEP_1)
	v_add_nc_u64_e32 v[14:15], v[10:11], v[14:15]
	v_add_nc_u64_e32 v[14:15], -1, v[14:15]
; %bb.452:                              ;   in Loop: Header=BB4_129 Depth=2
	s_or_b32 exec_lo, exec_lo, s43
	v_add_nc_u32_e32 v3, 0xffffff81, v3
	v_lshrrev_b32_e32 v11, 23, v10
	s_mov_b32 s10, exec_lo
	s_delay_alu instid0(VALU_DEP_2) | instskip(NEXT) | instid1(VALU_DEP_1)
	v_cndmask_b32_e64 v3, v3, 0xffffff82, vcc_lo
	v_add3_u32 v15, v16, v3, v11
	v_and_b32_e32 v3, 0x1fffff, v14
	s_delay_alu instid0(VALU_DEP_1) | instskip(NEXT) | instid1(VALU_DEP_1)
	v_dual_add_nc_u32 v14, 14, v15 :: v_dual_add_nc_u32 v38, v3, v10
                                        ; implicit-def: $vgpr10_vgpr11
                                        ; implicit-def: $vgpr3
	v_cmpx_ne_u32_e32 0, v14
	s_xor_b32 s10, exec_lo, s10
; %bb.453:                              ;   in Loop: Header=BB4_129 Depth=2
	s_delay_alu instid0(VALU_DEP_2) | instskip(SKIP_2) | instid1(VALU_DEP_2)
	v_cmp_lt_u64_e32 vcc_lo, 0xffffff, v[38:39]
	v_add_nc_u32_e32 v3, 15, v15
	v_cndmask_b32_e64 v10, 0, 1, vcc_lo
	v_cndmask_b32_e32 v3, v14, v3, vcc_lo
	s_delay_alu instid0(VALU_DEP_2)
	v_lshrrev_b64 v[10:11], v10, v[38:39]
; %bb.454:                              ;   in Loop: Header=BB4_129 Depth=2
	s_and_not1_saveexec_b32 s10, s10
; %bb.455:                              ;   in Loop: Header=BB4_129 Depth=2
	v_mov_b64_e32 v[10:11], v[38:39]
	v_bfe_u32 v3, v38, 23, 1
; %bb.456:                              ;   in Loop: Header=BB4_129 Depth=2
	s_or_b32 exec_lo, exec_lo, s10
	s_delay_alu instid0(VALU_DEP_2) | instskip(NEXT) | instid1(VALU_DEP_2)
	v_lshrrev_b64 v[10:11], 21, v[10:11]
	v_cmp_gt_i32_e32 vcc_lo, 32, v3
	v_min_i32_e32 v14, 31, v3
	v_cmp_eq_u32_e64 s10, 0, v3
	s_delay_alu instid0(VALU_DEP_4) | instskip(NEXT) | instid1(VALU_DEP_3)
	v_cndmask_b32_e32 v10, 3, v10, vcc_lo
	v_dual_cndmask_b32 v11, 0, v11 :: v_dual_lshlrev_b32 v14, 2, v14
	s_delay_alu instid0(VALU_DEP_1) | instskip(NEXT) | instid1(VALU_DEP_2)
	v_and_b32_e32 v14, 0xfc, v14
	v_cmp_eq_u64_e32 vcc_lo, 0, v[10:11]
	s_delay_alu instid0(VALU_DEP_2)
	v_and_or_b32 v3, v10, 3, v14
	s_and_b32 s10, s10, vcc_lo
	s_delay_alu instid0(VALU_DEP_1) | instid1(SALU_CYCLE_1)
	v_cndmask_b32_e64 v3, v3, 0, s10
	s_delay_alu instid0(VALU_DEP_1)
	v_or_b32_e32 v73, v3, v2
.LBB4_457:                              ;   in Loop: Header=BB4_129 Depth=2
	s_or_b32 exec_lo, exec_lo, s42
                                        ; implicit-def: $vgpr2
.LBB4_458:                              ;   in Loop: Header=BB4_129 Depth=2
	s_and_not1_saveexec_b32 s10, s41
; %bb.459:                              ;   in Loop: Header=BB4_129 Depth=2
	v_or_b32_e32 v73, 0x7b, v2
; %bb.460:                              ;   in Loop: Header=BB4_129 Depth=2
	s_or_b32 exec_lo, exec_lo, s10
                                        ; implicit-def: $vgpr3
                                        ; implicit-def: $vgpr2
.LBB4_461:                              ;   in Loop: Header=BB4_129 Depth=2
	s_and_not1_saveexec_b32 s10, s40
	s_cbranch_execz .LBB4_467
; %bb.462:                              ;   in Loop: Header=BB4_129 Depth=2
	s_mov_b32 s40, exec_lo
                                        ; implicit-def: $vgpr73
	v_cmpx_ne_u64_e32 0, v[38:39]
	s_xor_b32 s40, exec_lo, s40
; %bb.463:                              ;   in Loop: Header=BB4_129 Depth=2
	v_or_b32_e32 v73, 0x7f, v2
                                        ; implicit-def: $vgpr3
; %bb.464:                              ;   in Loop: Header=BB4_129 Depth=2
	s_and_not1_saveexec_b32 s40, s40
; %bb.465:                              ;   in Loop: Header=BB4_129 Depth=2
	v_cmp_lt_i32_e32 vcc_lo, -1, v3
	v_cndmask_b32_e32 v73, 0xfc, v122, vcc_lo
; %bb.466:                              ;   in Loop: Header=BB4_129 Depth=2
	s_or_b32 exec_lo, exec_lo, s40
.LBB4_467:                              ;   in Loop: Header=BB4_129 Depth=2
	s_delay_alu instid0(SALU_CYCLE_1)
	s_or_b32 exec_lo, exec_lo, s10
	v_mov_b32_e32 v2, 0
	s_mov_b32 s10, exec_lo
	v_cmpx_lt_u32_e32 0xffffff, v12
	s_cbranch_execz .LBB4_477
; %bb.468:                              ;   in Loop: Header=BB4_129 Depth=2
	v_lshrrev_b32_e32 v10, 24, v12
	v_bfrev_b32_e32 v2, 1
	s_mov_b32 s40, exec_lo
	s_delay_alu instid0(VALU_DEP_2)
	v_cmpx_ne_u32_e32 0x80, v10
	s_cbranch_execz .LBB4_476
; %bb.469:                              ;   in Loop: Header=BB4_129 Depth=2
	v_and_b32_e32 v2, 0x7c000000, v12
	v_bfe_u32 v3, v12, 24, 2
	s_delay_alu instid0(VALU_DEP_2) | instskip(SKIP_1) | instid1(SALU_CYCLE_1)
	v_cmp_ne_u32_e32 vcc_lo, 0x7c000000, v2
                                        ; implicit-def: $vgpr2
	s_and_saveexec_b32 s41, vcc_lo
	s_xor_b32 s41, exec_lo, s41
	s_cbranch_execz .LBB4_473
; %bb.470:                              ;   in Loop: Header=BB4_129 Depth=2
	v_bfe_u32 v2, v12, 26, 5
	s_mov_b32 s42, exec_lo
	s_delay_alu instid0(VALU_DEP_1)
	v_cmpx_eq_u32_e32 0, v2
; %bb.471:                              ;   in Loop: Header=BB4_129 Depth=2
	v_clz_i32_u32_e32 v2, v3
	s_delay_alu instid0(VALU_DEP_1) | instskip(NEXT) | instid1(VALU_DEP_1)
	v_min_u32_e32 v2, 32, v2
	v_subrev_nc_u32_e32 v3, 29, v2
	v_sub_nc_u32_e32 v2, 30, v2
	s_delay_alu instid0(VALU_DEP_2) | instskip(NEXT) | instid1(VALU_DEP_1)
	v_lshlrev_b64_e32 v[10:11], v3, v[10:11]
	v_and_b32_e32 v3, 3, v10
; %bb.472:                              ;   in Loop: Header=BB4_129 Depth=2
	s_or_b32 exec_lo, exec_lo, s42
	v_and_b32_e32 v10, 0x80000000, v12
	s_delay_alu instid0(VALU_DEP_1) | instskip(NEXT) | instid1(VALU_DEP_1)
	v_lshl_add_u32 v2, v2, 23, v10
	v_lshl_or_b32 v2, v3, 21, v2
                                        ; implicit-def: $vgpr3
	s_delay_alu instid0(VALU_DEP_1)
	v_add_nc_u32_e32 v2, 0x38000000, v2
.LBB4_473:                              ;   in Loop: Header=BB4_129 Depth=2
	s_and_not1_saveexec_b32 s41, s41
; %bb.474:                              ;   in Loop: Header=BB4_129 Depth=2
	v_cmp_lt_i32_e32 vcc_lo, -1, v12
	v_cndmask_b32_e32 v2, 0xff800000, v126, vcc_lo
	v_cmp_eq_u32_e32 vcc_lo, 0, v3
	s_delay_alu instid0(VALU_DEP_2)
	v_cndmask_b32_e32 v2, 0x7f800001, v2, vcc_lo
; %bb.475:                              ;   in Loop: Header=BB4_129 Depth=2
	s_or_b32 exec_lo, exec_lo, s41
.LBB4_476:                              ;   in Loop: Header=BB4_129 Depth=2
	s_delay_alu instid0(SALU_CYCLE_1)
	s_or_b32 exec_lo, exec_lo, s40
.LBB4_477:                              ;   in Loop: Header=BB4_129 Depth=2
	s_delay_alu instid0(SALU_CYCLE_1) | instskip(NEXT) | instid1(VALU_DEP_1)
	s_or_b32 exec_lo, exec_lo, s10
	v_dual_mul_f32 v3, s29, v2 :: v_dual_mov_b32 v11, v39
                                        ; implicit-def: $vgpr74
	s_mov_b32 s10, exec_lo
	s_delay_alu instid0(VALU_DEP_1) | instskip(SKIP_2) | instid1(VALU_DEP_3)
	v_and_b32_e32 v10, 0x7f800000, v3
	v_and_b32_e32 v38, 0x7fffff, v3
	v_lshrrev_b32_e32 v2, 24, v3
	v_cmpx_ne_u64_e32 0x7f800000, v[10:11]
	s_xor_b32 s40, exec_lo, s10
	s_cbranch_execz .LBB4_491
; %bb.478:                              ;   in Loop: Header=BB4_129 Depth=2
	v_and_b32_e32 v10, 0x7fffffff, v3
	v_mov_b32_e32 v11, v39
	v_and_b32_e32 v2, 0x80, v2
                                        ; implicit-def: $vgpr74
	s_mov_b32 s10, exec_lo
	s_delay_alu instid0(VALU_DEP_2)
	v_cmpx_gt_u64_e32 0x47600001, v[10:11]
	s_xor_b32 s41, exec_lo, s10
	s_cbranch_execz .LBB4_488
; %bb.479:                              ;   in Loop: Header=BB4_129 Depth=2
	v_mov_b32_e32 v74, 0
	s_mov_b32 s42, exec_lo
	v_cmpx_ne_u32_e32 0, v3
	s_cbranch_execz .LBB4_487
; %bb.480:                              ;   in Loop: Header=BB4_129 Depth=2
	v_bfe_u32 v3, v3, 23, 8
	v_or_b32_e32 v14, 0x800000, v38
	s_mov_b32 s43, exec_lo
	s_delay_alu instid0(VALU_DEP_2) | instskip(SKIP_1) | instid1(VALU_DEP_2)
	v_dual_mov_b32 v15, v39 :: v_dual_sub_nc_u32 v10, 0x71, v3
	v_cmp_gt_u32_e32 vcc_lo, 0x72, v3
	v_cndmask_b32_e32 v10, 0, v10, vcc_lo
	v_cmp_eq_u32_e32 vcc_lo, 0, v3
	s_delay_alu instid0(VALU_DEP_2) | instskip(NEXT) | instid1(VALU_DEP_1)
	v_cndmask_b32_e64 v16, v10, 0x70, vcc_lo
	v_dual_cndmask_b32 v14, v14, v38, vcc_lo :: v_dual_add_nc_u32 v10, 21, v16
	v_add_nc_u32_e32 v17, 20, v16
	s_delay_alu instid0(VALU_DEP_2) | instskip(NEXT) | instid1(VALU_DEP_2)
	v_lshlrev_b64_e64 v[10:11], v10, -1
	v_lshlrev_b64_e64 v[20:21], v17, 1
	s_delay_alu instid0(VALU_DEP_2) | instskip(NEXT) | instid1(VALU_DEP_3)
	v_bfi_b32 v25, v11, 0, 0
	v_bfi_b32 v24, v10, 0, v14
	v_lshrrev_b64 v[10:11], v16, v[14:15]
	s_delay_alu instid0(VALU_DEP_1) | instskip(NEXT) | instid1(VALU_DEP_3)
	v_mov_b64_e32 v[14:15], v[10:11]
	v_cmpx_eq_u64_e64 v[24:25], v[20:21]
; %bb.481:                              ;   in Loop: Header=BB4_129 Depth=2
	v_bfe_u32 v14, v10, 21, 1
	v_mov_b32_e32 v15, v39
	s_delay_alu instid0(VALU_DEP_1) | instskip(NEXT) | instid1(VALU_DEP_1)
	v_add_nc_u64_e32 v[14:15], v[10:11], v[14:15]
	v_add_nc_u64_e32 v[14:15], -1, v[14:15]
; %bb.482:                              ;   in Loop: Header=BB4_129 Depth=2
	s_or_b32 exec_lo, exec_lo, s43
	v_add_nc_u32_e32 v3, 0xffffff81, v3
	v_lshrrev_b32_e32 v11, 23, v10
	s_mov_b32 s10, exec_lo
	s_delay_alu instid0(VALU_DEP_2) | instskip(NEXT) | instid1(VALU_DEP_1)
	v_cndmask_b32_e64 v3, v3, 0xffffff82, vcc_lo
	v_add3_u32 v15, v16, v3, v11
	v_and_b32_e32 v3, 0x1fffff, v14
	s_delay_alu instid0(VALU_DEP_1) | instskip(NEXT) | instid1(VALU_DEP_1)
	v_dual_add_nc_u32 v14, 14, v15 :: v_dual_add_nc_u32 v38, v3, v10
                                        ; implicit-def: $vgpr10_vgpr11
                                        ; implicit-def: $vgpr3
	v_cmpx_ne_u32_e32 0, v14
	s_xor_b32 s10, exec_lo, s10
; %bb.483:                              ;   in Loop: Header=BB4_129 Depth=2
	s_delay_alu instid0(VALU_DEP_2) | instskip(SKIP_2) | instid1(VALU_DEP_2)
	v_cmp_lt_u64_e32 vcc_lo, 0xffffff, v[38:39]
	v_add_nc_u32_e32 v3, 15, v15
	v_cndmask_b32_e64 v10, 0, 1, vcc_lo
	v_cndmask_b32_e32 v3, v14, v3, vcc_lo
	s_delay_alu instid0(VALU_DEP_2)
	v_lshrrev_b64 v[10:11], v10, v[38:39]
; %bb.484:                              ;   in Loop: Header=BB4_129 Depth=2
	s_and_not1_saveexec_b32 s10, s10
; %bb.485:                              ;   in Loop: Header=BB4_129 Depth=2
	v_mov_b64_e32 v[10:11], v[38:39]
	v_bfe_u32 v3, v38, 23, 1
; %bb.486:                              ;   in Loop: Header=BB4_129 Depth=2
	s_or_b32 exec_lo, exec_lo, s10
	s_delay_alu instid0(VALU_DEP_2) | instskip(NEXT) | instid1(VALU_DEP_2)
	v_lshrrev_b64 v[10:11], 21, v[10:11]
	v_cmp_gt_i32_e32 vcc_lo, 32, v3
	v_min_i32_e32 v14, 31, v3
	v_cmp_eq_u32_e64 s10, 0, v3
	s_delay_alu instid0(VALU_DEP_4) | instskip(NEXT) | instid1(VALU_DEP_3)
	v_cndmask_b32_e32 v10, 3, v10, vcc_lo
	v_dual_cndmask_b32 v11, 0, v11 :: v_dual_lshlrev_b32 v14, 2, v14
	s_delay_alu instid0(VALU_DEP_1) | instskip(NEXT) | instid1(VALU_DEP_2)
	v_and_b32_e32 v14, 0xfc, v14
	v_cmp_eq_u64_e32 vcc_lo, 0, v[10:11]
	s_delay_alu instid0(VALU_DEP_2)
	v_and_or_b32 v3, v10, 3, v14
	s_and_b32 s10, s10, vcc_lo
	s_delay_alu instid0(VALU_DEP_1) | instid1(SALU_CYCLE_1)
	v_cndmask_b32_e64 v3, v3, 0, s10
	s_delay_alu instid0(VALU_DEP_1)
	v_or_b32_e32 v74, v3, v2
.LBB4_487:                              ;   in Loop: Header=BB4_129 Depth=2
	s_or_b32 exec_lo, exec_lo, s42
                                        ; implicit-def: $vgpr2
.LBB4_488:                              ;   in Loop: Header=BB4_129 Depth=2
	s_and_not1_saveexec_b32 s10, s41
; %bb.489:                              ;   in Loop: Header=BB4_129 Depth=2
	v_or_b32_e32 v74, 0x7b, v2
; %bb.490:                              ;   in Loop: Header=BB4_129 Depth=2
	s_or_b32 exec_lo, exec_lo, s10
                                        ; implicit-def: $vgpr3
                                        ; implicit-def: $vgpr2
.LBB4_491:                              ;   in Loop: Header=BB4_129 Depth=2
	s_and_not1_saveexec_b32 s10, s40
	s_cbranch_execz .LBB4_497
; %bb.492:                              ;   in Loop: Header=BB4_129 Depth=2
	s_mov_b32 s40, exec_lo
                                        ; implicit-def: $vgpr74
	v_cmpx_ne_u64_e32 0, v[38:39]
	s_xor_b32 s40, exec_lo, s40
; %bb.493:                              ;   in Loop: Header=BB4_129 Depth=2
	v_or_b32_e32 v74, 0x7f, v2
                                        ; implicit-def: $vgpr3
; %bb.494:                              ;   in Loop: Header=BB4_129 Depth=2
	s_and_not1_saveexec_b32 s40, s40
; %bb.495:                              ;   in Loop: Header=BB4_129 Depth=2
	v_cmp_lt_i32_e32 vcc_lo, -1, v3
	v_cndmask_b32_e32 v74, 0xfc, v122, vcc_lo
; %bb.496:                              ;   in Loop: Header=BB4_129 Depth=2
	s_or_b32 exec_lo, exec_lo, s40
.LBB4_497:                              ;   in Loop: Header=BB4_129 Depth=2
	s_delay_alu instid0(SALU_CYCLE_1) | instskip(SKIP_3) | instid1(VALU_DEP_2)
	s_or_b32 exec_lo, exec_lo, s10
	v_and_b32_e32 v3, 0xff, v13
	v_dual_mov_b32 v38, v13 :: v_dual_mov_b32 v2, 0
	s_mov_b32 s10, exec_lo
	v_cmpx_ne_u16_e32 0, v3
	s_cbranch_execz .LBB4_507
; %bb.498:                              ;   in Loop: Header=BB4_129 Depth=2
	v_bfrev_b32_e32 v2, 1
	s_mov_b32 s40, exec_lo
	v_cmpx_ne_u16_e32 0x80, v3
	s_cbranch_execz .LBB4_506
; %bb.499:                              ;   in Loop: Header=BB4_129 Depth=2
	v_and_b32_e32 v2, 0x7c, v13
	v_and_b32_e32 v3, 3, v13
	s_delay_alu instid0(VALU_DEP_2) | instskip(SKIP_1) | instid1(SALU_CYCLE_1)
	v_cmp_ne_u32_e32 vcc_lo, 0x7c, v2
                                        ; implicit-def: $vgpr2
	s_and_saveexec_b32 s41, vcc_lo
	s_xor_b32 s41, exec_lo, s41
	s_cbranch_execz .LBB4_503
; %bb.500:                              ;   in Loop: Header=BB4_129 Depth=2
	v_bfe_u32 v2, v13, 2, 5
	s_mov_b32 s42, exec_lo
	s_delay_alu instid0(VALU_DEP_1)
	v_cmpx_eq_u32_e32 0, v2
; %bb.501:                              ;   in Loop: Header=BB4_129 Depth=2
	v_clz_i32_u32_e32 v2, v3
	s_delay_alu instid0(VALU_DEP_1) | instskip(NEXT) | instid1(VALU_DEP_1)
	v_min_u32_e32 v2, 32, v2
	v_subrev_nc_u32_e32 v3, 29, v2
	v_sub_nc_u32_e32 v2, 30, v2
	s_delay_alu instid0(VALU_DEP_2) | instskip(NEXT) | instid1(VALU_DEP_1)
	v_lshlrev_b64_e32 v[10:11], v3, v[38:39]
	v_and_b32_e32 v3, 3, v10
; %bb.502:                              ;   in Loop: Header=BB4_129 Depth=2
	s_or_b32 exec_lo, exec_lo, s42
	v_lshlrev_b32_e32 v10, 24, v13
	s_delay_alu instid0(VALU_DEP_1) | instskip(NEXT) | instid1(VALU_DEP_1)
	v_and_b32_e32 v10, 0x80000000, v10
	v_lshl_add_u32 v2, v2, 23, v10
	s_delay_alu instid0(VALU_DEP_1) | instskip(NEXT) | instid1(VALU_DEP_1)
	v_lshl_or_b32 v2, v3, 21, v2
                                        ; implicit-def: $vgpr3
	v_add_nc_u32_e32 v2, 0x38000000, v2
.LBB4_503:                              ;   in Loop: Header=BB4_129 Depth=2
	s_and_not1_saveexec_b32 s41, s41
; %bb.504:                              ;   in Loop: Header=BB4_129 Depth=2
	v_bfe_i32 v2, v13, 0, 8
	s_delay_alu instid0(VALU_DEP_1) | instskip(SKIP_2) | instid1(VALU_DEP_2)
	v_cmp_lt_i16_e32 vcc_lo, -1, v2
	v_cndmask_b32_e32 v2, 0xff800000, v126, vcc_lo
	v_cmp_eq_u32_e32 vcc_lo, 0, v3
	v_cndmask_b32_e32 v2, 0x7f800001, v2, vcc_lo
; %bb.505:                              ;   in Loop: Header=BB4_129 Depth=2
	s_or_b32 exec_lo, exec_lo, s41
.LBB4_506:                              ;   in Loop: Header=BB4_129 Depth=2
	s_delay_alu instid0(SALU_CYCLE_1)
	s_or_b32 exec_lo, exec_lo, s40
.LBB4_507:                              ;   in Loop: Header=BB4_129 Depth=2
	s_delay_alu instid0(SALU_CYCLE_1) | instskip(NEXT) | instid1(VALU_DEP_1)
	s_or_b32 exec_lo, exec_lo, s10
	v_dual_mul_f32 v3, s29, v2 :: v_dual_mov_b32 v15, v39
	v_mov_b32_e32 v11, v39
                                        ; implicit-def: $vgpr46
	s_mov_b32 s10, exec_lo
	s_delay_alu instid0(VALU_DEP_2) | instskip(SKIP_2) | instid1(VALU_DEP_3)
	v_and_b32_e32 v14, 0x7f800000, v3
	v_and_b32_e32 v10, 0x7fffff, v3
	v_lshrrev_b32_e32 v2, 24, v3
	v_cmpx_ne_u64_e32 0x7f800000, v[14:15]
	s_xor_b32 s40, exec_lo, s10
	s_cbranch_execz .LBB4_521
; %bb.508:                              ;   in Loop: Header=BB4_129 Depth=2
	v_and_b32_e32 v14, 0x7fffffff, v3
	v_mov_b32_e32 v15, v39
	v_and_b32_e32 v2, 0x80, v2
                                        ; implicit-def: $vgpr46
	s_mov_b32 s10, exec_lo
	s_delay_alu instid0(VALU_DEP_2)
	v_cmpx_gt_u64_e32 0x47600001, v[14:15]
	s_xor_b32 s41, exec_lo, s10
	s_cbranch_execz .LBB4_518
; %bb.509:                              ;   in Loop: Header=BB4_129 Depth=2
	v_mov_b32_e32 v46, 0
	s_mov_b32 s42, exec_lo
	v_cmpx_ne_u32_e32 0, v3
	s_cbranch_execz .LBB4_517
; %bb.510:                              ;   in Loop: Header=BB4_129 Depth=2
	v_bfe_u32 v3, v3, 23, 8
	v_or_b32_e32 v17, 0x800000, v10
	s_delay_alu instid0(VALU_DEP_2) | instskip(SKIP_1) | instid1(VALU_DEP_2)
	v_sub_nc_u32_e32 v14, 0x71, v3
	v_cmp_gt_u32_e32 vcc_lo, 0x72, v3
	v_cndmask_b32_e32 v14, 0, v14, vcc_lo
	v_cmp_eq_u32_e32 vcc_lo, 0, v3
	s_delay_alu instid0(VALU_DEP_2) | instskip(NEXT) | instid1(VALU_DEP_1)
	v_cndmask_b32_e64 v16, v14, 0x70, vcc_lo
	v_dual_cndmask_b32 v10, v17, v10, vcc_lo :: v_dual_add_nc_u32 v14, 21, v16
	v_add_nc_u32_e32 v20, 20, v16
	s_delay_alu instid0(VALU_DEP_2) | instskip(NEXT) | instid1(VALU_DEP_2)
	v_lshlrev_b64_e64 v[14:15], v14, -1
	v_lshlrev_b64_e64 v[20:21], v20, 1
	s_delay_alu instid0(VALU_DEP_2) | instskip(SKIP_1) | instid1(VALU_DEP_4)
	v_bfi_b32 v14, v14, 0, v10
	v_lshrrev_b64 v[10:11], v16, v[10:11]
	v_bfi_b32 v15, v15, 0, 0
	s_delay_alu instid0(VALU_DEP_1) | instskip(NEXT) | instid1(VALU_DEP_3)
	v_cmp_eq_u64_e64 s10, v[14:15], v[20:21]
	v_mov_b64_e32 v[14:15], v[10:11]
	s_and_saveexec_b32 s43, s10
; %bb.511:                              ;   in Loop: Header=BB4_129 Depth=2
	v_bfe_u32 v14, v10, 21, 1
	v_mov_b32_e32 v15, v39
	s_delay_alu instid0(VALU_DEP_1) | instskip(NEXT) | instid1(VALU_DEP_1)
	v_add_nc_u64_e32 v[14:15], v[10:11], v[14:15]
	v_add_nc_u64_e32 v[14:15], -1, v[14:15]
; %bb.512:                              ;   in Loop: Header=BB4_129 Depth=2
	s_or_b32 exec_lo, exec_lo, s43
	v_add_nc_u32_e32 v3, 0xffffff81, v3
	v_lshrrev_b32_e32 v11, 23, v10
	s_mov_b32 s10, exec_lo
	s_delay_alu instid0(VALU_DEP_2) | instskip(NEXT) | instid1(VALU_DEP_1)
	v_cndmask_b32_e64 v3, v3, 0xffffff82, vcc_lo
	v_add3_u32 v15, v16, v3, v11
	v_and_b32_e32 v3, 0x1fffff, v14
	s_delay_alu instid0(VALU_DEP_2) | instskip(NEXT) | instid1(VALU_DEP_2)
	v_dual_mov_b32 v11, v39 :: v_dual_add_nc_u32 v14, 14, v15
	v_add_nc_u32_e32 v10, v3, v10
                                        ; implicit-def: $vgpr3
	s_delay_alu instid0(VALU_DEP_2)
	v_cmpx_ne_u32_e32 0, v14
	s_xor_b32 s10, exec_lo, s10
; %bb.513:                              ;   in Loop: Header=BB4_129 Depth=2
	s_delay_alu instid0(VALU_DEP_2) | instskip(SKIP_1) | instid1(VALU_DEP_1)
	v_cmp_lt_u64_e32 vcc_lo, 0xffffff, v[10:11]
	v_add_nc_u32_e32 v3, 15, v15
	v_cndmask_b32_e32 v3, v14, v3, vcc_lo
	v_cndmask_b32_e64 v14, 0, 1, vcc_lo
	s_delay_alu instid0(VALU_DEP_1)
	v_lshrrev_b64 v[10:11], v14, v[10:11]
; %bb.514:                              ;   in Loop: Header=BB4_129 Depth=2
	s_and_not1_saveexec_b32 s10, s10
; %bb.515:                              ;   in Loop: Header=BB4_129 Depth=2
	s_delay_alu instid0(VALU_DEP_1)
	v_bfe_u32 v3, v10, 23, 1
; %bb.516:                              ;   in Loop: Header=BB4_129 Depth=2
	s_or_b32 exec_lo, exec_lo, s10
	s_delay_alu instid0(VALU_DEP_2) | instskip(NEXT) | instid1(VALU_DEP_2)
	v_lshrrev_b64 v[10:11], 21, v[10:11]
	v_cmp_gt_i32_e32 vcc_lo, 32, v3
	v_min_i32_e32 v14, 31, v3
	v_cmp_eq_u32_e64 s10, 0, v3
	s_delay_alu instid0(VALU_DEP_4) | instskip(NEXT) | instid1(VALU_DEP_3)
	v_cndmask_b32_e32 v10, 3, v10, vcc_lo
	v_dual_cndmask_b32 v11, 0, v11 :: v_dual_lshlrev_b32 v14, 2, v14
	s_delay_alu instid0(VALU_DEP_1) | instskip(NEXT) | instid1(VALU_DEP_2)
	v_and_b32_e32 v14, 0xfc, v14
	v_cmp_eq_u64_e32 vcc_lo, 0, v[10:11]
	s_delay_alu instid0(VALU_DEP_2)
	v_and_or_b32 v3, v10, 3, v14
	s_and_b32 s10, s10, vcc_lo
	s_delay_alu instid0(VALU_DEP_1) | instid1(SALU_CYCLE_1)
	v_cndmask_b32_e64 v3, v3, 0, s10
	s_delay_alu instid0(VALU_DEP_1)
	v_or_b32_e32 v46, v3, v2
.LBB4_517:                              ;   in Loop: Header=BB4_129 Depth=2
	s_or_b32 exec_lo, exec_lo, s42
                                        ; implicit-def: $vgpr2
.LBB4_518:                              ;   in Loop: Header=BB4_129 Depth=2
	s_and_not1_saveexec_b32 s10, s41
; %bb.519:                              ;   in Loop: Header=BB4_129 Depth=2
	v_or_b32_e32 v46, 0x7b, v2
; %bb.520:                              ;   in Loop: Header=BB4_129 Depth=2
	s_or_b32 exec_lo, exec_lo, s10
                                        ; implicit-def: $vgpr3
                                        ; implicit-def: $vgpr10_vgpr11
                                        ; implicit-def: $vgpr2
.LBB4_521:                              ;   in Loop: Header=BB4_129 Depth=2
	s_and_not1_saveexec_b32 s10, s40
	s_cbranch_execz .LBB4_527
; %bb.522:                              ;   in Loop: Header=BB4_129 Depth=2
	s_mov_b32 s40, exec_lo
                                        ; implicit-def: $vgpr46
	v_cmpx_ne_u64_e32 0, v[10:11]
	s_xor_b32 s40, exec_lo, s40
; %bb.523:                              ;   in Loop: Header=BB4_129 Depth=2
	v_or_b32_e32 v46, 0x7f, v2
                                        ; implicit-def: $vgpr3
; %bb.524:                              ;   in Loop: Header=BB4_129 Depth=2
	s_and_not1_saveexec_b32 s40, s40
; %bb.525:                              ;   in Loop: Header=BB4_129 Depth=2
	v_cmp_lt_i32_e32 vcc_lo, -1, v3
	v_cndmask_b32_e32 v46, 0xfc, v122, vcc_lo
; %bb.526:                              ;   in Loop: Header=BB4_129 Depth=2
	s_or_b32 exec_lo, exec_lo, s40
.LBB4_527:                              ;   in Loop: Header=BB4_129 Depth=2
	s_delay_alu instid0(SALU_CYCLE_1) | instskip(SKIP_3) | instid1(VALU_DEP_2)
	s_or_b32 exec_lo, exec_lo, s10
	v_lshrrev_b16 v10, 8, v38
	v_mov_b32_e32 v3, 0
	s_mov_b32 s10, exec_lo
	v_cmpx_ne_u16_e32 0, v10
	s_cbranch_execz .LBB4_537
; %bb.528:                              ;   in Loop: Header=BB4_129 Depth=2
	v_bfrev_b32_e32 v3, 1
	s_mov_b32 s40, exec_lo
	v_cmpx_ne_u16_e32 0x80, v10
	s_cbranch_execz .LBB4_536
; %bb.529:                              ;   in Loop: Header=BB4_129 Depth=2
	v_and_b32_e32 v11, 0xffff, v10
	s_delay_alu instid0(VALU_DEP_1) | instskip(SKIP_1) | instid1(VALU_DEP_2)
	v_and_b32_e32 v3, 0x7c, v11
	v_and_b32_e32 v2, 3, v11
	v_cmp_ne_u32_e32 vcc_lo, 0x7c, v3
                                        ; implicit-def: $vgpr3
	s_and_saveexec_b32 s41, vcc_lo
	s_delay_alu instid0(SALU_CYCLE_1)
	s_xor_b32 s41, exec_lo, s41
	s_cbranch_execz .LBB4_533
; %bb.530:                              ;   in Loop: Header=BB4_129 Depth=2
	v_bfe_u32 v3, v11, 2, 5
	s_mov_b32 s42, exec_lo
	s_delay_alu instid0(VALU_DEP_1)
	v_cmpx_eq_u32_e32 0, v3
	s_cbranch_execz .LBB4_532
; %bb.531:                              ;   in Loop: Header=BB4_129 Depth=2
	v_clz_i32_u32_e32 v2, v2
	s_delay_alu instid0(VALU_DEP_1) | instskip(SKIP_1) | instid1(VALU_DEP_2)
	v_min_u32_e32 v14, 32, v2
	v_mov_b32_e32 v11, v39
	v_subrev_nc_u32_e32 v2, 29, v14
	s_delay_alu instid0(VALU_DEP_1) | instskip(SKIP_1) | instid1(VALU_DEP_2)
	v_lshlrev_b64_e32 v[2:3], v2, v[10:11]
	v_sub_nc_u32_e32 v3, 30, v14
	v_and_b32_e32 v2, 3, v2
.LBB4_532:                              ;   in Loop: Header=BB4_129 Depth=2
	s_or_b32 exec_lo, exec_lo, s42
	v_lshlrev_b32_e32 v10, 16, v38
	s_delay_alu instid0(VALU_DEP_1) | instskip(NEXT) | instid1(VALU_DEP_1)
	v_and_b32_e32 v10, 0x80000000, v10
	v_lshl_add_u32 v3, v3, 23, v10
	s_delay_alu instid0(VALU_DEP_1) | instskip(NEXT) | instid1(VALU_DEP_1)
	v_lshl_or_b32 v2, v2, 21, v3
	v_add_nc_u32_e32 v3, 0x38000000, v2
                                        ; implicit-def: $vgpr2
.LBB4_533:                              ;   in Loop: Header=BB4_129 Depth=2
	s_and_not1_saveexec_b32 s41, s41
; %bb.534:                              ;   in Loop: Header=BB4_129 Depth=2
	v_cmp_lt_i16_e32 vcc_lo, -1, v38
	v_cndmask_b32_e32 v3, 0xff800000, v126, vcc_lo
	v_cmp_eq_u32_e32 vcc_lo, 0, v2
	s_delay_alu instid0(VALU_DEP_2)
	v_cndmask_b32_e32 v3, 0x7f800001, v3, vcc_lo
; %bb.535:                              ;   in Loop: Header=BB4_129 Depth=2
	s_or_b32 exec_lo, exec_lo, s41
.LBB4_536:                              ;   in Loop: Header=BB4_129 Depth=2
	s_delay_alu instid0(SALU_CYCLE_1)
	s_or_b32 exec_lo, exec_lo, s40
.LBB4_537:                              ;   in Loop: Header=BB4_129 Depth=2
	s_delay_alu instid0(SALU_CYCLE_1) | instskip(NEXT) | instid1(VALU_DEP_1)
	s_or_b32 exec_lo, exec_lo, s10
	v_dual_mul_f32 v3, s29, v3 :: v_dual_mov_b32 v11, v39
                                        ; implicit-def: $vgpr59
	s_mov_b32 s10, exec_lo
	s_delay_alu instid0(VALU_DEP_1) | instskip(SKIP_2) | instid1(VALU_DEP_3)
	v_and_b32_e32 v10, 0x7f800000, v3
	v_and_b32_e32 v38, 0x7fffff, v3
	v_lshrrev_b32_e32 v2, 24, v3
	v_cmpx_ne_u64_e32 0x7f800000, v[10:11]
	s_xor_b32 s40, exec_lo, s10
	s_cbranch_execz .LBB4_551
; %bb.538:                              ;   in Loop: Header=BB4_129 Depth=2
	v_and_b32_e32 v10, 0x7fffffff, v3
	v_mov_b32_e32 v11, v39
	v_and_b32_e32 v2, 0x80, v2
                                        ; implicit-def: $vgpr59
	s_mov_b32 s10, exec_lo
	s_delay_alu instid0(VALU_DEP_2)
	v_cmpx_gt_u64_e32 0x47600001, v[10:11]
	s_xor_b32 s41, exec_lo, s10
	s_cbranch_execz .LBB4_548
; %bb.539:                              ;   in Loop: Header=BB4_129 Depth=2
	v_mov_b32_e32 v59, 0
	s_mov_b32 s42, exec_lo
	v_cmpx_ne_u32_e32 0, v3
	s_cbranch_execz .LBB4_547
; %bb.540:                              ;   in Loop: Header=BB4_129 Depth=2
	v_bfe_u32 v3, v3, 23, 8
	v_or_b32_e32 v14, 0x800000, v38
	s_mov_b32 s43, exec_lo
	s_delay_alu instid0(VALU_DEP_2) | instskip(SKIP_1) | instid1(VALU_DEP_2)
	v_dual_mov_b32 v15, v39 :: v_dual_sub_nc_u32 v10, 0x71, v3
	v_cmp_gt_u32_e32 vcc_lo, 0x72, v3
	v_cndmask_b32_e32 v10, 0, v10, vcc_lo
	v_cmp_eq_u32_e32 vcc_lo, 0, v3
	s_delay_alu instid0(VALU_DEP_2) | instskip(NEXT) | instid1(VALU_DEP_1)
	v_cndmask_b32_e64 v16, v10, 0x70, vcc_lo
	v_dual_cndmask_b32 v14, v14, v38, vcc_lo :: v_dual_add_nc_u32 v10, 21, v16
	v_add_nc_u32_e32 v17, 20, v16
	s_delay_alu instid0(VALU_DEP_2) | instskip(NEXT) | instid1(VALU_DEP_2)
	v_lshlrev_b64_e64 v[10:11], v10, -1
	v_lshlrev_b64_e64 v[20:21], v17, 1
	s_delay_alu instid0(VALU_DEP_2) | instskip(NEXT) | instid1(VALU_DEP_3)
	v_bfi_b32 v25, v11, 0, 0
	v_bfi_b32 v24, v10, 0, v14
	v_lshrrev_b64 v[10:11], v16, v[14:15]
	s_delay_alu instid0(VALU_DEP_1) | instskip(NEXT) | instid1(VALU_DEP_3)
	v_mov_b64_e32 v[14:15], v[10:11]
	v_cmpx_eq_u64_e64 v[24:25], v[20:21]
; %bb.541:                              ;   in Loop: Header=BB4_129 Depth=2
	v_bfe_u32 v14, v10, 21, 1
	v_mov_b32_e32 v15, v39
	s_delay_alu instid0(VALU_DEP_1) | instskip(NEXT) | instid1(VALU_DEP_1)
	v_add_nc_u64_e32 v[14:15], v[10:11], v[14:15]
	v_add_nc_u64_e32 v[14:15], -1, v[14:15]
; %bb.542:                              ;   in Loop: Header=BB4_129 Depth=2
	s_or_b32 exec_lo, exec_lo, s43
	v_add_nc_u32_e32 v3, 0xffffff81, v3
	v_lshrrev_b32_e32 v11, 23, v10
	s_mov_b32 s10, exec_lo
	s_delay_alu instid0(VALU_DEP_2) | instskip(NEXT) | instid1(VALU_DEP_1)
	v_cndmask_b32_e64 v3, v3, 0xffffff82, vcc_lo
	v_add3_u32 v15, v16, v3, v11
	v_and_b32_e32 v3, 0x1fffff, v14
	s_delay_alu instid0(VALU_DEP_1) | instskip(NEXT) | instid1(VALU_DEP_1)
	v_dual_add_nc_u32 v14, 14, v15 :: v_dual_add_nc_u32 v38, v3, v10
                                        ; implicit-def: $vgpr10_vgpr11
                                        ; implicit-def: $vgpr3
	v_cmpx_ne_u32_e32 0, v14
	s_xor_b32 s10, exec_lo, s10
; %bb.543:                              ;   in Loop: Header=BB4_129 Depth=2
	s_delay_alu instid0(VALU_DEP_2) | instskip(SKIP_2) | instid1(VALU_DEP_2)
	v_cmp_lt_u64_e32 vcc_lo, 0xffffff, v[38:39]
	v_add_nc_u32_e32 v3, 15, v15
	v_cndmask_b32_e64 v10, 0, 1, vcc_lo
	v_cndmask_b32_e32 v3, v14, v3, vcc_lo
	s_delay_alu instid0(VALU_DEP_2)
	v_lshrrev_b64 v[10:11], v10, v[38:39]
; %bb.544:                              ;   in Loop: Header=BB4_129 Depth=2
	s_and_not1_saveexec_b32 s10, s10
; %bb.545:                              ;   in Loop: Header=BB4_129 Depth=2
	v_mov_b64_e32 v[10:11], v[38:39]
	v_bfe_u32 v3, v38, 23, 1
; %bb.546:                              ;   in Loop: Header=BB4_129 Depth=2
	s_or_b32 exec_lo, exec_lo, s10
	s_delay_alu instid0(VALU_DEP_2) | instskip(NEXT) | instid1(VALU_DEP_2)
	v_lshrrev_b64 v[10:11], 21, v[10:11]
	v_cmp_gt_i32_e32 vcc_lo, 32, v3
	v_min_i32_e32 v14, 31, v3
	v_cmp_eq_u32_e64 s10, 0, v3
	s_delay_alu instid0(VALU_DEP_4) | instskip(NEXT) | instid1(VALU_DEP_3)
	v_cndmask_b32_e32 v10, 3, v10, vcc_lo
	v_dual_cndmask_b32 v11, 0, v11 :: v_dual_lshlrev_b32 v14, 2, v14
	s_delay_alu instid0(VALU_DEP_1) | instskip(NEXT) | instid1(VALU_DEP_2)
	v_and_b32_e32 v14, 0xfc, v14
	v_cmp_eq_u64_e32 vcc_lo, 0, v[10:11]
	s_delay_alu instid0(VALU_DEP_2)
	v_and_or_b32 v3, v10, 3, v14
	s_and_b32 s10, s10, vcc_lo
	s_delay_alu instid0(VALU_DEP_1) | instid1(SALU_CYCLE_1)
	v_cndmask_b32_e64 v3, v3, 0, s10
	s_delay_alu instid0(VALU_DEP_1)
	v_or_b32_e32 v59, v3, v2
.LBB4_547:                              ;   in Loop: Header=BB4_129 Depth=2
	s_or_b32 exec_lo, exec_lo, s42
                                        ; implicit-def: $vgpr2
.LBB4_548:                              ;   in Loop: Header=BB4_129 Depth=2
	s_and_not1_saveexec_b32 s10, s41
; %bb.549:                              ;   in Loop: Header=BB4_129 Depth=2
	v_or_b32_e32 v59, 0x7b, v2
; %bb.550:                              ;   in Loop: Header=BB4_129 Depth=2
	s_or_b32 exec_lo, exec_lo, s10
                                        ; implicit-def: $vgpr3
                                        ; implicit-def: $vgpr2
.LBB4_551:                              ;   in Loop: Header=BB4_129 Depth=2
	s_and_not1_saveexec_b32 s10, s40
	s_cbranch_execz .LBB4_557
; %bb.552:                              ;   in Loop: Header=BB4_129 Depth=2
	s_mov_b32 s40, exec_lo
                                        ; implicit-def: $vgpr59
	v_cmpx_ne_u64_e32 0, v[38:39]
	s_xor_b32 s40, exec_lo, s40
; %bb.553:                              ;   in Loop: Header=BB4_129 Depth=2
	v_or_b32_e32 v59, 0x7f, v2
                                        ; implicit-def: $vgpr3
; %bb.554:                              ;   in Loop: Header=BB4_129 Depth=2
	s_and_not1_saveexec_b32 s40, s40
; %bb.555:                              ;   in Loop: Header=BB4_129 Depth=2
	v_cmp_lt_i32_e32 vcc_lo, -1, v3
	v_cndmask_b32_e32 v59, 0xfc, v122, vcc_lo
; %bb.556:                              ;   in Loop: Header=BB4_129 Depth=2
	s_or_b32 exec_lo, exec_lo, s40
.LBB4_557:                              ;   in Loop: Header=BB4_129 Depth=2
	s_delay_alu instid0(SALU_CYCLE_1) | instskip(SKIP_2) | instid1(VALU_DEP_1)
	s_or_b32 exec_lo, exec_lo, s10
	v_dual_lshrrev_b32 v10, 16, v13 :: v_dual_mov_b32 v2, 0
	s_mov_b32 s10, exec_lo
	v_and_b32_e32 v3, 0xff, v10
	s_delay_alu instid0(VALU_DEP_1)
	v_cmpx_ne_u16_e32 0, v3
	s_cbranch_execz .LBB4_567
; %bb.558:                              ;   in Loop: Header=BB4_129 Depth=2
	v_bfrev_b32_e32 v2, 1
	s_mov_b32 s40, exec_lo
	v_cmpx_ne_u16_e32 0x80, v3
	s_cbranch_execz .LBB4_566
; %bb.559:                              ;   in Loop: Header=BB4_129 Depth=2
	v_and_b32_e32 v2, 0x7c0000, v13
	v_bfe_u32 v3, v13, 16, 2
	s_delay_alu instid0(VALU_DEP_2) | instskip(SKIP_1) | instid1(SALU_CYCLE_1)
	v_cmp_ne_u32_e32 vcc_lo, 0x7c0000, v2
                                        ; implicit-def: $vgpr2
	s_and_saveexec_b32 s41, vcc_lo
	s_xor_b32 s41, exec_lo, s41
	s_cbranch_execz .LBB4_563
; %bb.560:                              ;   in Loop: Header=BB4_129 Depth=2
	v_bfe_u32 v2, v13, 18, 5
	s_mov_b32 s42, exec_lo
	s_delay_alu instid0(VALU_DEP_1)
	v_cmpx_eq_u32_e32 0, v2
; %bb.561:                              ;   in Loop: Header=BB4_129 Depth=2
	v_clz_i32_u32_e32 v2, v3
	s_delay_alu instid0(VALU_DEP_1) | instskip(NEXT) | instid1(VALU_DEP_1)
	v_min_u32_e32 v2, 32, v2
	v_subrev_nc_u32_e32 v3, 29, v2
	v_sub_nc_u32_e32 v2, 30, v2
	s_delay_alu instid0(VALU_DEP_2) | instskip(NEXT) | instid1(VALU_DEP_1)
	v_lshlrev_b64_e32 v[14:15], v3, v[10:11]
	v_and_b32_e32 v3, 3, v14
; %bb.562:                              ;   in Loop: Header=BB4_129 Depth=2
	s_or_b32 exec_lo, exec_lo, s42
	v_lshlrev_b32_e32 v10, 24, v10
	s_delay_alu instid0(VALU_DEP_1) | instskip(NEXT) | instid1(VALU_DEP_1)
	v_and_b32_e32 v10, 0x80000000, v10
	v_lshl_add_u32 v2, v2, 23, v10
                                        ; implicit-def: $vgpr10
	s_delay_alu instid0(VALU_DEP_1) | instskip(NEXT) | instid1(VALU_DEP_1)
	v_lshl_or_b32 v2, v3, 21, v2
                                        ; implicit-def: $vgpr3
	v_add_nc_u32_e32 v2, 0x38000000, v2
.LBB4_563:                              ;   in Loop: Header=BB4_129 Depth=2
	s_and_not1_saveexec_b32 s41, s41
; %bb.564:                              ;   in Loop: Header=BB4_129 Depth=2
	v_bfe_i32 v2, v10, 0, 8
	s_delay_alu instid0(VALU_DEP_1) | instskip(SKIP_2) | instid1(VALU_DEP_2)
	v_cmp_lt_i16_e32 vcc_lo, -1, v2
	v_cndmask_b32_e32 v2, 0xff800000, v126, vcc_lo
	v_cmp_eq_u32_e32 vcc_lo, 0, v3
	v_cndmask_b32_e32 v2, 0x7f800001, v2, vcc_lo
; %bb.565:                              ;   in Loop: Header=BB4_129 Depth=2
	s_or_b32 exec_lo, exec_lo, s41
.LBB4_566:                              ;   in Loop: Header=BB4_129 Depth=2
	s_delay_alu instid0(SALU_CYCLE_1)
	s_or_b32 exec_lo, exec_lo, s40
.LBB4_567:                              ;   in Loop: Header=BB4_129 Depth=2
	s_delay_alu instid0(SALU_CYCLE_1) | instskip(NEXT) | instid1(VALU_DEP_1)
	s_or_b32 exec_lo, exec_lo, s10
	v_dual_mul_f32 v3, s29, v2 :: v_dual_mov_b32 v11, v39
                                        ; implicit-def: $vgpr62
	s_mov_b32 s10, exec_lo
	s_delay_alu instid0(VALU_DEP_1) | instskip(SKIP_2) | instid1(VALU_DEP_3)
	v_and_b32_e32 v10, 0x7f800000, v3
	v_and_b32_e32 v38, 0x7fffff, v3
	v_lshrrev_b32_e32 v2, 24, v3
	v_cmpx_ne_u64_e32 0x7f800000, v[10:11]
	s_xor_b32 s40, exec_lo, s10
	s_cbranch_execz .LBB4_581
; %bb.568:                              ;   in Loop: Header=BB4_129 Depth=2
	v_and_b32_e32 v10, 0x7fffffff, v3
	v_mov_b32_e32 v11, v39
	v_and_b32_e32 v2, 0x80, v2
                                        ; implicit-def: $vgpr62
	s_mov_b32 s10, exec_lo
	s_delay_alu instid0(VALU_DEP_2)
	v_cmpx_gt_u64_e32 0x47600001, v[10:11]
	s_xor_b32 s41, exec_lo, s10
	s_cbranch_execz .LBB4_578
; %bb.569:                              ;   in Loop: Header=BB4_129 Depth=2
	v_mov_b32_e32 v62, 0
	s_mov_b32 s42, exec_lo
	v_cmpx_ne_u32_e32 0, v3
	s_cbranch_execz .LBB4_577
; %bb.570:                              ;   in Loop: Header=BB4_129 Depth=2
	v_bfe_u32 v3, v3, 23, 8
	v_or_b32_e32 v14, 0x800000, v38
	s_mov_b32 s43, exec_lo
	s_delay_alu instid0(VALU_DEP_2) | instskip(SKIP_1) | instid1(VALU_DEP_2)
	v_dual_mov_b32 v15, v39 :: v_dual_sub_nc_u32 v10, 0x71, v3
	v_cmp_gt_u32_e32 vcc_lo, 0x72, v3
	v_cndmask_b32_e32 v10, 0, v10, vcc_lo
	v_cmp_eq_u32_e32 vcc_lo, 0, v3
	s_delay_alu instid0(VALU_DEP_2) | instskip(NEXT) | instid1(VALU_DEP_1)
	v_cndmask_b32_e64 v16, v10, 0x70, vcc_lo
	v_dual_cndmask_b32 v14, v14, v38, vcc_lo :: v_dual_add_nc_u32 v10, 21, v16
	v_add_nc_u32_e32 v17, 20, v16
	s_delay_alu instid0(VALU_DEP_2) | instskip(NEXT) | instid1(VALU_DEP_2)
	v_lshlrev_b64_e64 v[10:11], v10, -1
	v_lshlrev_b64_e64 v[20:21], v17, 1
	s_delay_alu instid0(VALU_DEP_2) | instskip(NEXT) | instid1(VALU_DEP_3)
	v_bfi_b32 v25, v11, 0, 0
	v_bfi_b32 v24, v10, 0, v14
	v_lshrrev_b64 v[10:11], v16, v[14:15]
	s_delay_alu instid0(VALU_DEP_1) | instskip(NEXT) | instid1(VALU_DEP_3)
	v_mov_b64_e32 v[14:15], v[10:11]
	v_cmpx_eq_u64_e64 v[24:25], v[20:21]
; %bb.571:                              ;   in Loop: Header=BB4_129 Depth=2
	v_bfe_u32 v14, v10, 21, 1
	v_mov_b32_e32 v15, v39
	s_delay_alu instid0(VALU_DEP_1) | instskip(NEXT) | instid1(VALU_DEP_1)
	v_add_nc_u64_e32 v[14:15], v[10:11], v[14:15]
	v_add_nc_u64_e32 v[14:15], -1, v[14:15]
; %bb.572:                              ;   in Loop: Header=BB4_129 Depth=2
	s_or_b32 exec_lo, exec_lo, s43
	v_add_nc_u32_e32 v3, 0xffffff81, v3
	v_lshrrev_b32_e32 v11, 23, v10
	s_mov_b32 s10, exec_lo
	s_delay_alu instid0(VALU_DEP_2) | instskip(NEXT) | instid1(VALU_DEP_1)
	v_cndmask_b32_e64 v3, v3, 0xffffff82, vcc_lo
	v_add3_u32 v15, v16, v3, v11
	v_and_b32_e32 v3, 0x1fffff, v14
	s_delay_alu instid0(VALU_DEP_1) | instskip(NEXT) | instid1(VALU_DEP_1)
	v_dual_add_nc_u32 v14, 14, v15 :: v_dual_add_nc_u32 v38, v3, v10
                                        ; implicit-def: $vgpr10_vgpr11
                                        ; implicit-def: $vgpr3
	v_cmpx_ne_u32_e32 0, v14
	s_xor_b32 s10, exec_lo, s10
; %bb.573:                              ;   in Loop: Header=BB4_129 Depth=2
	s_delay_alu instid0(VALU_DEP_2) | instskip(SKIP_2) | instid1(VALU_DEP_2)
	v_cmp_lt_u64_e32 vcc_lo, 0xffffff, v[38:39]
	v_add_nc_u32_e32 v3, 15, v15
	v_cndmask_b32_e64 v10, 0, 1, vcc_lo
	v_cndmask_b32_e32 v3, v14, v3, vcc_lo
	s_delay_alu instid0(VALU_DEP_2)
	v_lshrrev_b64 v[10:11], v10, v[38:39]
; %bb.574:                              ;   in Loop: Header=BB4_129 Depth=2
	s_and_not1_saveexec_b32 s10, s10
; %bb.575:                              ;   in Loop: Header=BB4_129 Depth=2
	v_mov_b64_e32 v[10:11], v[38:39]
	v_bfe_u32 v3, v38, 23, 1
; %bb.576:                              ;   in Loop: Header=BB4_129 Depth=2
	s_or_b32 exec_lo, exec_lo, s10
	s_delay_alu instid0(VALU_DEP_2) | instskip(NEXT) | instid1(VALU_DEP_2)
	v_lshrrev_b64 v[10:11], 21, v[10:11]
	v_cmp_gt_i32_e32 vcc_lo, 32, v3
	v_min_i32_e32 v14, 31, v3
	v_cmp_eq_u32_e64 s10, 0, v3
	s_delay_alu instid0(VALU_DEP_4) | instskip(NEXT) | instid1(VALU_DEP_3)
	v_cndmask_b32_e32 v10, 3, v10, vcc_lo
	v_dual_cndmask_b32 v11, 0, v11 :: v_dual_lshlrev_b32 v14, 2, v14
	s_delay_alu instid0(VALU_DEP_1) | instskip(NEXT) | instid1(VALU_DEP_2)
	v_and_b32_e32 v14, 0xfc, v14
	v_cmp_eq_u64_e32 vcc_lo, 0, v[10:11]
	s_delay_alu instid0(VALU_DEP_2)
	v_and_or_b32 v3, v10, 3, v14
	s_and_b32 s10, s10, vcc_lo
	s_delay_alu instid0(VALU_DEP_1) | instid1(SALU_CYCLE_1)
	v_cndmask_b32_e64 v3, v3, 0, s10
	s_delay_alu instid0(VALU_DEP_1)
	v_or_b32_e32 v62, v3, v2
.LBB4_577:                              ;   in Loop: Header=BB4_129 Depth=2
	s_or_b32 exec_lo, exec_lo, s42
                                        ; implicit-def: $vgpr2
.LBB4_578:                              ;   in Loop: Header=BB4_129 Depth=2
	s_and_not1_saveexec_b32 s10, s41
; %bb.579:                              ;   in Loop: Header=BB4_129 Depth=2
	v_or_b32_e32 v62, 0x7b, v2
; %bb.580:                              ;   in Loop: Header=BB4_129 Depth=2
	s_or_b32 exec_lo, exec_lo, s10
                                        ; implicit-def: $vgpr3
                                        ; implicit-def: $vgpr2
.LBB4_581:                              ;   in Loop: Header=BB4_129 Depth=2
	s_and_not1_saveexec_b32 s10, s40
	s_cbranch_execz .LBB4_587
; %bb.582:                              ;   in Loop: Header=BB4_129 Depth=2
	s_mov_b32 s40, exec_lo
                                        ; implicit-def: $vgpr62
	v_cmpx_ne_u64_e32 0, v[38:39]
	s_xor_b32 s40, exec_lo, s40
; %bb.583:                              ;   in Loop: Header=BB4_129 Depth=2
	v_or_b32_e32 v62, 0x7f, v2
                                        ; implicit-def: $vgpr3
; %bb.584:                              ;   in Loop: Header=BB4_129 Depth=2
	s_and_not1_saveexec_b32 s40, s40
; %bb.585:                              ;   in Loop: Header=BB4_129 Depth=2
	v_cmp_lt_i32_e32 vcc_lo, -1, v3
	v_cndmask_b32_e32 v62, 0xfc, v122, vcc_lo
; %bb.586:                              ;   in Loop: Header=BB4_129 Depth=2
	s_or_b32 exec_lo, exec_lo, s40
.LBB4_587:                              ;   in Loop: Header=BB4_129 Depth=2
	s_delay_alu instid0(SALU_CYCLE_1)
	s_or_b32 exec_lo, exec_lo, s10
	v_mov_b32_e32 v2, 0
	s_mov_b32 s10, exec_lo
	v_cmpx_lt_u64_e64 s[12:13], v[12:13]
	s_cbranch_execz .LBB4_597
; %bb.588:                              ;   in Loop: Header=BB4_129 Depth=2
	v_lshrrev_b32_e32 v10, 24, v13
	v_bfrev_b32_e32 v2, 1
	s_mov_b32 s40, exec_lo
	s_delay_alu instid0(VALU_DEP_2)
	v_cmpx_ne_u32_e32 0x80, v10
	s_cbranch_execz .LBB4_596
; %bb.589:                              ;   in Loop: Header=BB4_129 Depth=2
	v_and_b32_e32 v2, 0x7c000000, v13
	v_bfe_u32 v3, v13, 24, 2
	s_delay_alu instid0(VALU_DEP_2) | instskip(SKIP_1) | instid1(SALU_CYCLE_1)
	v_cmp_ne_u32_e32 vcc_lo, 0x7c000000, v2
                                        ; implicit-def: $vgpr2
	s_and_saveexec_b32 s41, vcc_lo
	s_xor_b32 s41, exec_lo, s41
	s_cbranch_execz .LBB4_593
; %bb.590:                              ;   in Loop: Header=BB4_129 Depth=2
	v_bfe_u32 v2, v13, 26, 5
	s_mov_b32 s42, exec_lo
	s_delay_alu instid0(VALU_DEP_1)
	v_cmpx_eq_u32_e32 0, v2
; %bb.591:                              ;   in Loop: Header=BB4_129 Depth=2
	v_clz_i32_u32_e32 v2, v3
	s_delay_alu instid0(VALU_DEP_1) | instskip(NEXT) | instid1(VALU_DEP_1)
	v_min_u32_e32 v2, 32, v2
	v_subrev_nc_u32_e32 v3, 29, v2
	v_sub_nc_u32_e32 v2, 30, v2
	s_delay_alu instid0(VALU_DEP_2) | instskip(NEXT) | instid1(VALU_DEP_1)
	v_lshlrev_b64_e32 v[10:11], v3, v[10:11]
	v_and_b32_e32 v3, 3, v10
; %bb.592:                              ;   in Loop: Header=BB4_129 Depth=2
	s_or_b32 exec_lo, exec_lo, s42
	v_and_b32_e32 v10, 0x80000000, v13
                                        ; implicit-def: $vgpr12_vgpr13
	s_delay_alu instid0(VALU_DEP_1) | instskip(NEXT) | instid1(VALU_DEP_1)
	v_lshl_add_u32 v2, v2, 23, v10
	v_lshl_or_b32 v2, v3, 21, v2
                                        ; implicit-def: $vgpr3
	s_delay_alu instid0(VALU_DEP_1)
	v_add_nc_u32_e32 v2, 0x38000000, v2
.LBB4_593:                              ;   in Loop: Header=BB4_129 Depth=2
	s_and_not1_saveexec_b32 s41, s41
; %bb.594:                              ;   in Loop: Header=BB4_129 Depth=2
	v_cmp_lt_i64_e32 vcc_lo, -1, v[12:13]
	v_cndmask_b32_e32 v2, 0xff800000, v126, vcc_lo
	v_cmp_eq_u32_e32 vcc_lo, 0, v3
	s_delay_alu instid0(VALU_DEP_2)
	v_cndmask_b32_e32 v2, 0x7f800001, v2, vcc_lo
; %bb.595:                              ;   in Loop: Header=BB4_129 Depth=2
	s_or_b32 exec_lo, exec_lo, s41
.LBB4_596:                              ;   in Loop: Header=BB4_129 Depth=2
	s_delay_alu instid0(SALU_CYCLE_1)
	s_or_b32 exec_lo, exec_lo, s40
.LBB4_597:                              ;   in Loop: Header=BB4_129 Depth=2
	s_delay_alu instid0(SALU_CYCLE_1) | instskip(NEXT) | instid1(VALU_DEP_1)
	s_or_b32 exec_lo, exec_lo, s10
	v_dual_mul_f32 v3, s29, v2 :: v_dual_mov_b32 v11, v39
                                        ; implicit-def: $vgpr72
	s_mov_b32 s10, exec_lo
	s_delay_alu instid0(VALU_DEP_1) | instskip(SKIP_2) | instid1(VALU_DEP_3)
	v_and_b32_e32 v10, 0x7f800000, v3
	v_and_b32_e32 v38, 0x7fffff, v3
	v_lshrrev_b32_e32 v2, 24, v3
	v_cmpx_ne_u64_e32 0x7f800000, v[10:11]
	s_xor_b32 s40, exec_lo, s10
	s_cbranch_execz .LBB4_611
; %bb.598:                              ;   in Loop: Header=BB4_129 Depth=2
	v_and_b32_e32 v10, 0x7fffffff, v3
	v_mov_b32_e32 v11, v39
	v_and_b32_e32 v2, 0x80, v2
                                        ; implicit-def: $vgpr72
	s_mov_b32 s10, exec_lo
	s_delay_alu instid0(VALU_DEP_2)
	v_cmpx_gt_u64_e32 0x47600001, v[10:11]
	s_xor_b32 s41, exec_lo, s10
	s_cbranch_execz .LBB4_608
; %bb.599:                              ;   in Loop: Header=BB4_129 Depth=2
	v_mov_b32_e32 v72, 0
	s_mov_b32 s42, exec_lo
	v_cmpx_ne_u32_e32 0, v3
	s_cbranch_execz .LBB4_607
; %bb.600:                              ;   in Loop: Header=BB4_129 Depth=2
	v_bfe_u32 v3, v3, 23, 8
	v_or_b32_e32 v12, 0x800000, v38
	s_mov_b32 s43, exec_lo
	s_delay_alu instid0(VALU_DEP_2) | instskip(SKIP_1) | instid1(VALU_DEP_2)
	v_dual_mov_b32 v13, v39 :: v_dual_sub_nc_u32 v10, 0x71, v3
	v_cmp_gt_u32_e32 vcc_lo, 0x72, v3
	v_cndmask_b32_e32 v10, 0, v10, vcc_lo
	v_cmp_eq_u32_e32 vcc_lo, 0, v3
	s_delay_alu instid0(VALU_DEP_2) | instskip(SKIP_1) | instid1(VALU_DEP_2)
	v_cndmask_b32_e64 v14, v10, 0x70, vcc_lo
	v_cndmask_b32_e32 v12, v12, v38, vcc_lo
	v_dual_add_nc_u32 v10, 21, v14 :: v_dual_add_nc_u32 v15, 20, v14
	s_delay_alu instid0(VALU_DEP_1) | instskip(NEXT) | instid1(VALU_DEP_2)
	v_lshlrev_b64_e64 v[10:11], v10, -1
	v_lshlrev_b64_e64 v[16:17], v15, 1
	s_delay_alu instid0(VALU_DEP_2) | instskip(NEXT) | instid1(VALU_DEP_3)
	v_bfi_b32 v21, v11, 0, 0
	v_bfi_b32 v20, v10, 0, v12
	v_lshrrev_b64 v[10:11], v14, v[12:13]
	s_delay_alu instid0(VALU_DEP_1) | instskip(NEXT) | instid1(VALU_DEP_3)
	v_mov_b64_e32 v[12:13], v[10:11]
	v_cmpx_eq_u64_e64 v[20:21], v[16:17]
; %bb.601:                              ;   in Loop: Header=BB4_129 Depth=2
	v_bfe_u32 v12, v10, 21, 1
	v_mov_b32_e32 v13, v39
	s_delay_alu instid0(VALU_DEP_1) | instskip(NEXT) | instid1(VALU_DEP_1)
	v_add_nc_u64_e32 v[12:13], v[10:11], v[12:13]
	v_add_nc_u64_e32 v[12:13], -1, v[12:13]
; %bb.602:                              ;   in Loop: Header=BB4_129 Depth=2
	s_or_b32 exec_lo, exec_lo, s43
	v_add_nc_u32_e32 v3, 0xffffff81, v3
	v_lshrrev_b32_e32 v11, 23, v10
	s_mov_b32 s10, exec_lo
	s_delay_alu instid0(VALU_DEP_2) | instskip(NEXT) | instid1(VALU_DEP_1)
	v_cndmask_b32_e64 v3, v3, 0xffffff82, vcc_lo
	v_add3_u32 v13, v14, v3, v11
	v_and_b32_e32 v3, 0x1fffff, v12
	s_delay_alu instid0(VALU_DEP_1) | instskip(NEXT) | instid1(VALU_DEP_1)
	v_dual_add_nc_u32 v12, 14, v13 :: v_dual_add_nc_u32 v38, v3, v10
                                        ; implicit-def: $vgpr10_vgpr11
                                        ; implicit-def: $vgpr3
	v_cmpx_ne_u32_e32 0, v12
	s_xor_b32 s10, exec_lo, s10
; %bb.603:                              ;   in Loop: Header=BB4_129 Depth=2
	s_delay_alu instid0(VALU_DEP_2) | instskip(SKIP_2) | instid1(VALU_DEP_2)
	v_cmp_lt_u64_e32 vcc_lo, 0xffffff, v[38:39]
	v_add_nc_u32_e32 v3, 15, v13
	v_cndmask_b32_e64 v10, 0, 1, vcc_lo
	v_cndmask_b32_e32 v3, v12, v3, vcc_lo
	s_delay_alu instid0(VALU_DEP_2)
	v_lshrrev_b64 v[10:11], v10, v[38:39]
; %bb.604:                              ;   in Loop: Header=BB4_129 Depth=2
	s_and_not1_saveexec_b32 s10, s10
; %bb.605:                              ;   in Loop: Header=BB4_129 Depth=2
	v_mov_b64_e32 v[10:11], v[38:39]
	v_bfe_u32 v3, v38, 23, 1
; %bb.606:                              ;   in Loop: Header=BB4_129 Depth=2
	s_or_b32 exec_lo, exec_lo, s10
	s_delay_alu instid0(VALU_DEP_2) | instskip(NEXT) | instid1(VALU_DEP_2)
	v_lshrrev_b64 v[10:11], 21, v[10:11]
	v_cmp_gt_i32_e32 vcc_lo, 32, v3
	v_min_i32_e32 v12, 31, v3
	v_cmp_eq_u32_e64 s10, 0, v3
	s_delay_alu instid0(VALU_DEP_2) | instskip(SKIP_1) | instid1(VALU_DEP_2)
	v_dual_cndmask_b32 v10, 3, v10, vcc_lo :: v_dual_lshlrev_b32 v12, 2, v12
	v_cndmask_b32_e32 v11, 0, v11, vcc_lo
	v_and_b32_e32 v12, 0xfc, v12
	s_delay_alu instid0(VALU_DEP_2) | instskip(NEXT) | instid1(VALU_DEP_2)
	v_cmp_eq_u64_e32 vcc_lo, 0, v[10:11]
	v_and_or_b32 v3, v10, 3, v12
	s_and_b32 s10, s10, vcc_lo
	s_delay_alu instid0(VALU_DEP_1) | instid1(SALU_CYCLE_1)
	v_cndmask_b32_e64 v3, v3, 0, s10
	s_delay_alu instid0(VALU_DEP_1)
	v_or_b32_e32 v72, v3, v2
.LBB4_607:                              ;   in Loop: Header=BB4_129 Depth=2
	s_or_b32 exec_lo, exec_lo, s42
                                        ; implicit-def: $vgpr2
.LBB4_608:                              ;   in Loop: Header=BB4_129 Depth=2
	s_and_not1_saveexec_b32 s10, s41
; %bb.609:                              ;   in Loop: Header=BB4_129 Depth=2
	v_or_b32_e32 v72, 0x7b, v2
; %bb.610:                              ;   in Loop: Header=BB4_129 Depth=2
	s_or_b32 exec_lo, exec_lo, s10
                                        ; implicit-def: $vgpr3
                                        ; implicit-def: $vgpr2
.LBB4_611:                              ;   in Loop: Header=BB4_129 Depth=2
	s_and_not1_saveexec_b32 s10, s40
	s_cbranch_execz .LBB4_617
; %bb.612:                              ;   in Loop: Header=BB4_129 Depth=2
	s_mov_b32 s40, exec_lo
                                        ; implicit-def: $vgpr72
	v_cmpx_ne_u64_e32 0, v[38:39]
	s_xor_b32 s40, exec_lo, s40
; %bb.613:                              ;   in Loop: Header=BB4_129 Depth=2
	v_or_b32_e32 v72, 0x7f, v2
                                        ; implicit-def: $vgpr3
; %bb.614:                              ;   in Loop: Header=BB4_129 Depth=2
	s_and_not1_saveexec_b32 s40, s40
; %bb.615:                              ;   in Loop: Header=BB4_129 Depth=2
	v_cmp_lt_i32_e32 vcc_lo, -1, v3
	v_cndmask_b32_e32 v72, 0xfc, v122, vcc_lo
; %bb.616:                              ;   in Loop: Header=BB4_129 Depth=2
	s_or_b32 exec_lo, exec_lo, s40
.LBB4_617:                              ;   in Loop: Header=BB4_129 Depth=2
	s_delay_alu instid0(SALU_CYCLE_1) | instskip(SKIP_3) | instid1(VALU_DEP_1)
	s_or_b32 exec_lo, exec_lo, s10
	global_load_b128 v[10:13], v[86:87], off offset:512 th:TH_LOAD_NT
	s_wait_loadcnt 0x0
	v_and_b32_e32 v2, 0xff, v10
	v_cmp_ne_u16_e32 vcc_lo, 0, v2
	v_mov_b32_e32 v2, 0
	s_wait_xcnt 0x0
	s_and_saveexec_b32 s10, vcc_lo
	s_cbranch_execz .LBB4_627
; %bb.618:                              ;   in Loop: Header=BB4_129 Depth=2
	v_bfe_i32 v14, v10, 0, 8
	v_bfrev_b32_e32 v2, 1
	s_mov_b32 s40, exec_lo
	s_delay_alu instid0(VALU_DEP_2)
	v_cmpx_ne_u16_e32 0xff80, v14
	s_cbranch_execz .LBB4_626
; %bb.619:                              ;   in Loop: Header=BB4_129 Depth=2
	v_and_b32_e32 v2, 0x7c, v10
	v_and_b32_e32 v3, 3, v10
	s_delay_alu instid0(VALU_DEP_2) | instskip(SKIP_1) | instid1(SALU_CYCLE_1)
	v_cmp_ne_u32_e32 vcc_lo, 0x7c, v2
                                        ; implicit-def: $vgpr2
	s_and_saveexec_b32 s41, vcc_lo
	s_xor_b32 s41, exec_lo, s41
	s_cbranch_execz .LBB4_623
; %bb.620:                              ;   in Loop: Header=BB4_129 Depth=2
	v_bfe_u32 v2, v10, 2, 5
	s_mov_b32 s42, exec_lo
	s_delay_alu instid0(VALU_DEP_1)
	v_cmpx_eq_u32_e32 0, v2
; %bb.621:                              ;   in Loop: Header=BB4_129 Depth=2
	v_clz_i32_u32_e32 v2, v3
	s_delay_alu instid0(VALU_DEP_1) | instskip(NEXT) | instid1(VALU_DEP_1)
	v_min_u32_e32 v2, 32, v2
	v_subrev_nc_u32_e32 v3, 29, v2
	v_sub_nc_u32_e32 v2, 30, v2
	s_delay_alu instid0(VALU_DEP_2) | instskip(NEXT) | instid1(VALU_DEP_1)
	v_lshlrev_b64_e32 v[14:15], v3, v[10:11]
	v_and_b32_e32 v3, 3, v14
; %bb.622:                              ;   in Loop: Header=BB4_129 Depth=2
	s_or_b32 exec_lo, exec_lo, s42
	v_lshlrev_b32_e32 v14, 24, v10
	s_delay_alu instid0(VALU_DEP_1) | instskip(NEXT) | instid1(VALU_DEP_1)
	v_and_b32_e32 v14, 0x80000000, v14
	v_lshl_add_u32 v2, v2, 23, v14
                                        ; implicit-def: $vgpr14
	s_delay_alu instid0(VALU_DEP_1) | instskip(NEXT) | instid1(VALU_DEP_1)
	v_lshl_or_b32 v2, v3, 21, v2
                                        ; implicit-def: $vgpr3
	v_add_nc_u32_e32 v2, 0x38000000, v2
.LBB4_623:                              ;   in Loop: Header=BB4_129 Depth=2
	s_and_not1_saveexec_b32 s41, s41
; %bb.624:                              ;   in Loop: Header=BB4_129 Depth=2
	v_cmp_lt_i16_e32 vcc_lo, -1, v14
	v_cndmask_b32_e32 v2, 0xff800000, v126, vcc_lo
	v_cmp_eq_u32_e32 vcc_lo, 0, v3
	s_delay_alu instid0(VALU_DEP_2)
	v_cndmask_b32_e32 v2, 0x7f800001, v2, vcc_lo
; %bb.625:                              ;   in Loop: Header=BB4_129 Depth=2
	s_or_b32 exec_lo, exec_lo, s41
.LBB4_626:                              ;   in Loop: Header=BB4_129 Depth=2
	s_delay_alu instid0(SALU_CYCLE_1)
	s_or_b32 exec_lo, exec_lo, s40
.LBB4_627:                              ;   in Loop: Header=BB4_129 Depth=2
	s_delay_alu instid0(SALU_CYCLE_1) | instskip(NEXT) | instid1(VALU_DEP_1)
	s_or_b32 exec_lo, exec_lo, s10
	v_dual_mul_f32 v3, s29, v2 :: v_dual_mov_b32 v15, v39
                                        ; implicit-def: $vgpr41
	s_mov_b32 s10, exec_lo
	s_delay_alu instid0(VALU_DEP_1) | instskip(SKIP_2) | instid1(VALU_DEP_3)
	v_and_b32_e32 v14, 0x7f800000, v3
	v_and_b32_e32 v38, 0x7fffff, v3
	v_lshrrev_b32_e32 v2, 24, v3
	v_cmpx_ne_u64_e32 0x7f800000, v[14:15]
	s_xor_b32 s40, exec_lo, s10
	s_cbranch_execz .LBB4_641
; %bb.628:                              ;   in Loop: Header=BB4_129 Depth=2
	v_and_b32_e32 v14, 0x7fffffff, v3
	v_mov_b32_e32 v15, v39
	v_and_b32_e32 v2, 0x80, v2
                                        ; implicit-def: $vgpr41
	s_mov_b32 s10, exec_lo
	s_delay_alu instid0(VALU_DEP_2)
	v_cmpx_gt_u64_e32 0x47600001, v[14:15]
	s_xor_b32 s41, exec_lo, s10
	s_cbranch_execz .LBB4_638
; %bb.629:                              ;   in Loop: Header=BB4_129 Depth=2
	v_mov_b32_e32 v41, 0
	s_mov_b32 s42, exec_lo
	v_cmpx_ne_u32_e32 0, v3
	s_cbranch_execz .LBB4_637
; %bb.630:                              ;   in Loop: Header=BB4_129 Depth=2
	v_bfe_u32 v3, v3, 23, 8
	v_or_b32_e32 v16, 0x800000, v38
	s_mov_b32 s43, exec_lo
	s_delay_alu instid0(VALU_DEP_2) | instskip(SKIP_1) | instid1(VALU_DEP_2)
	v_dual_mov_b32 v17, v39 :: v_dual_sub_nc_u32 v14, 0x71, v3
	v_cmp_gt_u32_e32 vcc_lo, 0x72, v3
	v_cndmask_b32_e32 v14, 0, v14, vcc_lo
	v_cmp_eq_u32_e32 vcc_lo, 0, v3
	s_delay_alu instid0(VALU_DEP_2) | instskip(NEXT) | instid1(VALU_DEP_1)
	v_cndmask_b32_e64 v20, v14, 0x70, vcc_lo
	v_dual_cndmask_b32 v16, v16, v38, vcc_lo :: v_dual_add_nc_u32 v14, 21, v20
	v_add_nc_u32_e32 v21, 20, v20
	s_delay_alu instid0(VALU_DEP_2) | instskip(NEXT) | instid1(VALU_DEP_2)
	v_lshlrev_b64_e64 v[14:15], v14, -1
	v_lshlrev_b64_e64 v[24:25], v21, 1
	s_delay_alu instid0(VALU_DEP_2) | instskip(NEXT) | instid1(VALU_DEP_3)
	v_bfi_b32 v103, v15, 0, 0
	v_bfi_b32 v102, v14, 0, v16
	v_lshrrev_b64 v[14:15], v20, v[16:17]
	s_delay_alu instid0(VALU_DEP_1) | instskip(NEXT) | instid1(VALU_DEP_3)
	v_mov_b64_e32 v[16:17], v[14:15]
	v_cmpx_eq_u64_e64 v[102:103], v[24:25]
; %bb.631:                              ;   in Loop: Header=BB4_129 Depth=2
	v_bfe_u32 v16, v14, 21, 1
	v_mov_b32_e32 v17, v39
	s_delay_alu instid0(VALU_DEP_1) | instskip(NEXT) | instid1(VALU_DEP_1)
	v_add_nc_u64_e32 v[16:17], v[14:15], v[16:17]
	v_add_nc_u64_e32 v[16:17], -1, v[16:17]
; %bb.632:                              ;   in Loop: Header=BB4_129 Depth=2
	s_or_b32 exec_lo, exec_lo, s43
	v_add_nc_u32_e32 v3, 0xffffff81, v3
	v_lshrrev_b32_e32 v15, 23, v14
	s_mov_b32 s10, exec_lo
	s_delay_alu instid0(VALU_DEP_2) | instskip(NEXT) | instid1(VALU_DEP_1)
	v_cndmask_b32_e64 v3, v3, 0xffffff82, vcc_lo
	v_add3_u32 v17, v20, v3, v15
	v_and_b32_e32 v3, 0x1fffff, v16
	s_delay_alu instid0(VALU_DEP_1) | instskip(NEXT) | instid1(VALU_DEP_1)
	v_dual_add_nc_u32 v16, 14, v17 :: v_dual_add_nc_u32 v38, v3, v14
                                        ; implicit-def: $vgpr14_vgpr15
                                        ; implicit-def: $vgpr3
	v_cmpx_ne_u32_e32 0, v16
	s_xor_b32 s10, exec_lo, s10
; %bb.633:                              ;   in Loop: Header=BB4_129 Depth=2
	s_delay_alu instid0(VALU_DEP_2) | instskip(SKIP_2) | instid1(VALU_DEP_2)
	v_cmp_lt_u64_e32 vcc_lo, 0xffffff, v[38:39]
	v_add_nc_u32_e32 v3, 15, v17
	v_cndmask_b32_e64 v14, 0, 1, vcc_lo
	v_cndmask_b32_e32 v3, v16, v3, vcc_lo
	s_delay_alu instid0(VALU_DEP_2)
	v_lshrrev_b64 v[14:15], v14, v[38:39]
; %bb.634:                              ;   in Loop: Header=BB4_129 Depth=2
	s_and_not1_saveexec_b32 s10, s10
; %bb.635:                              ;   in Loop: Header=BB4_129 Depth=2
	v_mov_b64_e32 v[14:15], v[38:39]
	v_bfe_u32 v3, v38, 23, 1
; %bb.636:                              ;   in Loop: Header=BB4_129 Depth=2
	s_or_b32 exec_lo, exec_lo, s10
	s_delay_alu instid0(VALU_DEP_2) | instskip(NEXT) | instid1(VALU_DEP_2)
	v_lshrrev_b64 v[14:15], 21, v[14:15]
	v_cmp_gt_i32_e32 vcc_lo, 32, v3
	v_min_i32_e32 v16, 31, v3
	v_cmp_eq_u32_e64 s10, 0, v3
	s_delay_alu instid0(VALU_DEP_2) | instskip(SKIP_1) | instid1(VALU_DEP_2)
	v_dual_cndmask_b32 v14, 3, v14, vcc_lo :: v_dual_lshlrev_b32 v16, 2, v16
	v_cndmask_b32_e32 v15, 0, v15, vcc_lo
	v_and_b32_e32 v16, 0xfc, v16
	s_delay_alu instid0(VALU_DEP_2) | instskip(NEXT) | instid1(VALU_DEP_2)
	v_cmp_eq_u64_e32 vcc_lo, 0, v[14:15]
	v_and_or_b32 v3, v14, 3, v16
	s_and_b32 s10, s10, vcc_lo
	s_delay_alu instid0(VALU_DEP_1) | instid1(SALU_CYCLE_1)
	v_cndmask_b32_e64 v3, v3, 0, s10
	s_delay_alu instid0(VALU_DEP_1)
	v_or_b32_e32 v41, v3, v2
.LBB4_637:                              ;   in Loop: Header=BB4_129 Depth=2
	s_or_b32 exec_lo, exec_lo, s42
                                        ; implicit-def: $vgpr2
.LBB4_638:                              ;   in Loop: Header=BB4_129 Depth=2
	s_and_not1_saveexec_b32 s10, s41
; %bb.639:                              ;   in Loop: Header=BB4_129 Depth=2
	v_or_b32_e32 v41, 0x7b, v2
; %bb.640:                              ;   in Loop: Header=BB4_129 Depth=2
	s_or_b32 exec_lo, exec_lo, s10
                                        ; implicit-def: $vgpr3
                                        ; implicit-def: $vgpr2
.LBB4_641:                              ;   in Loop: Header=BB4_129 Depth=2
	s_and_not1_saveexec_b32 s10, s40
	s_cbranch_execz .LBB4_647
; %bb.642:                              ;   in Loop: Header=BB4_129 Depth=2
	s_mov_b32 s40, exec_lo
                                        ; implicit-def: $vgpr41
	v_cmpx_ne_u64_e32 0, v[38:39]
	s_xor_b32 s40, exec_lo, s40
; %bb.643:                              ;   in Loop: Header=BB4_129 Depth=2
	v_or_b32_e32 v41, 0x7f, v2
                                        ; implicit-def: $vgpr3
; %bb.644:                              ;   in Loop: Header=BB4_129 Depth=2
	s_and_not1_saveexec_b32 s40, s40
; %bb.645:                              ;   in Loop: Header=BB4_129 Depth=2
	v_cmp_lt_i32_e32 vcc_lo, -1, v3
	v_cndmask_b32_e32 v41, 0xfc, v122, vcc_lo
; %bb.646:                              ;   in Loop: Header=BB4_129 Depth=2
	s_or_b32 exec_lo, exec_lo, s40
.LBB4_647:                              ;   in Loop: Header=BB4_129 Depth=2
	s_delay_alu instid0(SALU_CYCLE_1) | instskip(SKIP_3) | instid1(VALU_DEP_2)
	s_or_b32 exec_lo, exec_lo, s10
	v_lshrrev_b16 v14, 8, v10
	v_mov_b32_e32 v3, 0
	s_mov_b32 s10, exec_lo
	v_cmpx_ne_u16_e32 0, v14
	s_cbranch_execz .LBB4_657
; %bb.648:                              ;   in Loop: Header=BB4_129 Depth=2
	v_bfrev_b32_e32 v3, 1
	s_mov_b32 s40, exec_lo
	v_cmpx_ne_u16_e32 0x80, v14
	s_cbranch_execz .LBB4_656
; %bb.649:                              ;   in Loop: Header=BB4_129 Depth=2
	v_and_b32_e32 v15, 0xffff, v14
	s_delay_alu instid0(VALU_DEP_1) | instskip(SKIP_1) | instid1(VALU_DEP_2)
	v_and_b32_e32 v3, 0x7c, v15
	v_and_b32_e32 v2, 3, v15
	v_cmp_ne_u32_e32 vcc_lo, 0x7c, v3
                                        ; implicit-def: $vgpr3
	s_and_saveexec_b32 s41, vcc_lo
	s_delay_alu instid0(SALU_CYCLE_1)
	s_xor_b32 s41, exec_lo, s41
	s_cbranch_execz .LBB4_653
; %bb.650:                              ;   in Loop: Header=BB4_129 Depth=2
	v_bfe_u32 v3, v15, 2, 5
	s_mov_b32 s42, exec_lo
	s_delay_alu instid0(VALU_DEP_1)
	v_cmpx_eq_u32_e32 0, v3
; %bb.651:                              ;   in Loop: Header=BB4_129 Depth=2
	v_clz_i32_u32_e32 v2, v2
	s_delay_alu instid0(VALU_DEP_1) | instskip(SKIP_1) | instid1(VALU_DEP_2)
	v_min_u32_e32 v16, 32, v2
	v_mov_b32_e32 v15, v39
	v_subrev_nc_u32_e32 v2, 29, v16
	s_delay_alu instid0(VALU_DEP_1) | instskip(NEXT) | instid1(VALU_DEP_1)
	v_lshlrev_b64_e32 v[2:3], v2, v[14:15]
	v_dual_sub_nc_u32 v3, 30, v16 :: v_dual_bitop2_b32 v2, 3, v2 bitop3:0x40
; %bb.652:                              ;   in Loop: Header=BB4_129 Depth=2
	s_or_b32 exec_lo, exec_lo, s42
	v_lshlrev_b32_e32 v14, 16, v10
	s_delay_alu instid0(VALU_DEP_1) | instskip(NEXT) | instid1(VALU_DEP_1)
	v_and_b32_e32 v14, 0x80000000, v14
	v_lshl_add_u32 v3, v3, 23, v14
	s_delay_alu instid0(VALU_DEP_1) | instskip(NEXT) | instid1(VALU_DEP_1)
	v_lshl_or_b32 v2, v2, 21, v3
	v_add_nc_u32_e32 v3, 0x38000000, v2
                                        ; implicit-def: $vgpr2
.LBB4_653:                              ;   in Loop: Header=BB4_129 Depth=2
	s_and_not1_saveexec_b32 s41, s41
; %bb.654:                              ;   in Loop: Header=BB4_129 Depth=2
	v_cmp_lt_i16_e32 vcc_lo, -1, v10
	v_cndmask_b32_e32 v3, 0xff800000, v126, vcc_lo
	v_cmp_eq_u32_e32 vcc_lo, 0, v2
	s_delay_alu instid0(VALU_DEP_2)
	v_cndmask_b32_e32 v3, 0x7f800001, v3, vcc_lo
; %bb.655:                              ;   in Loop: Header=BB4_129 Depth=2
	s_or_b32 exec_lo, exec_lo, s41
.LBB4_656:                              ;   in Loop: Header=BB4_129 Depth=2
	s_delay_alu instid0(SALU_CYCLE_1)
	s_or_b32 exec_lo, exec_lo, s40
.LBB4_657:                              ;   in Loop: Header=BB4_129 Depth=2
	s_delay_alu instid0(SALU_CYCLE_1) | instskip(NEXT) | instid1(VALU_DEP_1)
	s_or_b32 exec_lo, exec_lo, s10
	v_dual_mul_f32 v3, s29, v3 :: v_dual_mov_b32 v15, v39
                                        ; implicit-def: $vgpr47
	s_mov_b32 s10, exec_lo
	s_delay_alu instid0(VALU_DEP_1) | instskip(SKIP_2) | instid1(VALU_DEP_3)
	v_and_b32_e32 v14, 0x7f800000, v3
	v_and_b32_e32 v38, 0x7fffff, v3
	v_lshrrev_b32_e32 v2, 24, v3
	v_cmpx_ne_u64_e32 0x7f800000, v[14:15]
	s_xor_b32 s40, exec_lo, s10
	s_cbranch_execz .LBB4_671
; %bb.658:                              ;   in Loop: Header=BB4_129 Depth=2
	v_and_b32_e32 v14, 0x7fffffff, v3
	v_mov_b32_e32 v15, v39
	v_and_b32_e32 v2, 0x80, v2
                                        ; implicit-def: $vgpr47
	s_mov_b32 s10, exec_lo
	s_delay_alu instid0(VALU_DEP_2)
	v_cmpx_gt_u64_e32 0x47600001, v[14:15]
	s_xor_b32 s41, exec_lo, s10
	s_cbranch_execz .LBB4_668
; %bb.659:                              ;   in Loop: Header=BB4_129 Depth=2
	v_mov_b32_e32 v47, 0
	s_mov_b32 s42, exec_lo
	v_cmpx_ne_u32_e32 0, v3
	s_cbranch_execz .LBB4_667
; %bb.660:                              ;   in Loop: Header=BB4_129 Depth=2
	v_bfe_u32 v3, v3, 23, 8
	v_or_b32_e32 v16, 0x800000, v38
	s_mov_b32 s43, exec_lo
	s_delay_alu instid0(VALU_DEP_2) | instskip(SKIP_1) | instid1(VALU_DEP_2)
	v_dual_mov_b32 v17, v39 :: v_dual_sub_nc_u32 v14, 0x71, v3
	v_cmp_gt_u32_e32 vcc_lo, 0x72, v3
	v_cndmask_b32_e32 v14, 0, v14, vcc_lo
	v_cmp_eq_u32_e32 vcc_lo, 0, v3
	s_delay_alu instid0(VALU_DEP_2) | instskip(NEXT) | instid1(VALU_DEP_1)
	v_cndmask_b32_e64 v20, v14, 0x70, vcc_lo
	v_dual_cndmask_b32 v16, v16, v38, vcc_lo :: v_dual_add_nc_u32 v14, 21, v20
	v_add_nc_u32_e32 v21, 20, v20
	s_delay_alu instid0(VALU_DEP_2) | instskip(NEXT) | instid1(VALU_DEP_2)
	v_lshlrev_b64_e64 v[14:15], v14, -1
	v_lshlrev_b64_e64 v[24:25], v21, 1
	s_delay_alu instid0(VALU_DEP_2) | instskip(NEXT) | instid1(VALU_DEP_3)
	v_bfi_b32 v103, v15, 0, 0
	v_bfi_b32 v102, v14, 0, v16
	v_lshrrev_b64 v[14:15], v20, v[16:17]
	s_delay_alu instid0(VALU_DEP_1) | instskip(NEXT) | instid1(VALU_DEP_3)
	v_mov_b64_e32 v[16:17], v[14:15]
	v_cmpx_eq_u64_e64 v[102:103], v[24:25]
; %bb.661:                              ;   in Loop: Header=BB4_129 Depth=2
	v_bfe_u32 v16, v14, 21, 1
	v_mov_b32_e32 v17, v39
	s_delay_alu instid0(VALU_DEP_1) | instskip(NEXT) | instid1(VALU_DEP_1)
	v_add_nc_u64_e32 v[16:17], v[14:15], v[16:17]
	v_add_nc_u64_e32 v[16:17], -1, v[16:17]
; %bb.662:                              ;   in Loop: Header=BB4_129 Depth=2
	s_or_b32 exec_lo, exec_lo, s43
	v_add_nc_u32_e32 v3, 0xffffff81, v3
	v_lshrrev_b32_e32 v15, 23, v14
	s_mov_b32 s10, exec_lo
	s_delay_alu instid0(VALU_DEP_2) | instskip(NEXT) | instid1(VALU_DEP_1)
	v_cndmask_b32_e64 v3, v3, 0xffffff82, vcc_lo
	v_add3_u32 v17, v20, v3, v15
	v_and_b32_e32 v3, 0x1fffff, v16
	s_delay_alu instid0(VALU_DEP_1) | instskip(NEXT) | instid1(VALU_DEP_1)
	v_dual_add_nc_u32 v16, 14, v17 :: v_dual_add_nc_u32 v38, v3, v14
                                        ; implicit-def: $vgpr14_vgpr15
                                        ; implicit-def: $vgpr3
	v_cmpx_ne_u32_e32 0, v16
	s_xor_b32 s10, exec_lo, s10
; %bb.663:                              ;   in Loop: Header=BB4_129 Depth=2
	s_delay_alu instid0(VALU_DEP_2) | instskip(SKIP_2) | instid1(VALU_DEP_2)
	v_cmp_lt_u64_e32 vcc_lo, 0xffffff, v[38:39]
	v_add_nc_u32_e32 v3, 15, v17
	v_cndmask_b32_e64 v14, 0, 1, vcc_lo
	v_cndmask_b32_e32 v3, v16, v3, vcc_lo
	s_delay_alu instid0(VALU_DEP_2)
	v_lshrrev_b64 v[14:15], v14, v[38:39]
; %bb.664:                              ;   in Loop: Header=BB4_129 Depth=2
	s_and_not1_saveexec_b32 s10, s10
; %bb.665:                              ;   in Loop: Header=BB4_129 Depth=2
	v_mov_b64_e32 v[14:15], v[38:39]
	v_bfe_u32 v3, v38, 23, 1
; %bb.666:                              ;   in Loop: Header=BB4_129 Depth=2
	s_or_b32 exec_lo, exec_lo, s10
	s_delay_alu instid0(VALU_DEP_2) | instskip(NEXT) | instid1(VALU_DEP_2)
	v_lshrrev_b64 v[14:15], 21, v[14:15]
	v_cmp_gt_i32_e32 vcc_lo, 32, v3
	v_min_i32_e32 v16, 31, v3
	v_cmp_eq_u32_e64 s10, 0, v3
	s_delay_alu instid0(VALU_DEP_2) | instskip(SKIP_1) | instid1(VALU_DEP_2)
	v_dual_cndmask_b32 v14, 3, v14, vcc_lo :: v_dual_lshlrev_b32 v16, 2, v16
	v_cndmask_b32_e32 v15, 0, v15, vcc_lo
	v_and_b32_e32 v16, 0xfc, v16
	s_delay_alu instid0(VALU_DEP_2) | instskip(NEXT) | instid1(VALU_DEP_2)
	v_cmp_eq_u64_e32 vcc_lo, 0, v[14:15]
	v_and_or_b32 v3, v14, 3, v16
	s_and_b32 s10, s10, vcc_lo
	s_delay_alu instid0(VALU_DEP_1) | instid1(SALU_CYCLE_1)
	v_cndmask_b32_e64 v3, v3, 0, s10
	s_delay_alu instid0(VALU_DEP_1)
	v_or_b32_e32 v47, v3, v2
.LBB4_667:                              ;   in Loop: Header=BB4_129 Depth=2
	s_or_b32 exec_lo, exec_lo, s42
                                        ; implicit-def: $vgpr2
.LBB4_668:                              ;   in Loop: Header=BB4_129 Depth=2
	s_and_not1_saveexec_b32 s10, s41
; %bb.669:                              ;   in Loop: Header=BB4_129 Depth=2
	v_or_b32_e32 v47, 0x7b, v2
; %bb.670:                              ;   in Loop: Header=BB4_129 Depth=2
	s_or_b32 exec_lo, exec_lo, s10
                                        ; implicit-def: $vgpr3
                                        ; implicit-def: $vgpr2
.LBB4_671:                              ;   in Loop: Header=BB4_129 Depth=2
	s_and_not1_saveexec_b32 s10, s40
	s_cbranch_execz .LBB4_677
; %bb.672:                              ;   in Loop: Header=BB4_129 Depth=2
	s_mov_b32 s40, exec_lo
                                        ; implicit-def: $vgpr47
	v_cmpx_ne_u64_e32 0, v[38:39]
	s_xor_b32 s40, exec_lo, s40
; %bb.673:                              ;   in Loop: Header=BB4_129 Depth=2
	v_or_b32_e32 v47, 0x7f, v2
                                        ; implicit-def: $vgpr3
; %bb.674:                              ;   in Loop: Header=BB4_129 Depth=2
	s_and_not1_saveexec_b32 s40, s40
; %bb.675:                              ;   in Loop: Header=BB4_129 Depth=2
	v_cmp_lt_i32_e32 vcc_lo, -1, v3
	v_cndmask_b32_e32 v47, 0xfc, v122, vcc_lo
; %bb.676:                              ;   in Loop: Header=BB4_129 Depth=2
	s_or_b32 exec_lo, exec_lo, s40
.LBB4_677:                              ;   in Loop: Header=BB4_129 Depth=2
	s_delay_alu instid0(SALU_CYCLE_1) | instskip(SKIP_2) | instid1(VALU_DEP_1)
	s_or_b32 exec_lo, exec_lo, s10
	v_dual_mov_b32 v3, 0 :: v_dual_lshrrev_b32 v14, 16, v10
	s_mov_b32 s10, exec_lo
	v_and_b32_e32 v2, 0xff, v14
	s_delay_alu instid0(VALU_DEP_1)
	v_cmpx_ne_u16_e32 0, v2
	s_cbranch_execz .LBB4_687
; %bb.678:                              ;   in Loop: Header=BB4_129 Depth=2
	v_bfrev_b32_e32 v3, 1
	s_mov_b32 s40, exec_lo
	v_cmpx_ne_u16_e32 0x80, v2
	s_cbranch_execz .LBB4_686
; %bb.679:                              ;   in Loop: Header=BB4_129 Depth=2
	v_and_b32_e32 v3, 0x7c0000, v10
	v_bfe_u32 v2, v10, 16, 2
	s_delay_alu instid0(VALU_DEP_2) | instskip(SKIP_1) | instid1(SALU_CYCLE_1)
	v_cmp_ne_u32_e32 vcc_lo, 0x7c0000, v3
                                        ; implicit-def: $vgpr3
	s_and_saveexec_b32 s41, vcc_lo
	s_xor_b32 s41, exec_lo, s41
	s_cbranch_execz .LBB4_683
; %bb.680:                              ;   in Loop: Header=BB4_129 Depth=2
	v_bfe_u32 v3, v10, 18, 5
	s_mov_b32 s42, exec_lo
	s_delay_alu instid0(VALU_DEP_1)
	v_cmpx_eq_u32_e32 0, v3
; %bb.681:                              ;   in Loop: Header=BB4_129 Depth=2
	v_clz_i32_u32_e32 v2, v2
	s_delay_alu instid0(VALU_DEP_1) | instskip(NEXT) | instid1(VALU_DEP_1)
	v_min_u32_e32 v15, 32, v2
	v_subrev_nc_u32_e32 v2, 29, v15
	s_delay_alu instid0(VALU_DEP_1) | instskip(NEXT) | instid1(VALU_DEP_1)
	v_lshlrev_b64_e32 v[2:3], v2, v[14:15]
	v_dual_sub_nc_u32 v3, 30, v15 :: v_dual_bitop2_b32 v2, 3, v2 bitop3:0x40
; %bb.682:                              ;   in Loop: Header=BB4_129 Depth=2
	s_or_b32 exec_lo, exec_lo, s42
	v_lshlrev_b32_e32 v14, 24, v14
	s_delay_alu instid0(VALU_DEP_1) | instskip(NEXT) | instid1(VALU_DEP_1)
	v_and_b32_e32 v14, 0x80000000, v14
	v_lshl_add_u32 v3, v3, 23, v14
                                        ; implicit-def: $vgpr14
	s_delay_alu instid0(VALU_DEP_1) | instskip(NEXT) | instid1(VALU_DEP_1)
	v_lshl_or_b32 v2, v2, 21, v3
	v_add_nc_u32_e32 v3, 0x38000000, v2
                                        ; implicit-def: $vgpr2
.LBB4_683:                              ;   in Loop: Header=BB4_129 Depth=2
	s_and_not1_saveexec_b32 s41, s41
; %bb.684:                              ;   in Loop: Header=BB4_129 Depth=2
	v_bfe_i32 v3, v14, 0, 8
	s_delay_alu instid0(VALU_DEP_1) | instskip(SKIP_2) | instid1(VALU_DEP_2)
	v_cmp_lt_i16_e32 vcc_lo, -1, v3
	v_cndmask_b32_e32 v3, 0xff800000, v126, vcc_lo
	v_cmp_eq_u32_e32 vcc_lo, 0, v2
	v_cndmask_b32_e32 v3, 0x7f800001, v3, vcc_lo
; %bb.685:                              ;   in Loop: Header=BB4_129 Depth=2
	s_or_b32 exec_lo, exec_lo, s41
.LBB4_686:                              ;   in Loop: Header=BB4_129 Depth=2
	s_delay_alu instid0(SALU_CYCLE_1)
	s_or_b32 exec_lo, exec_lo, s40
.LBB4_687:                              ;   in Loop: Header=BB4_129 Depth=2
	s_delay_alu instid0(SALU_CYCLE_1) | instskip(NEXT) | instid1(VALU_DEP_1)
	s_or_b32 exec_lo, exec_lo, s10
	v_dual_mul_f32 v3, s29, v3 :: v_dual_mov_b32 v15, v39
                                        ; implicit-def: $vgpr57
	s_mov_b32 s10, exec_lo
	s_delay_alu instid0(VALU_DEP_1) | instskip(SKIP_2) | instid1(VALU_DEP_3)
	v_and_b32_e32 v14, 0x7f800000, v3
	v_and_b32_e32 v38, 0x7fffff, v3
	v_lshrrev_b32_e32 v2, 24, v3
	v_cmpx_ne_u64_e32 0x7f800000, v[14:15]
	s_xor_b32 s40, exec_lo, s10
	s_cbranch_execz .LBB4_701
; %bb.688:                              ;   in Loop: Header=BB4_129 Depth=2
	v_and_b32_e32 v14, 0x7fffffff, v3
	v_mov_b32_e32 v15, v39
	v_and_b32_e32 v2, 0x80, v2
                                        ; implicit-def: $vgpr57
	s_mov_b32 s10, exec_lo
	s_delay_alu instid0(VALU_DEP_2)
	v_cmpx_gt_u64_e32 0x47600001, v[14:15]
	s_xor_b32 s41, exec_lo, s10
	s_cbranch_execz .LBB4_698
; %bb.689:                              ;   in Loop: Header=BB4_129 Depth=2
	v_mov_b32_e32 v57, 0
	s_mov_b32 s42, exec_lo
	v_cmpx_ne_u32_e32 0, v3
	s_cbranch_execz .LBB4_697
; %bb.690:                              ;   in Loop: Header=BB4_129 Depth=2
	v_bfe_u32 v3, v3, 23, 8
	v_or_b32_e32 v16, 0x800000, v38
	s_mov_b32 s43, exec_lo
	s_delay_alu instid0(VALU_DEP_2) | instskip(SKIP_1) | instid1(VALU_DEP_2)
	v_dual_mov_b32 v17, v39 :: v_dual_sub_nc_u32 v14, 0x71, v3
	v_cmp_gt_u32_e32 vcc_lo, 0x72, v3
	v_cndmask_b32_e32 v14, 0, v14, vcc_lo
	v_cmp_eq_u32_e32 vcc_lo, 0, v3
	s_delay_alu instid0(VALU_DEP_2) | instskip(NEXT) | instid1(VALU_DEP_1)
	v_cndmask_b32_e64 v20, v14, 0x70, vcc_lo
	v_dual_cndmask_b32 v16, v16, v38, vcc_lo :: v_dual_add_nc_u32 v14, 21, v20
	v_add_nc_u32_e32 v21, 20, v20
	s_delay_alu instid0(VALU_DEP_2) | instskip(NEXT) | instid1(VALU_DEP_2)
	v_lshlrev_b64_e64 v[14:15], v14, -1
	v_lshlrev_b64_e64 v[24:25], v21, 1
	s_delay_alu instid0(VALU_DEP_2) | instskip(NEXT) | instid1(VALU_DEP_3)
	v_bfi_b32 v103, v15, 0, 0
	v_bfi_b32 v102, v14, 0, v16
	v_lshrrev_b64 v[14:15], v20, v[16:17]
	s_delay_alu instid0(VALU_DEP_1) | instskip(NEXT) | instid1(VALU_DEP_3)
	v_mov_b64_e32 v[16:17], v[14:15]
	v_cmpx_eq_u64_e64 v[102:103], v[24:25]
; %bb.691:                              ;   in Loop: Header=BB4_129 Depth=2
	v_bfe_u32 v16, v14, 21, 1
	v_mov_b32_e32 v17, v39
	s_delay_alu instid0(VALU_DEP_1) | instskip(NEXT) | instid1(VALU_DEP_1)
	v_add_nc_u64_e32 v[16:17], v[14:15], v[16:17]
	v_add_nc_u64_e32 v[16:17], -1, v[16:17]
; %bb.692:                              ;   in Loop: Header=BB4_129 Depth=2
	s_or_b32 exec_lo, exec_lo, s43
	v_add_nc_u32_e32 v3, 0xffffff81, v3
	v_lshrrev_b32_e32 v15, 23, v14
	s_mov_b32 s10, exec_lo
	s_delay_alu instid0(VALU_DEP_2) | instskip(NEXT) | instid1(VALU_DEP_1)
	v_cndmask_b32_e64 v3, v3, 0xffffff82, vcc_lo
	v_add3_u32 v17, v20, v3, v15
	v_and_b32_e32 v3, 0x1fffff, v16
	s_delay_alu instid0(VALU_DEP_1) | instskip(NEXT) | instid1(VALU_DEP_1)
	v_dual_add_nc_u32 v16, 14, v17 :: v_dual_add_nc_u32 v38, v3, v14
                                        ; implicit-def: $vgpr14_vgpr15
                                        ; implicit-def: $vgpr3
	v_cmpx_ne_u32_e32 0, v16
	s_xor_b32 s10, exec_lo, s10
; %bb.693:                              ;   in Loop: Header=BB4_129 Depth=2
	s_delay_alu instid0(VALU_DEP_2) | instskip(SKIP_2) | instid1(VALU_DEP_2)
	v_cmp_lt_u64_e32 vcc_lo, 0xffffff, v[38:39]
	v_add_nc_u32_e32 v3, 15, v17
	v_cndmask_b32_e64 v14, 0, 1, vcc_lo
	v_cndmask_b32_e32 v3, v16, v3, vcc_lo
	s_delay_alu instid0(VALU_DEP_2)
	v_lshrrev_b64 v[14:15], v14, v[38:39]
; %bb.694:                              ;   in Loop: Header=BB4_129 Depth=2
	s_and_not1_saveexec_b32 s10, s10
; %bb.695:                              ;   in Loop: Header=BB4_129 Depth=2
	v_mov_b64_e32 v[14:15], v[38:39]
	v_bfe_u32 v3, v38, 23, 1
; %bb.696:                              ;   in Loop: Header=BB4_129 Depth=2
	s_or_b32 exec_lo, exec_lo, s10
	s_delay_alu instid0(VALU_DEP_2) | instskip(NEXT) | instid1(VALU_DEP_2)
	v_lshrrev_b64 v[14:15], 21, v[14:15]
	v_cmp_gt_i32_e32 vcc_lo, 32, v3
	v_min_i32_e32 v16, 31, v3
	v_cmp_eq_u32_e64 s10, 0, v3
	s_delay_alu instid0(VALU_DEP_2) | instskip(SKIP_1) | instid1(VALU_DEP_2)
	v_dual_cndmask_b32 v14, 3, v14, vcc_lo :: v_dual_lshlrev_b32 v16, 2, v16
	v_cndmask_b32_e32 v15, 0, v15, vcc_lo
	v_and_b32_e32 v16, 0xfc, v16
	s_delay_alu instid0(VALU_DEP_2) | instskip(NEXT) | instid1(VALU_DEP_2)
	v_cmp_eq_u64_e32 vcc_lo, 0, v[14:15]
	v_and_or_b32 v3, v14, 3, v16
	s_and_b32 s10, s10, vcc_lo
	s_delay_alu instid0(VALU_DEP_1) | instid1(SALU_CYCLE_1)
	v_cndmask_b32_e64 v3, v3, 0, s10
	s_delay_alu instid0(VALU_DEP_1)
	v_or_b32_e32 v57, v3, v2
.LBB4_697:                              ;   in Loop: Header=BB4_129 Depth=2
	s_or_b32 exec_lo, exec_lo, s42
                                        ; implicit-def: $vgpr2
.LBB4_698:                              ;   in Loop: Header=BB4_129 Depth=2
	s_and_not1_saveexec_b32 s10, s41
; %bb.699:                              ;   in Loop: Header=BB4_129 Depth=2
	v_or_b32_e32 v57, 0x7b, v2
; %bb.700:                              ;   in Loop: Header=BB4_129 Depth=2
	s_or_b32 exec_lo, exec_lo, s10
                                        ; implicit-def: $vgpr3
                                        ; implicit-def: $vgpr2
.LBB4_701:                              ;   in Loop: Header=BB4_129 Depth=2
	s_and_not1_saveexec_b32 s10, s40
	s_cbranch_execz .LBB4_707
; %bb.702:                              ;   in Loop: Header=BB4_129 Depth=2
	s_mov_b32 s40, exec_lo
                                        ; implicit-def: $vgpr57
	v_cmpx_ne_u64_e32 0, v[38:39]
	s_xor_b32 s40, exec_lo, s40
; %bb.703:                              ;   in Loop: Header=BB4_129 Depth=2
	v_or_b32_e32 v57, 0x7f, v2
                                        ; implicit-def: $vgpr3
; %bb.704:                              ;   in Loop: Header=BB4_129 Depth=2
	s_and_not1_saveexec_b32 s40, s40
; %bb.705:                              ;   in Loop: Header=BB4_129 Depth=2
	v_cmp_lt_i32_e32 vcc_lo, -1, v3
	v_cndmask_b32_e32 v57, 0xfc, v122, vcc_lo
; %bb.706:                              ;   in Loop: Header=BB4_129 Depth=2
	s_or_b32 exec_lo, exec_lo, s40
.LBB4_707:                              ;   in Loop: Header=BB4_129 Depth=2
	s_delay_alu instid0(SALU_CYCLE_1)
	s_or_b32 exec_lo, exec_lo, s10
	v_mov_b32_e32 v2, 0
	s_mov_b32 s10, exec_lo
	v_cmpx_lt_u32_e32 0xffffff, v10
	s_cbranch_execz .LBB4_717
; %bb.708:                              ;   in Loop: Header=BB4_129 Depth=2
	v_lshrrev_b32_e32 v14, 24, v10
	v_bfrev_b32_e32 v2, 1
	s_mov_b32 s40, exec_lo
	s_delay_alu instid0(VALU_DEP_2)
	v_cmpx_ne_u32_e32 0x80, v14
	s_cbranch_execz .LBB4_716
; %bb.709:                              ;   in Loop: Header=BB4_129 Depth=2
	v_and_b32_e32 v2, 0x7c000000, v10
	v_bfe_u32 v3, v10, 24, 2
	s_delay_alu instid0(VALU_DEP_2) | instskip(SKIP_1) | instid1(SALU_CYCLE_1)
	v_cmp_ne_u32_e32 vcc_lo, 0x7c000000, v2
                                        ; implicit-def: $vgpr2
	s_and_saveexec_b32 s41, vcc_lo
	s_xor_b32 s41, exec_lo, s41
	s_cbranch_execz .LBB4_713
; %bb.710:                              ;   in Loop: Header=BB4_129 Depth=2
	v_bfe_u32 v2, v10, 26, 5
	s_mov_b32 s42, exec_lo
	s_delay_alu instid0(VALU_DEP_1)
	v_cmpx_eq_u32_e32 0, v2
; %bb.711:                              ;   in Loop: Header=BB4_129 Depth=2
	v_clz_i32_u32_e32 v2, v3
	s_delay_alu instid0(VALU_DEP_1) | instskip(NEXT) | instid1(VALU_DEP_1)
	v_min_u32_e32 v2, 32, v2
	v_subrev_nc_u32_e32 v3, 29, v2
	v_sub_nc_u32_e32 v2, 30, v2
	s_delay_alu instid0(VALU_DEP_2) | instskip(NEXT) | instid1(VALU_DEP_1)
	v_lshlrev_b64_e32 v[14:15], v3, v[14:15]
	v_and_b32_e32 v3, 3, v14
; %bb.712:                              ;   in Loop: Header=BB4_129 Depth=2
	s_or_b32 exec_lo, exec_lo, s42
	v_and_b32_e32 v14, 0x80000000, v10
	s_delay_alu instid0(VALU_DEP_1) | instskip(NEXT) | instid1(VALU_DEP_1)
	v_lshl_add_u32 v2, v2, 23, v14
	v_lshl_or_b32 v2, v3, 21, v2
                                        ; implicit-def: $vgpr3
	s_delay_alu instid0(VALU_DEP_1)
	v_add_nc_u32_e32 v2, 0x38000000, v2
.LBB4_713:                              ;   in Loop: Header=BB4_129 Depth=2
	s_and_not1_saveexec_b32 s41, s41
; %bb.714:                              ;   in Loop: Header=BB4_129 Depth=2
	v_cmp_lt_i32_e32 vcc_lo, -1, v10
	v_cndmask_b32_e32 v2, 0xff800000, v126, vcc_lo
	v_cmp_eq_u32_e32 vcc_lo, 0, v3
	s_delay_alu instid0(VALU_DEP_2)
	v_cndmask_b32_e32 v2, 0x7f800001, v2, vcc_lo
; %bb.715:                              ;   in Loop: Header=BB4_129 Depth=2
	s_or_b32 exec_lo, exec_lo, s41
.LBB4_716:                              ;   in Loop: Header=BB4_129 Depth=2
	s_delay_alu instid0(SALU_CYCLE_1)
	s_or_b32 exec_lo, exec_lo, s40
.LBB4_717:                              ;   in Loop: Header=BB4_129 Depth=2
	s_delay_alu instid0(SALU_CYCLE_1) | instskip(NEXT) | instid1(VALU_DEP_1)
	s_or_b32 exec_lo, exec_lo, s10
	v_dual_mul_f32 v3, s29, v2 :: v_dual_mov_b32 v15, v39
                                        ; implicit-def: $vgpr61
	s_mov_b32 s10, exec_lo
	s_delay_alu instid0(VALU_DEP_1) | instskip(SKIP_2) | instid1(VALU_DEP_3)
	v_and_b32_e32 v14, 0x7f800000, v3
	v_and_b32_e32 v38, 0x7fffff, v3
	v_lshrrev_b32_e32 v2, 24, v3
	v_cmpx_ne_u64_e32 0x7f800000, v[14:15]
	s_xor_b32 s40, exec_lo, s10
	s_cbranch_execz .LBB4_731
; %bb.718:                              ;   in Loop: Header=BB4_129 Depth=2
	v_and_b32_e32 v14, 0x7fffffff, v3
	v_mov_b32_e32 v15, v39
	v_and_b32_e32 v2, 0x80, v2
                                        ; implicit-def: $vgpr61
	s_mov_b32 s10, exec_lo
	s_delay_alu instid0(VALU_DEP_2)
	v_cmpx_gt_u64_e32 0x47600001, v[14:15]
	s_xor_b32 s41, exec_lo, s10
	s_cbranch_execz .LBB4_728
; %bb.719:                              ;   in Loop: Header=BB4_129 Depth=2
	v_mov_b32_e32 v61, 0
	s_mov_b32 s42, exec_lo
	v_cmpx_ne_u32_e32 0, v3
	s_cbranch_execz .LBB4_727
; %bb.720:                              ;   in Loop: Header=BB4_129 Depth=2
	v_bfe_u32 v3, v3, 23, 8
	v_or_b32_e32 v16, 0x800000, v38
	s_mov_b32 s43, exec_lo
	s_delay_alu instid0(VALU_DEP_2) | instskip(SKIP_1) | instid1(VALU_DEP_2)
	v_dual_mov_b32 v17, v39 :: v_dual_sub_nc_u32 v14, 0x71, v3
	v_cmp_gt_u32_e32 vcc_lo, 0x72, v3
	v_cndmask_b32_e32 v14, 0, v14, vcc_lo
	v_cmp_eq_u32_e32 vcc_lo, 0, v3
	s_delay_alu instid0(VALU_DEP_2) | instskip(NEXT) | instid1(VALU_DEP_1)
	v_cndmask_b32_e64 v20, v14, 0x70, vcc_lo
	v_dual_cndmask_b32 v16, v16, v38, vcc_lo :: v_dual_add_nc_u32 v14, 21, v20
	v_add_nc_u32_e32 v21, 20, v20
	s_delay_alu instid0(VALU_DEP_2) | instskip(NEXT) | instid1(VALU_DEP_2)
	v_lshlrev_b64_e64 v[14:15], v14, -1
	v_lshlrev_b64_e64 v[24:25], v21, 1
	s_delay_alu instid0(VALU_DEP_2) | instskip(NEXT) | instid1(VALU_DEP_3)
	v_bfi_b32 v103, v15, 0, 0
	v_bfi_b32 v102, v14, 0, v16
	v_lshrrev_b64 v[14:15], v20, v[16:17]
	s_delay_alu instid0(VALU_DEP_1) | instskip(NEXT) | instid1(VALU_DEP_3)
	v_mov_b64_e32 v[16:17], v[14:15]
	v_cmpx_eq_u64_e64 v[102:103], v[24:25]
; %bb.721:                              ;   in Loop: Header=BB4_129 Depth=2
	v_bfe_u32 v16, v14, 21, 1
	v_mov_b32_e32 v17, v39
	s_delay_alu instid0(VALU_DEP_1) | instskip(NEXT) | instid1(VALU_DEP_1)
	v_add_nc_u64_e32 v[16:17], v[14:15], v[16:17]
	v_add_nc_u64_e32 v[16:17], -1, v[16:17]
; %bb.722:                              ;   in Loop: Header=BB4_129 Depth=2
	s_or_b32 exec_lo, exec_lo, s43
	v_add_nc_u32_e32 v3, 0xffffff81, v3
	v_lshrrev_b32_e32 v15, 23, v14
	s_mov_b32 s10, exec_lo
	s_delay_alu instid0(VALU_DEP_2) | instskip(NEXT) | instid1(VALU_DEP_1)
	v_cndmask_b32_e64 v3, v3, 0xffffff82, vcc_lo
	v_add3_u32 v17, v20, v3, v15
	v_and_b32_e32 v3, 0x1fffff, v16
	s_delay_alu instid0(VALU_DEP_1) | instskip(NEXT) | instid1(VALU_DEP_1)
	v_dual_add_nc_u32 v16, 14, v17 :: v_dual_add_nc_u32 v38, v3, v14
                                        ; implicit-def: $vgpr14_vgpr15
                                        ; implicit-def: $vgpr3
	v_cmpx_ne_u32_e32 0, v16
	s_xor_b32 s10, exec_lo, s10
; %bb.723:                              ;   in Loop: Header=BB4_129 Depth=2
	s_delay_alu instid0(VALU_DEP_2) | instskip(SKIP_2) | instid1(VALU_DEP_2)
	v_cmp_lt_u64_e32 vcc_lo, 0xffffff, v[38:39]
	v_add_nc_u32_e32 v3, 15, v17
	v_cndmask_b32_e64 v14, 0, 1, vcc_lo
	v_cndmask_b32_e32 v3, v16, v3, vcc_lo
	s_delay_alu instid0(VALU_DEP_2)
	v_lshrrev_b64 v[14:15], v14, v[38:39]
; %bb.724:                              ;   in Loop: Header=BB4_129 Depth=2
	s_and_not1_saveexec_b32 s10, s10
; %bb.725:                              ;   in Loop: Header=BB4_129 Depth=2
	v_mov_b64_e32 v[14:15], v[38:39]
	v_bfe_u32 v3, v38, 23, 1
; %bb.726:                              ;   in Loop: Header=BB4_129 Depth=2
	s_or_b32 exec_lo, exec_lo, s10
	s_delay_alu instid0(VALU_DEP_2) | instskip(NEXT) | instid1(VALU_DEP_2)
	v_lshrrev_b64 v[14:15], 21, v[14:15]
	v_cmp_gt_i32_e32 vcc_lo, 32, v3
	v_min_i32_e32 v16, 31, v3
	v_cmp_eq_u32_e64 s10, 0, v3
	s_delay_alu instid0(VALU_DEP_2) | instskip(SKIP_1) | instid1(VALU_DEP_2)
	v_dual_cndmask_b32 v14, 3, v14, vcc_lo :: v_dual_lshlrev_b32 v16, 2, v16
	v_cndmask_b32_e32 v15, 0, v15, vcc_lo
	v_and_b32_e32 v16, 0xfc, v16
	s_delay_alu instid0(VALU_DEP_2) | instskip(NEXT) | instid1(VALU_DEP_2)
	v_cmp_eq_u64_e32 vcc_lo, 0, v[14:15]
	v_and_or_b32 v3, v14, 3, v16
	s_and_b32 s10, s10, vcc_lo
	s_delay_alu instid0(VALU_DEP_1) | instid1(SALU_CYCLE_1)
	v_cndmask_b32_e64 v3, v3, 0, s10
	s_delay_alu instid0(VALU_DEP_1)
	v_or_b32_e32 v61, v3, v2
.LBB4_727:                              ;   in Loop: Header=BB4_129 Depth=2
	s_or_b32 exec_lo, exec_lo, s42
                                        ; implicit-def: $vgpr2
.LBB4_728:                              ;   in Loop: Header=BB4_129 Depth=2
	s_and_not1_saveexec_b32 s10, s41
; %bb.729:                              ;   in Loop: Header=BB4_129 Depth=2
	v_or_b32_e32 v61, 0x7b, v2
; %bb.730:                              ;   in Loop: Header=BB4_129 Depth=2
	s_or_b32 exec_lo, exec_lo, s10
                                        ; implicit-def: $vgpr3
                                        ; implicit-def: $vgpr2
.LBB4_731:                              ;   in Loop: Header=BB4_129 Depth=2
	s_and_not1_saveexec_b32 s10, s40
	s_cbranch_execz .LBB4_737
; %bb.732:                              ;   in Loop: Header=BB4_129 Depth=2
	s_mov_b32 s40, exec_lo
                                        ; implicit-def: $vgpr61
	v_cmpx_ne_u64_e32 0, v[38:39]
	s_xor_b32 s40, exec_lo, s40
; %bb.733:                              ;   in Loop: Header=BB4_129 Depth=2
	v_or_b32_e32 v61, 0x7f, v2
                                        ; implicit-def: $vgpr3
; %bb.734:                              ;   in Loop: Header=BB4_129 Depth=2
	s_and_not1_saveexec_b32 s40, s40
; %bb.735:                              ;   in Loop: Header=BB4_129 Depth=2
	v_cmp_lt_i32_e32 vcc_lo, -1, v3
	v_cndmask_b32_e32 v61, 0xfc, v122, vcc_lo
; %bb.736:                              ;   in Loop: Header=BB4_129 Depth=2
	s_or_b32 exec_lo, exec_lo, s40
.LBB4_737:                              ;   in Loop: Header=BB4_129 Depth=2
	s_delay_alu instid0(SALU_CYCLE_1) | instskip(SKIP_3) | instid1(VALU_DEP_2)
	s_or_b32 exec_lo, exec_lo, s10
	v_and_b32_e32 v2, 0xff, v11
	v_dual_mov_b32 v38, v11 :: v_dual_mov_b32 v3, 0
	s_mov_b32 s10, exec_lo
	v_cmpx_ne_u16_e32 0, v2
	s_cbranch_execz .LBB4_747
; %bb.738:                              ;   in Loop: Header=BB4_129 Depth=2
	v_bfrev_b32_e32 v3, 1
	s_mov_b32 s40, exec_lo
	v_cmpx_ne_u16_e32 0x80, v2
	s_cbranch_execz .LBB4_746
; %bb.739:                              ;   in Loop: Header=BB4_129 Depth=2
	v_and_b32_e32 v3, 0x7c, v11
	v_and_b32_e32 v2, 3, v11
	s_delay_alu instid0(VALU_DEP_2) | instskip(SKIP_1) | instid1(SALU_CYCLE_1)
	v_cmp_ne_u32_e32 vcc_lo, 0x7c, v3
                                        ; implicit-def: $vgpr3
	s_and_saveexec_b32 s41, vcc_lo
	s_xor_b32 s41, exec_lo, s41
	s_cbranch_execz .LBB4_743
; %bb.740:                              ;   in Loop: Header=BB4_129 Depth=2
	v_bfe_u32 v3, v11, 2, 5
	s_mov_b32 s42, exec_lo
	s_delay_alu instid0(VALU_DEP_1)
	v_cmpx_eq_u32_e32 0, v3
; %bb.741:                              ;   in Loop: Header=BB4_129 Depth=2
	v_clz_i32_u32_e32 v2, v2
	s_delay_alu instid0(VALU_DEP_1) | instskip(NEXT) | instid1(VALU_DEP_1)
	v_min_u32_e32 v14, 32, v2
	v_subrev_nc_u32_e32 v2, 29, v14
	s_delay_alu instid0(VALU_DEP_1) | instskip(SKIP_1) | instid1(VALU_DEP_2)
	v_lshlrev_b64_e32 v[2:3], v2, v[38:39]
	v_sub_nc_u32_e32 v3, 30, v14
	v_and_b32_e32 v2, 3, v2
; %bb.742:                              ;   in Loop: Header=BB4_129 Depth=2
	s_or_b32 exec_lo, exec_lo, s42
	v_lshlrev_b32_e32 v14, 24, v11
	s_delay_alu instid0(VALU_DEP_1) | instskip(NEXT) | instid1(VALU_DEP_1)
	v_and_b32_e32 v14, 0x80000000, v14
	v_lshl_add_u32 v3, v3, 23, v14
	s_delay_alu instid0(VALU_DEP_1) | instskip(NEXT) | instid1(VALU_DEP_1)
	v_lshl_or_b32 v2, v2, 21, v3
	v_add_nc_u32_e32 v3, 0x38000000, v2
                                        ; implicit-def: $vgpr2
.LBB4_743:                              ;   in Loop: Header=BB4_129 Depth=2
	s_and_not1_saveexec_b32 s41, s41
; %bb.744:                              ;   in Loop: Header=BB4_129 Depth=2
	v_bfe_i32 v3, v11, 0, 8
	s_delay_alu instid0(VALU_DEP_1) | instskip(SKIP_2) | instid1(VALU_DEP_2)
	v_cmp_lt_i16_e32 vcc_lo, -1, v3
	v_cndmask_b32_e32 v3, 0xff800000, v126, vcc_lo
	v_cmp_eq_u32_e32 vcc_lo, 0, v2
	v_cndmask_b32_e32 v3, 0x7f800001, v3, vcc_lo
; %bb.745:                              ;   in Loop: Header=BB4_129 Depth=2
	s_or_b32 exec_lo, exec_lo, s41
.LBB4_746:                              ;   in Loop: Header=BB4_129 Depth=2
	s_delay_alu instid0(SALU_CYCLE_1)
	s_or_b32 exec_lo, exec_lo, s40
.LBB4_747:                              ;   in Loop: Header=BB4_129 Depth=2
	s_delay_alu instid0(SALU_CYCLE_1) | instskip(NEXT) | instid1(VALU_DEP_1)
	s_or_b32 exec_lo, exec_lo, s10
	v_dual_mul_f32 v3, s29, v3 :: v_dual_mov_b32 v17, v39
	v_mov_b32_e32 v15, v39
                                        ; implicit-def: $vgpr116
	s_mov_b32 s10, exec_lo
	s_delay_alu instid0(VALU_DEP_2) | instskip(SKIP_2) | instid1(VALU_DEP_3)
	v_and_b32_e32 v16, 0x7f800000, v3
	v_and_b32_e32 v14, 0x7fffff, v3
	v_lshrrev_b32_e32 v2, 24, v3
	v_cmpx_ne_u64_e32 0x7f800000, v[16:17]
	s_xor_b32 s40, exec_lo, s10
	s_cbranch_execz .LBB4_761
; %bb.748:                              ;   in Loop: Header=BB4_129 Depth=2
	v_and_b32_e32 v16, 0x7fffffff, v3
	v_mov_b32_e32 v17, v39
	v_and_b32_e32 v2, 0x80, v2
                                        ; implicit-def: $vgpr116
	s_mov_b32 s10, exec_lo
	s_delay_alu instid0(VALU_DEP_2)
	v_cmpx_gt_u64_e32 0x47600001, v[16:17]
	s_xor_b32 s41, exec_lo, s10
	s_cbranch_execz .LBB4_758
; %bb.749:                              ;   in Loop: Header=BB4_129 Depth=2
	v_mov_b32_e32 v116, 0
	s_mov_b32 s42, exec_lo
	v_cmpx_ne_u32_e32 0, v3
	s_cbranch_execz .LBB4_757
; %bb.750:                              ;   in Loop: Header=BB4_129 Depth=2
	v_bfe_u32 v3, v3, 23, 8
	v_or_b32_e32 v21, 0x800000, v14
	s_delay_alu instid0(VALU_DEP_2) | instskip(SKIP_1) | instid1(VALU_DEP_2)
	v_sub_nc_u32_e32 v16, 0x71, v3
	v_cmp_gt_u32_e32 vcc_lo, 0x72, v3
	v_cndmask_b32_e32 v16, 0, v16, vcc_lo
	v_cmp_eq_u32_e32 vcc_lo, 0, v3
	v_cndmask_b32_e32 v14, v21, v14, vcc_lo
	s_delay_alu instid0(VALU_DEP_3) | instskip(NEXT) | instid1(VALU_DEP_1)
	v_cndmask_b32_e64 v20, v16, 0x70, vcc_lo
	v_dual_add_nc_u32 v16, 21, v20 :: v_dual_add_nc_u32 v24, 20, v20
	s_delay_alu instid0(VALU_DEP_1) | instskip(NEXT) | instid1(VALU_DEP_2)
	v_lshlrev_b64_e64 v[16:17], v16, -1
	v_lshlrev_b64_e64 v[24:25], v24, 1
	s_delay_alu instid0(VALU_DEP_2) | instskip(SKIP_1) | instid1(VALU_DEP_4)
	v_bfi_b32 v16, v16, 0, v14
	v_lshrrev_b64 v[14:15], v20, v[14:15]
	v_bfi_b32 v17, v17, 0, 0
	s_delay_alu instid0(VALU_DEP_1) | instskip(NEXT) | instid1(VALU_DEP_3)
	v_cmp_eq_u64_e64 s10, v[16:17], v[24:25]
	v_mov_b64_e32 v[16:17], v[14:15]
	s_and_saveexec_b32 s43, s10
; %bb.751:                              ;   in Loop: Header=BB4_129 Depth=2
	v_bfe_u32 v16, v14, 21, 1
	v_mov_b32_e32 v17, v39
	s_delay_alu instid0(VALU_DEP_1) | instskip(NEXT) | instid1(VALU_DEP_1)
	v_add_nc_u64_e32 v[16:17], v[14:15], v[16:17]
	v_add_nc_u64_e32 v[16:17], -1, v[16:17]
; %bb.752:                              ;   in Loop: Header=BB4_129 Depth=2
	s_or_b32 exec_lo, exec_lo, s43
	v_add_nc_u32_e32 v3, 0xffffff81, v3
	v_lshrrev_b32_e32 v15, 23, v14
	s_mov_b32 s10, exec_lo
	s_delay_alu instid0(VALU_DEP_2) | instskip(NEXT) | instid1(VALU_DEP_1)
	v_cndmask_b32_e64 v3, v3, 0xffffff82, vcc_lo
	v_add3_u32 v17, v20, v3, v15
	v_and_b32_e32 v3, 0x1fffff, v16
	s_delay_alu instid0(VALU_DEP_2) | instskip(NEXT) | instid1(VALU_DEP_2)
	v_dual_mov_b32 v15, v39 :: v_dual_add_nc_u32 v16, 14, v17
	v_add_nc_u32_e32 v14, v3, v14
                                        ; implicit-def: $vgpr3
	s_delay_alu instid0(VALU_DEP_2)
	v_cmpx_ne_u32_e32 0, v16
	s_xor_b32 s10, exec_lo, s10
; %bb.753:                              ;   in Loop: Header=BB4_129 Depth=2
	s_delay_alu instid0(VALU_DEP_2) | instskip(SKIP_1) | instid1(VALU_DEP_1)
	v_cmp_lt_u64_e32 vcc_lo, 0xffffff, v[14:15]
	v_add_nc_u32_e32 v3, 15, v17
	v_cndmask_b32_e32 v3, v16, v3, vcc_lo
	v_cndmask_b32_e64 v16, 0, 1, vcc_lo
	s_delay_alu instid0(VALU_DEP_1)
	v_lshrrev_b64 v[14:15], v16, v[14:15]
; %bb.754:                              ;   in Loop: Header=BB4_129 Depth=2
	s_and_not1_saveexec_b32 s10, s10
; %bb.755:                              ;   in Loop: Header=BB4_129 Depth=2
	s_delay_alu instid0(VALU_DEP_1)
	v_bfe_u32 v3, v14, 23, 1
; %bb.756:                              ;   in Loop: Header=BB4_129 Depth=2
	s_or_b32 exec_lo, exec_lo, s10
	s_delay_alu instid0(VALU_DEP_2) | instskip(NEXT) | instid1(VALU_DEP_2)
	v_lshrrev_b64 v[14:15], 21, v[14:15]
	v_cmp_gt_i32_e32 vcc_lo, 32, v3
	v_min_i32_e32 v16, 31, v3
	v_cmp_eq_u32_e64 s10, 0, v3
	s_delay_alu instid0(VALU_DEP_2) | instskip(SKIP_1) | instid1(VALU_DEP_2)
	v_dual_cndmask_b32 v14, 3, v14, vcc_lo :: v_dual_lshlrev_b32 v16, 2, v16
	v_cndmask_b32_e32 v15, 0, v15, vcc_lo
	v_and_b32_e32 v16, 0xfc, v16
	s_delay_alu instid0(VALU_DEP_2) | instskip(NEXT) | instid1(VALU_DEP_2)
	v_cmp_eq_u64_e32 vcc_lo, 0, v[14:15]
	v_and_or_b32 v3, v14, 3, v16
	s_and_b32 s10, s10, vcc_lo
	s_delay_alu instid0(VALU_DEP_1) | instid1(SALU_CYCLE_1)
	v_cndmask_b32_e64 v3, v3, 0, s10
	s_delay_alu instid0(VALU_DEP_1)
	v_or_b32_e32 v116, v3, v2
.LBB4_757:                              ;   in Loop: Header=BB4_129 Depth=2
	s_or_b32 exec_lo, exec_lo, s42
                                        ; implicit-def: $vgpr2
.LBB4_758:                              ;   in Loop: Header=BB4_129 Depth=2
	s_and_not1_saveexec_b32 s10, s41
; %bb.759:                              ;   in Loop: Header=BB4_129 Depth=2
	v_or_b32_e32 v116, 0x7b, v2
; %bb.760:                              ;   in Loop: Header=BB4_129 Depth=2
	s_or_b32 exec_lo, exec_lo, s10
                                        ; implicit-def: $vgpr3
                                        ; implicit-def: $vgpr14_vgpr15
                                        ; implicit-def: $vgpr2
.LBB4_761:                              ;   in Loop: Header=BB4_129 Depth=2
	s_and_not1_saveexec_b32 s10, s40
	s_cbranch_execz .LBB4_767
; %bb.762:                              ;   in Loop: Header=BB4_129 Depth=2
	s_mov_b32 s40, exec_lo
                                        ; implicit-def: $vgpr116
	v_cmpx_ne_u64_e32 0, v[14:15]
	s_xor_b32 s40, exec_lo, s40
; %bb.763:                              ;   in Loop: Header=BB4_129 Depth=2
	v_or_b32_e32 v116, 0x7f, v2
                                        ; implicit-def: $vgpr3
; %bb.764:                              ;   in Loop: Header=BB4_129 Depth=2
	s_and_not1_saveexec_b32 s40, s40
; %bb.765:                              ;   in Loop: Header=BB4_129 Depth=2
	v_cmp_lt_i32_e32 vcc_lo, -1, v3
	v_cndmask_b32_e32 v116, 0xfc, v122, vcc_lo
; %bb.766:                              ;   in Loop: Header=BB4_129 Depth=2
	s_or_b32 exec_lo, exec_lo, s40
.LBB4_767:                              ;   in Loop: Header=BB4_129 Depth=2
	s_delay_alu instid0(SALU_CYCLE_1) | instskip(SKIP_3) | instid1(VALU_DEP_2)
	s_or_b32 exec_lo, exec_lo, s10
	v_lshrrev_b16 v14, 8, v38
	v_mov_b32_e32 v3, 0
	s_mov_b32 s10, exec_lo
	v_cmpx_ne_u16_e32 0, v14
	s_cbranch_execz .LBB4_777
; %bb.768:                              ;   in Loop: Header=BB4_129 Depth=2
	v_bfrev_b32_e32 v3, 1
	s_mov_b32 s40, exec_lo
	v_cmpx_ne_u16_e32 0x80, v14
	s_cbranch_execz .LBB4_776
; %bb.769:                              ;   in Loop: Header=BB4_129 Depth=2
	v_and_b32_e32 v15, 0xffff, v14
	s_delay_alu instid0(VALU_DEP_1) | instskip(SKIP_1) | instid1(VALU_DEP_2)
	v_and_b32_e32 v3, 0x7c, v15
	v_and_b32_e32 v2, 3, v15
	v_cmp_ne_u32_e32 vcc_lo, 0x7c, v3
                                        ; implicit-def: $vgpr3
	s_and_saveexec_b32 s41, vcc_lo
	s_delay_alu instid0(SALU_CYCLE_1)
	s_xor_b32 s41, exec_lo, s41
	s_cbranch_execz .LBB4_773
; %bb.770:                              ;   in Loop: Header=BB4_129 Depth=2
	v_bfe_u32 v3, v15, 2, 5
	s_mov_b32 s42, exec_lo
	s_delay_alu instid0(VALU_DEP_1)
	v_cmpx_eq_u32_e32 0, v3
; %bb.771:                              ;   in Loop: Header=BB4_129 Depth=2
	v_clz_i32_u32_e32 v2, v2
	s_delay_alu instid0(VALU_DEP_1) | instskip(SKIP_1) | instid1(VALU_DEP_2)
	v_min_u32_e32 v16, 32, v2
	v_mov_b32_e32 v15, v39
	v_subrev_nc_u32_e32 v2, 29, v16
	s_delay_alu instid0(VALU_DEP_1) | instskip(NEXT) | instid1(VALU_DEP_1)
	v_lshlrev_b64_e32 v[2:3], v2, v[14:15]
	v_dual_sub_nc_u32 v3, 30, v16 :: v_dual_bitop2_b32 v2, 3, v2 bitop3:0x40
; %bb.772:                              ;   in Loop: Header=BB4_129 Depth=2
	s_or_b32 exec_lo, exec_lo, s42
	v_lshlrev_b32_e32 v14, 16, v38
	s_delay_alu instid0(VALU_DEP_1) | instskip(NEXT) | instid1(VALU_DEP_1)
	v_and_b32_e32 v14, 0x80000000, v14
	v_lshl_add_u32 v3, v3, 23, v14
	s_delay_alu instid0(VALU_DEP_1) | instskip(NEXT) | instid1(VALU_DEP_1)
	v_lshl_or_b32 v2, v2, 21, v3
	v_add_nc_u32_e32 v3, 0x38000000, v2
                                        ; implicit-def: $vgpr2
.LBB4_773:                              ;   in Loop: Header=BB4_129 Depth=2
	s_and_not1_saveexec_b32 s41, s41
; %bb.774:                              ;   in Loop: Header=BB4_129 Depth=2
	v_cmp_lt_i16_e32 vcc_lo, -1, v38
	v_cndmask_b32_e32 v3, 0xff800000, v126, vcc_lo
	v_cmp_eq_u32_e32 vcc_lo, 0, v2
	s_delay_alu instid0(VALU_DEP_2)
	v_cndmask_b32_e32 v3, 0x7f800001, v3, vcc_lo
; %bb.775:                              ;   in Loop: Header=BB4_129 Depth=2
	s_or_b32 exec_lo, exec_lo, s41
.LBB4_776:                              ;   in Loop: Header=BB4_129 Depth=2
	s_delay_alu instid0(SALU_CYCLE_1)
	s_or_b32 exec_lo, exec_lo, s40
.LBB4_777:                              ;   in Loop: Header=BB4_129 Depth=2
	s_delay_alu instid0(SALU_CYCLE_1) | instskip(NEXT) | instid1(VALU_DEP_1)
	s_or_b32 exec_lo, exec_lo, s10
	v_dual_mul_f32 v3, s29, v3 :: v_dual_mov_b32 v15, v39
                                        ; implicit-def: $vgpr42
	s_mov_b32 s10, exec_lo
	s_delay_alu instid0(VALU_DEP_1) | instskip(SKIP_2) | instid1(VALU_DEP_3)
	v_and_b32_e32 v14, 0x7f800000, v3
	v_and_b32_e32 v38, 0x7fffff, v3
	v_lshrrev_b32_e32 v2, 24, v3
	v_cmpx_ne_u64_e32 0x7f800000, v[14:15]
	s_xor_b32 s40, exec_lo, s10
	s_cbranch_execz .LBB4_791
; %bb.778:                              ;   in Loop: Header=BB4_129 Depth=2
	v_and_b32_e32 v14, 0x7fffffff, v3
	v_mov_b32_e32 v15, v39
	v_and_b32_e32 v2, 0x80, v2
                                        ; implicit-def: $vgpr42
	s_mov_b32 s10, exec_lo
	s_delay_alu instid0(VALU_DEP_2)
	v_cmpx_gt_u64_e32 0x47600001, v[14:15]
	s_xor_b32 s41, exec_lo, s10
	s_cbranch_execz .LBB4_788
; %bb.779:                              ;   in Loop: Header=BB4_129 Depth=2
	v_mov_b32_e32 v42, 0
	s_mov_b32 s42, exec_lo
	v_cmpx_ne_u32_e32 0, v3
	s_cbranch_execz .LBB4_787
; %bb.780:                              ;   in Loop: Header=BB4_129 Depth=2
	v_bfe_u32 v3, v3, 23, 8
	v_or_b32_e32 v16, 0x800000, v38
	s_mov_b32 s43, exec_lo
	s_delay_alu instid0(VALU_DEP_2) | instskip(SKIP_1) | instid1(VALU_DEP_2)
	v_dual_mov_b32 v17, v39 :: v_dual_sub_nc_u32 v14, 0x71, v3
	v_cmp_gt_u32_e32 vcc_lo, 0x72, v3
	v_cndmask_b32_e32 v14, 0, v14, vcc_lo
	v_cmp_eq_u32_e32 vcc_lo, 0, v3
	s_delay_alu instid0(VALU_DEP_2) | instskip(NEXT) | instid1(VALU_DEP_1)
	v_cndmask_b32_e64 v20, v14, 0x70, vcc_lo
	v_dual_cndmask_b32 v16, v16, v38, vcc_lo :: v_dual_add_nc_u32 v14, 21, v20
	v_add_nc_u32_e32 v21, 20, v20
	s_delay_alu instid0(VALU_DEP_2) | instskip(NEXT) | instid1(VALU_DEP_2)
	v_lshlrev_b64_e64 v[14:15], v14, -1
	v_lshlrev_b64_e64 v[24:25], v21, 1
	s_delay_alu instid0(VALU_DEP_2) | instskip(NEXT) | instid1(VALU_DEP_3)
	v_bfi_b32 v103, v15, 0, 0
	v_bfi_b32 v102, v14, 0, v16
	v_lshrrev_b64 v[14:15], v20, v[16:17]
	s_delay_alu instid0(VALU_DEP_1) | instskip(NEXT) | instid1(VALU_DEP_3)
	v_mov_b64_e32 v[16:17], v[14:15]
	v_cmpx_eq_u64_e64 v[102:103], v[24:25]
; %bb.781:                              ;   in Loop: Header=BB4_129 Depth=2
	v_bfe_u32 v16, v14, 21, 1
	v_mov_b32_e32 v17, v39
	s_delay_alu instid0(VALU_DEP_1) | instskip(NEXT) | instid1(VALU_DEP_1)
	v_add_nc_u64_e32 v[16:17], v[14:15], v[16:17]
	v_add_nc_u64_e32 v[16:17], -1, v[16:17]
; %bb.782:                              ;   in Loop: Header=BB4_129 Depth=2
	s_or_b32 exec_lo, exec_lo, s43
	v_add_nc_u32_e32 v3, 0xffffff81, v3
	v_lshrrev_b32_e32 v15, 23, v14
	s_mov_b32 s10, exec_lo
	s_delay_alu instid0(VALU_DEP_2) | instskip(NEXT) | instid1(VALU_DEP_1)
	v_cndmask_b32_e64 v3, v3, 0xffffff82, vcc_lo
	v_add3_u32 v17, v20, v3, v15
	v_and_b32_e32 v3, 0x1fffff, v16
	s_delay_alu instid0(VALU_DEP_1) | instskip(NEXT) | instid1(VALU_DEP_1)
	v_dual_add_nc_u32 v16, 14, v17 :: v_dual_add_nc_u32 v38, v3, v14
                                        ; implicit-def: $vgpr14_vgpr15
                                        ; implicit-def: $vgpr3
	v_cmpx_ne_u32_e32 0, v16
	s_xor_b32 s10, exec_lo, s10
; %bb.783:                              ;   in Loop: Header=BB4_129 Depth=2
	s_delay_alu instid0(VALU_DEP_2) | instskip(SKIP_2) | instid1(VALU_DEP_2)
	v_cmp_lt_u64_e32 vcc_lo, 0xffffff, v[38:39]
	v_add_nc_u32_e32 v3, 15, v17
	v_cndmask_b32_e64 v14, 0, 1, vcc_lo
	v_cndmask_b32_e32 v3, v16, v3, vcc_lo
	s_delay_alu instid0(VALU_DEP_2)
	v_lshrrev_b64 v[14:15], v14, v[38:39]
; %bb.784:                              ;   in Loop: Header=BB4_129 Depth=2
	s_and_not1_saveexec_b32 s10, s10
; %bb.785:                              ;   in Loop: Header=BB4_129 Depth=2
	v_mov_b64_e32 v[14:15], v[38:39]
	v_bfe_u32 v3, v38, 23, 1
; %bb.786:                              ;   in Loop: Header=BB4_129 Depth=2
	s_or_b32 exec_lo, exec_lo, s10
	s_delay_alu instid0(VALU_DEP_2) | instskip(NEXT) | instid1(VALU_DEP_2)
	v_lshrrev_b64 v[14:15], 21, v[14:15]
	v_cmp_gt_i32_e32 vcc_lo, 32, v3
	v_min_i32_e32 v16, 31, v3
	v_cmp_eq_u32_e64 s10, 0, v3
	s_delay_alu instid0(VALU_DEP_2) | instskip(SKIP_1) | instid1(VALU_DEP_2)
	v_dual_cndmask_b32 v14, 3, v14, vcc_lo :: v_dual_lshlrev_b32 v16, 2, v16
	v_cndmask_b32_e32 v15, 0, v15, vcc_lo
	v_and_b32_e32 v16, 0xfc, v16
	s_delay_alu instid0(VALU_DEP_2) | instskip(NEXT) | instid1(VALU_DEP_2)
	v_cmp_eq_u64_e32 vcc_lo, 0, v[14:15]
	v_and_or_b32 v3, v14, 3, v16
	s_and_b32 s10, s10, vcc_lo
	s_delay_alu instid0(VALU_DEP_1) | instid1(SALU_CYCLE_1)
	v_cndmask_b32_e64 v3, v3, 0, s10
	s_delay_alu instid0(VALU_DEP_1)
	v_or_b32_e32 v42, v3, v2
.LBB4_787:                              ;   in Loop: Header=BB4_129 Depth=2
	s_or_b32 exec_lo, exec_lo, s42
                                        ; implicit-def: $vgpr2
.LBB4_788:                              ;   in Loop: Header=BB4_129 Depth=2
	s_and_not1_saveexec_b32 s10, s41
; %bb.789:                              ;   in Loop: Header=BB4_129 Depth=2
	v_or_b32_e32 v42, 0x7b, v2
; %bb.790:                              ;   in Loop: Header=BB4_129 Depth=2
	s_or_b32 exec_lo, exec_lo, s10
                                        ; implicit-def: $vgpr3
                                        ; implicit-def: $vgpr2
.LBB4_791:                              ;   in Loop: Header=BB4_129 Depth=2
	s_and_not1_saveexec_b32 s10, s40
	s_cbranch_execz .LBB4_797
; %bb.792:                              ;   in Loop: Header=BB4_129 Depth=2
	s_mov_b32 s40, exec_lo
                                        ; implicit-def: $vgpr42
	v_cmpx_ne_u64_e32 0, v[38:39]
	s_xor_b32 s40, exec_lo, s40
; %bb.793:                              ;   in Loop: Header=BB4_129 Depth=2
	v_or_b32_e32 v42, 0x7f, v2
                                        ; implicit-def: $vgpr3
; %bb.794:                              ;   in Loop: Header=BB4_129 Depth=2
	s_and_not1_saveexec_b32 s40, s40
; %bb.795:                              ;   in Loop: Header=BB4_129 Depth=2
	v_cmp_lt_i32_e32 vcc_lo, -1, v3
	v_cndmask_b32_e32 v42, 0xfc, v122, vcc_lo
; %bb.796:                              ;   in Loop: Header=BB4_129 Depth=2
	s_or_b32 exec_lo, exec_lo, s40
.LBB4_797:                              ;   in Loop: Header=BB4_129 Depth=2
	s_delay_alu instid0(SALU_CYCLE_1) | instskip(SKIP_2) | instid1(VALU_DEP_1)
	s_or_b32 exec_lo, exec_lo, s10
	v_dual_mov_b32 v3, 0 :: v_dual_lshrrev_b32 v14, 16, v11
	s_mov_b32 s10, exec_lo
	v_and_b32_e32 v2, 0xff, v14
	s_delay_alu instid0(VALU_DEP_1)
	v_cmpx_ne_u16_e32 0, v2
	s_cbranch_execz .LBB4_807
; %bb.798:                              ;   in Loop: Header=BB4_129 Depth=2
	v_bfrev_b32_e32 v3, 1
	s_mov_b32 s40, exec_lo
	v_cmpx_ne_u16_e32 0x80, v2
	s_cbranch_execz .LBB4_806
; %bb.799:                              ;   in Loop: Header=BB4_129 Depth=2
	v_and_b32_e32 v3, 0x7c0000, v11
	v_bfe_u32 v2, v11, 16, 2
	s_delay_alu instid0(VALU_DEP_2) | instskip(SKIP_1) | instid1(SALU_CYCLE_1)
	v_cmp_ne_u32_e32 vcc_lo, 0x7c0000, v3
                                        ; implicit-def: $vgpr3
	s_and_saveexec_b32 s41, vcc_lo
	s_xor_b32 s41, exec_lo, s41
	s_cbranch_execz .LBB4_803
; %bb.800:                              ;   in Loop: Header=BB4_129 Depth=2
	v_bfe_u32 v3, v11, 18, 5
	s_mov_b32 s42, exec_lo
	s_delay_alu instid0(VALU_DEP_1)
	v_cmpx_eq_u32_e32 0, v3
; %bb.801:                              ;   in Loop: Header=BB4_129 Depth=2
	v_clz_i32_u32_e32 v2, v2
	s_delay_alu instid0(VALU_DEP_1) | instskip(NEXT) | instid1(VALU_DEP_1)
	v_min_u32_e32 v15, 32, v2
	v_subrev_nc_u32_e32 v2, 29, v15
	s_delay_alu instid0(VALU_DEP_1) | instskip(NEXT) | instid1(VALU_DEP_1)
	v_lshlrev_b64_e32 v[2:3], v2, v[14:15]
	v_dual_sub_nc_u32 v3, 30, v15 :: v_dual_bitop2_b32 v2, 3, v2 bitop3:0x40
; %bb.802:                              ;   in Loop: Header=BB4_129 Depth=2
	s_or_b32 exec_lo, exec_lo, s42
	v_lshlrev_b32_e32 v14, 24, v14
	s_delay_alu instid0(VALU_DEP_1) | instskip(NEXT) | instid1(VALU_DEP_1)
	v_and_b32_e32 v14, 0x80000000, v14
	v_lshl_add_u32 v3, v3, 23, v14
                                        ; implicit-def: $vgpr14
	s_delay_alu instid0(VALU_DEP_1) | instskip(NEXT) | instid1(VALU_DEP_1)
	v_lshl_or_b32 v2, v2, 21, v3
	v_add_nc_u32_e32 v3, 0x38000000, v2
                                        ; implicit-def: $vgpr2
.LBB4_803:                              ;   in Loop: Header=BB4_129 Depth=2
	s_and_not1_saveexec_b32 s41, s41
; %bb.804:                              ;   in Loop: Header=BB4_129 Depth=2
	v_bfe_i32 v3, v14, 0, 8
	s_delay_alu instid0(VALU_DEP_1) | instskip(SKIP_2) | instid1(VALU_DEP_2)
	v_cmp_lt_i16_e32 vcc_lo, -1, v3
	v_cndmask_b32_e32 v3, 0xff800000, v126, vcc_lo
	v_cmp_eq_u32_e32 vcc_lo, 0, v2
	v_cndmask_b32_e32 v3, 0x7f800001, v3, vcc_lo
; %bb.805:                              ;   in Loop: Header=BB4_129 Depth=2
	s_or_b32 exec_lo, exec_lo, s41
.LBB4_806:                              ;   in Loop: Header=BB4_129 Depth=2
	s_delay_alu instid0(SALU_CYCLE_1)
	s_or_b32 exec_lo, exec_lo, s40
.LBB4_807:                              ;   in Loop: Header=BB4_129 Depth=2
	s_delay_alu instid0(SALU_CYCLE_1) | instskip(NEXT) | instid1(VALU_DEP_1)
	s_or_b32 exec_lo, exec_lo, s10
	v_dual_mul_f32 v3, s29, v3 :: v_dual_mov_b32 v15, v39
                                        ; implicit-def: $vgpr44
	s_mov_b32 s10, exec_lo
	s_delay_alu instid0(VALU_DEP_1) | instskip(SKIP_2) | instid1(VALU_DEP_3)
	v_and_b32_e32 v14, 0x7f800000, v3
	v_and_b32_e32 v38, 0x7fffff, v3
	v_lshrrev_b32_e32 v2, 24, v3
	v_cmpx_ne_u64_e32 0x7f800000, v[14:15]
	s_xor_b32 s40, exec_lo, s10
	s_cbranch_execz .LBB4_821
; %bb.808:                              ;   in Loop: Header=BB4_129 Depth=2
	v_and_b32_e32 v14, 0x7fffffff, v3
	v_mov_b32_e32 v15, v39
	v_and_b32_e32 v2, 0x80, v2
                                        ; implicit-def: $vgpr44
	s_mov_b32 s10, exec_lo
	s_delay_alu instid0(VALU_DEP_2)
	v_cmpx_gt_u64_e32 0x47600001, v[14:15]
	s_xor_b32 s41, exec_lo, s10
	s_cbranch_execz .LBB4_818
; %bb.809:                              ;   in Loop: Header=BB4_129 Depth=2
	v_mov_b32_e32 v44, 0
	s_mov_b32 s42, exec_lo
	v_cmpx_ne_u32_e32 0, v3
	s_cbranch_execz .LBB4_817
; %bb.810:                              ;   in Loop: Header=BB4_129 Depth=2
	v_bfe_u32 v3, v3, 23, 8
	v_or_b32_e32 v16, 0x800000, v38
	s_mov_b32 s43, exec_lo
	s_delay_alu instid0(VALU_DEP_2) | instskip(SKIP_1) | instid1(VALU_DEP_2)
	v_dual_mov_b32 v17, v39 :: v_dual_sub_nc_u32 v14, 0x71, v3
	v_cmp_gt_u32_e32 vcc_lo, 0x72, v3
	v_cndmask_b32_e32 v14, 0, v14, vcc_lo
	v_cmp_eq_u32_e32 vcc_lo, 0, v3
	s_delay_alu instid0(VALU_DEP_2) | instskip(NEXT) | instid1(VALU_DEP_1)
	v_cndmask_b32_e64 v20, v14, 0x70, vcc_lo
	v_dual_cndmask_b32 v16, v16, v38, vcc_lo :: v_dual_add_nc_u32 v14, 21, v20
	v_add_nc_u32_e32 v21, 20, v20
	s_delay_alu instid0(VALU_DEP_2) | instskip(NEXT) | instid1(VALU_DEP_2)
	v_lshlrev_b64_e64 v[14:15], v14, -1
	v_lshlrev_b64_e64 v[24:25], v21, 1
	s_delay_alu instid0(VALU_DEP_2) | instskip(NEXT) | instid1(VALU_DEP_3)
	v_bfi_b32 v103, v15, 0, 0
	v_bfi_b32 v102, v14, 0, v16
	v_lshrrev_b64 v[14:15], v20, v[16:17]
	s_delay_alu instid0(VALU_DEP_1) | instskip(NEXT) | instid1(VALU_DEP_3)
	v_mov_b64_e32 v[16:17], v[14:15]
	v_cmpx_eq_u64_e64 v[102:103], v[24:25]
; %bb.811:                              ;   in Loop: Header=BB4_129 Depth=2
	v_bfe_u32 v16, v14, 21, 1
	v_mov_b32_e32 v17, v39
	s_delay_alu instid0(VALU_DEP_1) | instskip(NEXT) | instid1(VALU_DEP_1)
	v_add_nc_u64_e32 v[16:17], v[14:15], v[16:17]
	v_add_nc_u64_e32 v[16:17], -1, v[16:17]
; %bb.812:                              ;   in Loop: Header=BB4_129 Depth=2
	s_or_b32 exec_lo, exec_lo, s43
	v_add_nc_u32_e32 v3, 0xffffff81, v3
	v_lshrrev_b32_e32 v15, 23, v14
	s_mov_b32 s10, exec_lo
	s_delay_alu instid0(VALU_DEP_2) | instskip(NEXT) | instid1(VALU_DEP_1)
	v_cndmask_b32_e64 v3, v3, 0xffffff82, vcc_lo
	v_add3_u32 v17, v20, v3, v15
	v_and_b32_e32 v3, 0x1fffff, v16
	s_delay_alu instid0(VALU_DEP_1) | instskip(NEXT) | instid1(VALU_DEP_1)
	v_dual_add_nc_u32 v16, 14, v17 :: v_dual_add_nc_u32 v38, v3, v14
                                        ; implicit-def: $vgpr14_vgpr15
                                        ; implicit-def: $vgpr3
	v_cmpx_ne_u32_e32 0, v16
	s_xor_b32 s10, exec_lo, s10
; %bb.813:                              ;   in Loop: Header=BB4_129 Depth=2
	s_delay_alu instid0(VALU_DEP_2) | instskip(SKIP_2) | instid1(VALU_DEP_2)
	v_cmp_lt_u64_e32 vcc_lo, 0xffffff, v[38:39]
	v_add_nc_u32_e32 v3, 15, v17
	v_cndmask_b32_e64 v14, 0, 1, vcc_lo
	v_cndmask_b32_e32 v3, v16, v3, vcc_lo
	s_delay_alu instid0(VALU_DEP_2)
	v_lshrrev_b64 v[14:15], v14, v[38:39]
; %bb.814:                              ;   in Loop: Header=BB4_129 Depth=2
	s_and_not1_saveexec_b32 s10, s10
; %bb.815:                              ;   in Loop: Header=BB4_129 Depth=2
	v_mov_b64_e32 v[14:15], v[38:39]
	v_bfe_u32 v3, v38, 23, 1
; %bb.816:                              ;   in Loop: Header=BB4_129 Depth=2
	s_or_b32 exec_lo, exec_lo, s10
	s_delay_alu instid0(VALU_DEP_2) | instskip(NEXT) | instid1(VALU_DEP_2)
	v_lshrrev_b64 v[14:15], 21, v[14:15]
	v_cmp_gt_i32_e32 vcc_lo, 32, v3
	v_min_i32_e32 v16, 31, v3
	v_cmp_eq_u32_e64 s10, 0, v3
	s_delay_alu instid0(VALU_DEP_2) | instskip(SKIP_1) | instid1(VALU_DEP_2)
	v_dual_cndmask_b32 v14, 3, v14, vcc_lo :: v_dual_lshlrev_b32 v16, 2, v16
	v_cndmask_b32_e32 v15, 0, v15, vcc_lo
	v_and_b32_e32 v16, 0xfc, v16
	s_delay_alu instid0(VALU_DEP_2) | instskip(NEXT) | instid1(VALU_DEP_2)
	v_cmp_eq_u64_e32 vcc_lo, 0, v[14:15]
	v_and_or_b32 v3, v14, 3, v16
	s_and_b32 s10, s10, vcc_lo
	s_delay_alu instid0(VALU_DEP_1) | instid1(SALU_CYCLE_1)
	v_cndmask_b32_e64 v3, v3, 0, s10
	s_delay_alu instid0(VALU_DEP_1)
	v_or_b32_e32 v44, v3, v2
.LBB4_817:                              ;   in Loop: Header=BB4_129 Depth=2
	s_or_b32 exec_lo, exec_lo, s42
                                        ; implicit-def: $vgpr2
.LBB4_818:                              ;   in Loop: Header=BB4_129 Depth=2
	s_and_not1_saveexec_b32 s10, s41
; %bb.819:                              ;   in Loop: Header=BB4_129 Depth=2
	v_or_b32_e32 v44, 0x7b, v2
; %bb.820:                              ;   in Loop: Header=BB4_129 Depth=2
	s_or_b32 exec_lo, exec_lo, s10
                                        ; implicit-def: $vgpr3
                                        ; implicit-def: $vgpr2
.LBB4_821:                              ;   in Loop: Header=BB4_129 Depth=2
	s_and_not1_saveexec_b32 s10, s40
	s_cbranch_execz .LBB4_827
; %bb.822:                              ;   in Loop: Header=BB4_129 Depth=2
	s_mov_b32 s40, exec_lo
                                        ; implicit-def: $vgpr44
	v_cmpx_ne_u64_e32 0, v[38:39]
	s_xor_b32 s40, exec_lo, s40
; %bb.823:                              ;   in Loop: Header=BB4_129 Depth=2
	v_or_b32_e32 v44, 0x7f, v2
                                        ; implicit-def: $vgpr3
; %bb.824:                              ;   in Loop: Header=BB4_129 Depth=2
	s_and_not1_saveexec_b32 s40, s40
; %bb.825:                              ;   in Loop: Header=BB4_129 Depth=2
	v_cmp_lt_i32_e32 vcc_lo, -1, v3
	v_cndmask_b32_e32 v44, 0xfc, v122, vcc_lo
; %bb.826:                              ;   in Loop: Header=BB4_129 Depth=2
	s_or_b32 exec_lo, exec_lo, s40
.LBB4_827:                              ;   in Loop: Header=BB4_129 Depth=2
	s_delay_alu instid0(SALU_CYCLE_1)
	s_or_b32 exec_lo, exec_lo, s10
	v_mov_b32_e32 v2, 0
	s_mov_b32 s10, exec_lo
	v_cmpx_lt_u64_e64 s[12:13], v[10:11]
	s_cbranch_execz .LBB4_837
; %bb.828:                              ;   in Loop: Header=BB4_129 Depth=2
	v_lshrrev_b32_e32 v14, 24, v11
	v_bfrev_b32_e32 v2, 1
	s_mov_b32 s40, exec_lo
	s_delay_alu instid0(VALU_DEP_2)
	v_cmpx_ne_u32_e32 0x80, v14
	s_cbranch_execz .LBB4_836
; %bb.829:                              ;   in Loop: Header=BB4_129 Depth=2
	v_and_b32_e32 v2, 0x7c000000, v11
	v_bfe_u32 v3, v11, 24, 2
	s_delay_alu instid0(VALU_DEP_2) | instskip(SKIP_1) | instid1(SALU_CYCLE_1)
	v_cmp_ne_u32_e32 vcc_lo, 0x7c000000, v2
                                        ; implicit-def: $vgpr2
	s_and_saveexec_b32 s41, vcc_lo
	s_xor_b32 s41, exec_lo, s41
	s_cbranch_execz .LBB4_833
; %bb.830:                              ;   in Loop: Header=BB4_129 Depth=2
	v_bfe_u32 v2, v11, 26, 5
	s_mov_b32 s42, exec_lo
	s_delay_alu instid0(VALU_DEP_1)
	v_cmpx_eq_u32_e32 0, v2
; %bb.831:                              ;   in Loop: Header=BB4_129 Depth=2
	v_clz_i32_u32_e32 v2, v3
	s_delay_alu instid0(VALU_DEP_1) | instskip(NEXT) | instid1(VALU_DEP_1)
	v_min_u32_e32 v2, 32, v2
	v_subrev_nc_u32_e32 v3, 29, v2
	v_sub_nc_u32_e32 v2, 30, v2
	s_delay_alu instid0(VALU_DEP_2) | instskip(NEXT) | instid1(VALU_DEP_1)
	v_lshlrev_b64_e32 v[14:15], v3, v[14:15]
	v_and_b32_e32 v3, 3, v14
; %bb.832:                              ;   in Loop: Header=BB4_129 Depth=2
	s_or_b32 exec_lo, exec_lo, s42
	v_and_b32_e32 v14, 0x80000000, v11
	s_delay_alu instid0(VALU_DEP_1) | instskip(NEXT) | instid1(VALU_DEP_1)
	v_lshl_add_u32 v2, v2, 23, v14
	v_lshl_or_b32 v2, v3, 21, v2
                                        ; implicit-def: $vgpr3
	s_delay_alu instid0(VALU_DEP_1)
	v_add_nc_u32_e32 v2, 0x38000000, v2
.LBB4_833:                              ;   in Loop: Header=BB4_129 Depth=2
	s_and_not1_saveexec_b32 s41, s41
; %bb.834:                              ;   in Loop: Header=BB4_129 Depth=2
	v_cmp_lt_i64_e32 vcc_lo, -1, v[10:11]
	v_cndmask_b32_e32 v2, 0xff800000, v126, vcc_lo
	v_cmp_eq_u32_e32 vcc_lo, 0, v3
	s_delay_alu instid0(VALU_DEP_2)
	v_cndmask_b32_e32 v2, 0x7f800001, v2, vcc_lo
; %bb.835:                              ;   in Loop: Header=BB4_129 Depth=2
	s_or_b32 exec_lo, exec_lo, s41
.LBB4_836:                              ;   in Loop: Header=BB4_129 Depth=2
	s_delay_alu instid0(SALU_CYCLE_1)
	s_or_b32 exec_lo, exec_lo, s40
.LBB4_837:                              ;   in Loop: Header=BB4_129 Depth=2
	s_delay_alu instid0(SALU_CYCLE_1) | instskip(NEXT) | instid1(VALU_DEP_1)
	s_or_b32 exec_lo, exec_lo, s10
	v_dual_mul_f32 v3, s29, v2 :: v_dual_mov_b32 v11, v39
                                        ; implicit-def: $vgpr56
	s_mov_b32 s10, exec_lo
	s_delay_alu instid0(VALU_DEP_1) | instskip(SKIP_2) | instid1(VALU_DEP_3)
	v_and_b32_e32 v10, 0x7f800000, v3
	v_and_b32_e32 v38, 0x7fffff, v3
	v_lshrrev_b32_e32 v2, 24, v3
	v_cmpx_ne_u64_e32 0x7f800000, v[10:11]
	s_xor_b32 s40, exec_lo, s10
	s_cbranch_execz .LBB4_851
; %bb.838:                              ;   in Loop: Header=BB4_129 Depth=2
	v_and_b32_e32 v10, 0x7fffffff, v3
	v_mov_b32_e32 v11, v39
	v_and_b32_e32 v2, 0x80, v2
                                        ; implicit-def: $vgpr56
	s_mov_b32 s10, exec_lo
	s_delay_alu instid0(VALU_DEP_2)
	v_cmpx_gt_u64_e32 0x47600001, v[10:11]
	s_xor_b32 s41, exec_lo, s10
	s_cbranch_execz .LBB4_848
; %bb.839:                              ;   in Loop: Header=BB4_129 Depth=2
	v_mov_b32_e32 v56, 0
	s_mov_b32 s42, exec_lo
	v_cmpx_ne_u32_e32 0, v3
	s_cbranch_execz .LBB4_847
; %bb.840:                              ;   in Loop: Header=BB4_129 Depth=2
	v_bfe_u32 v3, v3, 23, 8
	v_or_b32_e32 v14, 0x800000, v38
	s_mov_b32 s43, exec_lo
	s_delay_alu instid0(VALU_DEP_2) | instskip(SKIP_1) | instid1(VALU_DEP_2)
	v_dual_mov_b32 v15, v39 :: v_dual_sub_nc_u32 v10, 0x71, v3
	v_cmp_gt_u32_e32 vcc_lo, 0x72, v3
	v_cndmask_b32_e32 v10, 0, v10, vcc_lo
	v_cmp_eq_u32_e32 vcc_lo, 0, v3
	s_delay_alu instid0(VALU_DEP_2) | instskip(NEXT) | instid1(VALU_DEP_1)
	v_cndmask_b32_e64 v16, v10, 0x70, vcc_lo
	v_dual_cndmask_b32 v14, v14, v38, vcc_lo :: v_dual_add_nc_u32 v10, 21, v16
	v_add_nc_u32_e32 v17, 20, v16
	s_delay_alu instid0(VALU_DEP_2) | instskip(NEXT) | instid1(VALU_DEP_2)
	v_lshlrev_b64_e64 v[10:11], v10, -1
	v_lshlrev_b64_e64 v[20:21], v17, 1
	s_delay_alu instid0(VALU_DEP_2) | instskip(NEXT) | instid1(VALU_DEP_3)
	v_bfi_b32 v25, v11, 0, 0
	v_bfi_b32 v24, v10, 0, v14
	v_lshrrev_b64 v[10:11], v16, v[14:15]
	s_delay_alu instid0(VALU_DEP_1) | instskip(NEXT) | instid1(VALU_DEP_3)
	v_mov_b64_e32 v[14:15], v[10:11]
	v_cmpx_eq_u64_e64 v[24:25], v[20:21]
; %bb.841:                              ;   in Loop: Header=BB4_129 Depth=2
	v_bfe_u32 v14, v10, 21, 1
	v_mov_b32_e32 v15, v39
	s_delay_alu instid0(VALU_DEP_1) | instskip(NEXT) | instid1(VALU_DEP_1)
	v_add_nc_u64_e32 v[14:15], v[10:11], v[14:15]
	v_add_nc_u64_e32 v[14:15], -1, v[14:15]
; %bb.842:                              ;   in Loop: Header=BB4_129 Depth=2
	s_or_b32 exec_lo, exec_lo, s43
	v_add_nc_u32_e32 v3, 0xffffff81, v3
	v_lshrrev_b32_e32 v11, 23, v10
	s_mov_b32 s10, exec_lo
	s_delay_alu instid0(VALU_DEP_2) | instskip(NEXT) | instid1(VALU_DEP_1)
	v_cndmask_b32_e64 v3, v3, 0xffffff82, vcc_lo
	v_add3_u32 v15, v16, v3, v11
	v_and_b32_e32 v3, 0x1fffff, v14
	s_delay_alu instid0(VALU_DEP_1) | instskip(NEXT) | instid1(VALU_DEP_1)
	v_dual_add_nc_u32 v14, 14, v15 :: v_dual_add_nc_u32 v38, v3, v10
                                        ; implicit-def: $vgpr10_vgpr11
                                        ; implicit-def: $vgpr3
	v_cmpx_ne_u32_e32 0, v14
	s_xor_b32 s10, exec_lo, s10
; %bb.843:                              ;   in Loop: Header=BB4_129 Depth=2
	s_delay_alu instid0(VALU_DEP_2) | instskip(SKIP_2) | instid1(VALU_DEP_2)
	v_cmp_lt_u64_e32 vcc_lo, 0xffffff, v[38:39]
	v_add_nc_u32_e32 v3, 15, v15
	v_cndmask_b32_e64 v10, 0, 1, vcc_lo
	v_cndmask_b32_e32 v3, v14, v3, vcc_lo
	s_delay_alu instid0(VALU_DEP_2)
	v_lshrrev_b64 v[10:11], v10, v[38:39]
; %bb.844:                              ;   in Loop: Header=BB4_129 Depth=2
	s_and_not1_saveexec_b32 s10, s10
; %bb.845:                              ;   in Loop: Header=BB4_129 Depth=2
	v_mov_b64_e32 v[10:11], v[38:39]
	v_bfe_u32 v3, v38, 23, 1
; %bb.846:                              ;   in Loop: Header=BB4_129 Depth=2
	s_or_b32 exec_lo, exec_lo, s10
	s_delay_alu instid0(VALU_DEP_2) | instskip(NEXT) | instid1(VALU_DEP_2)
	v_lshrrev_b64 v[10:11], 21, v[10:11]
	v_cmp_gt_i32_e32 vcc_lo, 32, v3
	v_min_i32_e32 v14, 31, v3
	v_cmp_eq_u32_e64 s10, 0, v3
	s_delay_alu instid0(VALU_DEP_4) | instskip(NEXT) | instid1(VALU_DEP_3)
	v_cndmask_b32_e32 v10, 3, v10, vcc_lo
	v_dual_cndmask_b32 v11, 0, v11 :: v_dual_lshlrev_b32 v14, 2, v14
	s_delay_alu instid0(VALU_DEP_1) | instskip(NEXT) | instid1(VALU_DEP_2)
	v_and_b32_e32 v14, 0xfc, v14
	v_cmp_eq_u64_e32 vcc_lo, 0, v[10:11]
	s_delay_alu instid0(VALU_DEP_2)
	v_and_or_b32 v3, v10, 3, v14
	s_and_b32 s10, s10, vcc_lo
	s_delay_alu instid0(VALU_DEP_1) | instid1(SALU_CYCLE_1)
	v_cndmask_b32_e64 v3, v3, 0, s10
	s_delay_alu instid0(VALU_DEP_1)
	v_or_b32_e32 v56, v3, v2
.LBB4_847:                              ;   in Loop: Header=BB4_129 Depth=2
	s_or_b32 exec_lo, exec_lo, s42
                                        ; implicit-def: $vgpr2
.LBB4_848:                              ;   in Loop: Header=BB4_129 Depth=2
	s_and_not1_saveexec_b32 s10, s41
; %bb.849:                              ;   in Loop: Header=BB4_129 Depth=2
	v_or_b32_e32 v56, 0x7b, v2
; %bb.850:                              ;   in Loop: Header=BB4_129 Depth=2
	s_or_b32 exec_lo, exec_lo, s10
                                        ; implicit-def: $vgpr3
                                        ; implicit-def: $vgpr2
.LBB4_851:                              ;   in Loop: Header=BB4_129 Depth=2
	s_and_not1_saveexec_b32 s10, s40
	s_cbranch_execz .LBB4_857
; %bb.852:                              ;   in Loop: Header=BB4_129 Depth=2
	s_mov_b32 s40, exec_lo
                                        ; implicit-def: $vgpr56
	v_cmpx_ne_u64_e32 0, v[38:39]
	s_xor_b32 s40, exec_lo, s40
; %bb.853:                              ;   in Loop: Header=BB4_129 Depth=2
	v_or_b32_e32 v56, 0x7f, v2
                                        ; implicit-def: $vgpr3
; %bb.854:                              ;   in Loop: Header=BB4_129 Depth=2
	s_and_not1_saveexec_b32 s40, s40
; %bb.855:                              ;   in Loop: Header=BB4_129 Depth=2
	v_cmp_lt_i32_e32 vcc_lo, -1, v3
	v_cndmask_b32_e32 v56, 0xfc, v122, vcc_lo
; %bb.856:                              ;   in Loop: Header=BB4_129 Depth=2
	s_or_b32 exec_lo, exec_lo, s40
.LBB4_857:                              ;   in Loop: Header=BB4_129 Depth=2
	s_delay_alu instid0(SALU_CYCLE_1) | instskip(SKIP_1) | instid1(VALU_DEP_1)
	s_or_b32 exec_lo, exec_lo, s10
	v_and_b32_e32 v2, 0xff, v12
	v_cmp_ne_u16_e32 vcc_lo, 0, v2
	v_mov_b32_e32 v2, 0
	s_and_saveexec_b32 s10, vcc_lo
	s_cbranch_execz .LBB4_867
; %bb.858:                              ;   in Loop: Header=BB4_129 Depth=2
	v_bfe_i32 v10, v12, 0, 8
	v_bfrev_b32_e32 v2, 1
	s_mov_b32 s40, exec_lo
	s_delay_alu instid0(VALU_DEP_2)
	v_cmpx_ne_u16_e32 0xff80, v10
	s_cbranch_execz .LBB4_866
; %bb.859:                              ;   in Loop: Header=BB4_129 Depth=2
	v_and_b32_e32 v2, 0x7c, v12
	v_and_b32_e32 v3, 3, v12
	s_delay_alu instid0(VALU_DEP_2) | instskip(SKIP_1) | instid1(SALU_CYCLE_1)
	v_cmp_ne_u32_e32 vcc_lo, 0x7c, v2
                                        ; implicit-def: $vgpr2
	s_and_saveexec_b32 s41, vcc_lo
	s_xor_b32 s41, exec_lo, s41
	s_cbranch_execz .LBB4_863
; %bb.860:                              ;   in Loop: Header=BB4_129 Depth=2
	v_bfe_u32 v2, v12, 2, 5
	s_mov_b32 s42, exec_lo
	s_delay_alu instid0(VALU_DEP_1)
	v_cmpx_eq_u32_e32 0, v2
; %bb.861:                              ;   in Loop: Header=BB4_129 Depth=2
	v_clz_i32_u32_e32 v2, v3
	s_delay_alu instid0(VALU_DEP_1) | instskip(NEXT) | instid1(VALU_DEP_1)
	v_min_u32_e32 v2, 32, v2
	v_subrev_nc_u32_e32 v3, 29, v2
	v_sub_nc_u32_e32 v2, 30, v2
	s_delay_alu instid0(VALU_DEP_2) | instskip(NEXT) | instid1(VALU_DEP_1)
	v_lshlrev_b64_e32 v[10:11], v3, v[12:13]
	v_and_b32_e32 v3, 3, v10
; %bb.862:                              ;   in Loop: Header=BB4_129 Depth=2
	s_or_b32 exec_lo, exec_lo, s42
	v_lshlrev_b32_e32 v10, 24, v12
	s_delay_alu instid0(VALU_DEP_1) | instskip(NEXT) | instid1(VALU_DEP_1)
	v_and_b32_e32 v10, 0x80000000, v10
	v_lshl_add_u32 v2, v2, 23, v10
                                        ; implicit-def: $vgpr10
	s_delay_alu instid0(VALU_DEP_1) | instskip(NEXT) | instid1(VALU_DEP_1)
	v_lshl_or_b32 v2, v3, 21, v2
                                        ; implicit-def: $vgpr3
	v_add_nc_u32_e32 v2, 0x38000000, v2
.LBB4_863:                              ;   in Loop: Header=BB4_129 Depth=2
	s_and_not1_saveexec_b32 s41, s41
; %bb.864:                              ;   in Loop: Header=BB4_129 Depth=2
	v_cmp_lt_i16_e32 vcc_lo, -1, v10
	v_cndmask_b32_e32 v2, 0xff800000, v126, vcc_lo
	v_cmp_eq_u32_e32 vcc_lo, 0, v3
	s_delay_alu instid0(VALU_DEP_2)
	v_cndmask_b32_e32 v2, 0x7f800001, v2, vcc_lo
; %bb.865:                              ;   in Loop: Header=BB4_129 Depth=2
	s_or_b32 exec_lo, exec_lo, s41
.LBB4_866:                              ;   in Loop: Header=BB4_129 Depth=2
	s_delay_alu instid0(SALU_CYCLE_1)
	s_or_b32 exec_lo, exec_lo, s40
.LBB4_867:                              ;   in Loop: Header=BB4_129 Depth=2
	s_delay_alu instid0(SALU_CYCLE_1) | instskip(NEXT) | instid1(VALU_DEP_1)
	s_or_b32 exec_lo, exec_lo, s10
	v_dual_mul_f32 v10, s29, v2 :: v_dual_mov_b32 v3, v39
	s_delay_alu instid0(VALU_DEP_1) | instskip(SKIP_1) | instid1(VALU_DEP_2)
	v_and_b32_e32 v2, 0x7f800000, v10
	v_and_b32_e32 v38, 0x7fffff, v10
	v_cmp_ne_u64_e32 vcc_lo, 0x7f800000, v[2:3]
	v_lshrrev_b32_e32 v2, 24, v10
                                        ; implicit-def: $vgpr3
	s_and_saveexec_b32 s10, vcc_lo
	s_delay_alu instid0(SALU_CYCLE_1)
	s_xor_b32 s40, exec_lo, s10
	s_cbranch_execz .LBB4_881
; %bb.868:                              ;   in Loop: Header=BB4_129 Depth=2
	v_and_b32_e32 v14, 0x7fffffff, v10
	v_mov_b32_e32 v15, v39
	v_and_b32_e32 v2, 0x80, v2
                                        ; implicit-def: $vgpr3
	s_mov_b32 s10, exec_lo
	s_delay_alu instid0(VALU_DEP_2)
	v_cmpx_gt_u64_e32 0x47600001, v[14:15]
	s_xor_b32 s41, exec_lo, s10
	s_cbranch_execz .LBB4_878
; %bb.869:                              ;   in Loop: Header=BB4_129 Depth=2
	v_mov_b32_e32 v3, 0
	s_mov_b32 s42, exec_lo
	v_cmpx_ne_u32_e32 0, v10
	s_cbranch_execz .LBB4_877
; %bb.870:                              ;   in Loop: Header=BB4_129 Depth=2
	v_bfe_u32 v3, v10, 23, 8
	v_or_b32_e32 v14, 0x800000, v38
	s_mov_b32 s43, exec_lo
	s_delay_alu instid0(VALU_DEP_2) | instskip(SKIP_1) | instid1(VALU_DEP_2)
	v_dual_mov_b32 v15, v39 :: v_dual_sub_nc_u32 v10, 0x71, v3
	v_cmp_gt_u32_e32 vcc_lo, 0x72, v3
	v_cndmask_b32_e32 v10, 0, v10, vcc_lo
	v_cmp_eq_u32_e32 vcc_lo, 0, v3
	s_delay_alu instid0(VALU_DEP_2) | instskip(NEXT) | instid1(VALU_DEP_1)
	v_cndmask_b32_e64 v16, v10, 0x70, vcc_lo
	v_dual_cndmask_b32 v14, v14, v38, vcc_lo :: v_dual_add_nc_u32 v10, 21, v16
	v_add_nc_u32_e32 v17, 20, v16
	s_delay_alu instid0(VALU_DEP_2) | instskip(NEXT) | instid1(VALU_DEP_2)
	v_lshlrev_b64_e64 v[10:11], v10, -1
	v_lshlrev_b64_e64 v[20:21], v17, 1
	s_delay_alu instid0(VALU_DEP_2) | instskip(NEXT) | instid1(VALU_DEP_3)
	v_bfi_b32 v25, v11, 0, 0
	v_bfi_b32 v24, v10, 0, v14
	v_lshrrev_b64 v[10:11], v16, v[14:15]
	s_delay_alu instid0(VALU_DEP_1) | instskip(NEXT) | instid1(VALU_DEP_3)
	v_mov_b64_e32 v[14:15], v[10:11]
	v_cmpx_eq_u64_e64 v[24:25], v[20:21]
; %bb.871:                              ;   in Loop: Header=BB4_129 Depth=2
	v_bfe_u32 v14, v10, 21, 1
	v_mov_b32_e32 v15, v39
	s_delay_alu instid0(VALU_DEP_1) | instskip(NEXT) | instid1(VALU_DEP_1)
	v_add_nc_u64_e32 v[14:15], v[10:11], v[14:15]
	v_add_nc_u64_e32 v[14:15], -1, v[14:15]
; %bb.872:                              ;   in Loop: Header=BB4_129 Depth=2
	s_or_b32 exec_lo, exec_lo, s43
	v_add_nc_u32_e32 v3, 0xffffff81, v3
	v_lshrrev_b32_e32 v11, 23, v10
	s_mov_b32 s10, exec_lo
	s_delay_alu instid0(VALU_DEP_2) | instskip(NEXT) | instid1(VALU_DEP_1)
	v_cndmask_b32_e64 v3, v3, 0xffffff82, vcc_lo
	v_add3_u32 v15, v16, v3, v11
	v_and_b32_e32 v3, 0x1fffff, v14
	s_delay_alu instid0(VALU_DEP_1) | instskip(NEXT) | instid1(VALU_DEP_1)
	v_dual_add_nc_u32 v14, 14, v15 :: v_dual_add_nc_u32 v38, v3, v10
                                        ; implicit-def: $vgpr10_vgpr11
                                        ; implicit-def: $vgpr3
	v_cmpx_ne_u32_e32 0, v14
	s_xor_b32 s10, exec_lo, s10
; %bb.873:                              ;   in Loop: Header=BB4_129 Depth=2
	s_delay_alu instid0(VALU_DEP_2) | instskip(SKIP_2) | instid1(VALU_DEP_2)
	v_cmp_lt_u64_e32 vcc_lo, 0xffffff, v[38:39]
	v_add_nc_u32_e32 v3, 15, v15
	v_cndmask_b32_e64 v10, 0, 1, vcc_lo
	v_cndmask_b32_e32 v3, v14, v3, vcc_lo
	s_delay_alu instid0(VALU_DEP_2)
	v_lshrrev_b64 v[10:11], v10, v[38:39]
; %bb.874:                              ;   in Loop: Header=BB4_129 Depth=2
	s_and_not1_saveexec_b32 s10, s10
; %bb.875:                              ;   in Loop: Header=BB4_129 Depth=2
	v_mov_b64_e32 v[10:11], v[38:39]
	v_bfe_u32 v3, v38, 23, 1
; %bb.876:                              ;   in Loop: Header=BB4_129 Depth=2
	s_or_b32 exec_lo, exec_lo, s10
	s_delay_alu instid0(VALU_DEP_2) | instskip(NEXT) | instid1(VALU_DEP_2)
	v_lshrrev_b64 v[10:11], 21, v[10:11]
	v_cmp_gt_i32_e32 vcc_lo, 32, v3
	v_min_i32_e32 v14, 31, v3
	v_cmp_eq_u32_e64 s10, 0, v3
	s_delay_alu instid0(VALU_DEP_4) | instskip(NEXT) | instid1(VALU_DEP_3)
	v_cndmask_b32_e32 v10, 3, v10, vcc_lo
	v_dual_cndmask_b32 v11, 0, v11 :: v_dual_lshlrev_b32 v14, 2, v14
	s_delay_alu instid0(VALU_DEP_1) | instskip(NEXT) | instid1(VALU_DEP_2)
	v_and_b32_e32 v14, 0xfc, v14
	v_cmp_eq_u64_e32 vcc_lo, 0, v[10:11]
	s_delay_alu instid0(VALU_DEP_2)
	v_and_or_b32 v3, v10, 3, v14
	s_and_b32 s10, s10, vcc_lo
	s_delay_alu instid0(VALU_DEP_1) | instid1(SALU_CYCLE_1)
	v_cndmask_b32_e64 v3, v3, 0, s10
	s_delay_alu instid0(VALU_DEP_1)
	v_or_b32_e32 v3, v3, v2
.LBB4_877:                              ;   in Loop: Header=BB4_129 Depth=2
	s_or_b32 exec_lo, exec_lo, s42
                                        ; implicit-def: $vgpr2
.LBB4_878:                              ;   in Loop: Header=BB4_129 Depth=2
	s_and_not1_saveexec_b32 s10, s41
; %bb.879:                              ;   in Loop: Header=BB4_129 Depth=2
	v_or_b32_e32 v3, 0x7b, v2
; %bb.880:                              ;   in Loop: Header=BB4_129 Depth=2
	s_or_b32 exec_lo, exec_lo, s10
                                        ; implicit-def: $vgpr10
                                        ; implicit-def: $vgpr2
.LBB4_881:                              ;   in Loop: Header=BB4_129 Depth=2
	s_and_not1_saveexec_b32 s10, s40
	s_cbranch_execz .LBB4_887
; %bb.882:                              ;   in Loop: Header=BB4_129 Depth=2
	s_mov_b32 s40, exec_lo
                                        ; implicit-def: $vgpr3
	v_cmpx_ne_u64_e32 0, v[38:39]
	s_xor_b32 s40, exec_lo, s40
; %bb.883:                              ;   in Loop: Header=BB4_129 Depth=2
	v_or_b32_e32 v3, 0x7f, v2
                                        ; implicit-def: $vgpr10
; %bb.884:                              ;   in Loop: Header=BB4_129 Depth=2
	s_and_not1_saveexec_b32 s40, s40
; %bb.885:                              ;   in Loop: Header=BB4_129 Depth=2
	v_cmp_lt_i32_e32 vcc_lo, -1, v10
	v_cndmask_b32_e32 v3, 0xfc, v122, vcc_lo
; %bb.886:                              ;   in Loop: Header=BB4_129 Depth=2
	s_or_b32 exec_lo, exec_lo, s40
.LBB4_887:                              ;   in Loop: Header=BB4_129 Depth=2
	s_delay_alu instid0(SALU_CYCLE_1) | instskip(SKIP_3) | instid1(VALU_DEP_2)
	s_or_b32 exec_lo, exec_lo, s10
	v_lshrrev_b16 v10, 8, v12
	v_mov_b32_e32 v11, 0
	s_mov_b32 s10, exec_lo
	v_cmpx_ne_u16_e32 0, v10
	s_cbranch_execz .LBB4_897
; %bb.888:                              ;   in Loop: Header=BB4_129 Depth=2
	v_bfrev_b32_e32 v11, 1
	s_mov_b32 s40, exec_lo
	v_cmpx_ne_u16_e32 0x80, v10
	s_cbranch_execz .LBB4_896
; %bb.889:                              ;   in Loop: Header=BB4_129 Depth=2
	v_and_b32_e32 v14, 0xffff, v10
	s_delay_alu instid0(VALU_DEP_1) | instskip(SKIP_1) | instid1(VALU_DEP_2)
	v_and_b32_e32 v11, 0x7c, v14
	v_and_b32_e32 v2, 3, v14
	v_cmp_ne_u32_e32 vcc_lo, 0x7c, v11
                                        ; implicit-def: $vgpr11
	s_and_saveexec_b32 s41, vcc_lo
	s_delay_alu instid0(SALU_CYCLE_1)
	s_xor_b32 s41, exec_lo, s41
	s_cbranch_execz .LBB4_893
; %bb.890:                              ;   in Loop: Header=BB4_129 Depth=2
	v_bfe_u32 v11, v14, 2, 5
	s_mov_b32 s42, exec_lo
	s_delay_alu instid0(VALU_DEP_1)
	v_cmpx_eq_u32_e32 0, v11
	s_cbranch_execz .LBB4_892
; %bb.891:                              ;   in Loop: Header=BB4_129 Depth=2
	v_clz_i32_u32_e32 v2, v2
	v_mov_b32_e32 v11, v39
	s_delay_alu instid0(VALU_DEP_2) | instskip(NEXT) | instid1(VALU_DEP_1)
	v_min_u32_e32 v2, 32, v2
	v_subrev_nc_u32_e32 v14, 29, v2
	s_delay_alu instid0(VALU_DEP_1) | instskip(SKIP_1) | instid1(VALU_DEP_2)
	v_lshlrev_b64_e32 v[10:11], v14, v[10:11]
	v_sub_nc_u32_e32 v11, 30, v2
	v_and_b32_e32 v2, 3, v10
.LBB4_892:                              ;   in Loop: Header=BB4_129 Depth=2
	s_or_b32 exec_lo, exec_lo, s42
	v_lshlrev_b32_e32 v10, 16, v12
	s_delay_alu instid0(VALU_DEP_1) | instskip(NEXT) | instid1(VALU_DEP_1)
	v_and_b32_e32 v10, 0x80000000, v10
	v_lshl_add_u32 v10, v11, 23, v10
	s_delay_alu instid0(VALU_DEP_1) | instskip(NEXT) | instid1(VALU_DEP_1)
	v_lshl_or_b32 v2, v2, 21, v10
	v_add_nc_u32_e32 v11, 0x38000000, v2
                                        ; implicit-def: $vgpr2
.LBB4_893:                              ;   in Loop: Header=BB4_129 Depth=2
	s_and_not1_saveexec_b32 s41, s41
; %bb.894:                              ;   in Loop: Header=BB4_129 Depth=2
	v_cmp_lt_i16_e32 vcc_lo, -1, v12
	v_cndmask_b32_e32 v10, 0xff800000, v126, vcc_lo
	v_cmp_eq_u32_e32 vcc_lo, 0, v2
	s_delay_alu instid0(VALU_DEP_2)
	v_cndmask_b32_e32 v11, 0x7f800001, v10, vcc_lo
; %bb.895:                              ;   in Loop: Header=BB4_129 Depth=2
	s_or_b32 exec_lo, exec_lo, s41
.LBB4_896:                              ;   in Loop: Header=BB4_129 Depth=2
	s_delay_alu instid0(SALU_CYCLE_1)
	s_or_b32 exec_lo, exec_lo, s40
.LBB4_897:                              ;   in Loop: Header=BB4_129 Depth=2
	s_delay_alu instid0(SALU_CYCLE_1) | instskip(NEXT) | instid1(VALU_DEP_1)
	s_or_b32 exec_lo, exec_lo, s10
	v_dual_mul_f32 v10, s29, v11 :: v_dual_mov_b32 v15, v39
                                        ; implicit-def: $vgpr117
	s_mov_b32 s10, exec_lo
	s_delay_alu instid0(VALU_DEP_1) | instskip(SKIP_2) | instid1(VALU_DEP_3)
	v_and_b32_e32 v14, 0x7f800000, v10
	v_and_b32_e32 v38, 0x7fffff, v10
	v_lshrrev_b32_e32 v2, 24, v10
	v_cmpx_ne_u64_e32 0x7f800000, v[14:15]
	s_xor_b32 s40, exec_lo, s10
	s_cbranch_execz .LBB4_911
; %bb.898:                              ;   in Loop: Header=BB4_129 Depth=2
	v_and_b32_e32 v14, 0x7fffffff, v10
	v_mov_b32_e32 v15, v39
	v_and_b32_e32 v2, 0x80, v2
                                        ; implicit-def: $vgpr117
	s_mov_b32 s10, exec_lo
	s_delay_alu instid0(VALU_DEP_2)
	v_cmpx_gt_u64_e32 0x47600001, v[14:15]
	s_xor_b32 s41, exec_lo, s10
	s_cbranch_execz .LBB4_908
; %bb.899:                              ;   in Loop: Header=BB4_129 Depth=2
	v_mov_b32_e32 v117, 0
	s_mov_b32 s42, exec_lo
	v_cmpx_ne_u32_e32 0, v10
	s_cbranch_execz .LBB4_907
; %bb.900:                              ;   in Loop: Header=BB4_129 Depth=2
	v_bfe_u32 v16, v10, 23, 8
	v_or_b32_e32 v14, 0x800000, v38
	s_mov_b32 s43, exec_lo
	s_delay_alu instid0(VALU_DEP_2) | instskip(SKIP_1) | instid1(VALU_DEP_2)
	v_dual_mov_b32 v15, v39 :: v_dual_sub_nc_u32 v10, 0x71, v16
	v_cmp_gt_u32_e32 vcc_lo, 0x72, v16
	v_cndmask_b32_e32 v10, 0, v10, vcc_lo
	v_cmp_eq_u32_e32 vcc_lo, 0, v16
	s_delay_alu instid0(VALU_DEP_2) | instskip(NEXT) | instid1(VALU_DEP_1)
	v_cndmask_b32_e64 v17, v10, 0x70, vcc_lo
	v_dual_cndmask_b32 v14, v14, v38, vcc_lo :: v_dual_add_nc_u32 v10, 21, v17
	v_add_nc_u32_e32 v20, 20, v17
	s_delay_alu instid0(VALU_DEP_2) | instskip(NEXT) | instid1(VALU_DEP_2)
	v_lshlrev_b64_e64 v[10:11], v10, -1
	v_lshlrev_b64_e64 v[20:21], v20, 1
	s_delay_alu instid0(VALU_DEP_2) | instskip(NEXT) | instid1(VALU_DEP_3)
	v_bfi_b32 v25, v11, 0, 0
	v_bfi_b32 v24, v10, 0, v14
	v_lshrrev_b64 v[10:11], v17, v[14:15]
	s_delay_alu instid0(VALU_DEP_1) | instskip(NEXT) | instid1(VALU_DEP_3)
	v_mov_b64_e32 v[14:15], v[10:11]
	v_cmpx_eq_u64_e64 v[24:25], v[20:21]
; %bb.901:                              ;   in Loop: Header=BB4_129 Depth=2
	v_bfe_u32 v14, v10, 21, 1
	v_mov_b32_e32 v15, v39
	s_delay_alu instid0(VALU_DEP_1) | instskip(NEXT) | instid1(VALU_DEP_1)
	v_add_nc_u64_e32 v[14:15], v[10:11], v[14:15]
	v_add_nc_u64_e32 v[14:15], -1, v[14:15]
; %bb.902:                              ;   in Loop: Header=BB4_129 Depth=2
	s_or_b32 exec_lo, exec_lo, s43
	v_add_nc_u32_e32 v11, 0xffffff81, v16
	v_lshrrev_b32_e32 v15, 23, v10
	s_mov_b32 s10, exec_lo
	s_delay_alu instid0(VALU_DEP_2) | instskip(NEXT) | instid1(VALU_DEP_1)
	v_cndmask_b32_e64 v11, v11, 0xffffff82, vcc_lo
	v_add3_u32 v15, v17, v11, v15
	v_and_b32_e32 v11, 0x1fffff, v14
                                        ; implicit-def: $vgpr14
	s_delay_alu instid0(VALU_DEP_1) | instskip(NEXT) | instid1(VALU_DEP_1)
	v_dual_add_nc_u32 v16, 14, v15 :: v_dual_add_nc_u32 v38, v11, v10
                                        ; implicit-def: $vgpr10_vgpr11
	v_cmpx_ne_u32_e32 0, v16
	s_xor_b32 s10, exec_lo, s10
; %bb.903:                              ;   in Loop: Header=BB4_129 Depth=2
	s_delay_alu instid0(VALU_DEP_2) | instskip(SKIP_1) | instid1(VALU_DEP_1)
	v_cmp_lt_u64_e32 vcc_lo, 0xffffff, v[38:39]
	v_add_nc_u32_e32 v10, 15, v15
	v_cndmask_b32_e32 v14, v16, v10, vcc_lo
	v_cndmask_b32_e64 v10, 0, 1, vcc_lo
	s_delay_alu instid0(VALU_DEP_1)
	v_lshrrev_b64 v[10:11], v10, v[38:39]
; %bb.904:                              ;   in Loop: Header=BB4_129 Depth=2
	s_and_not1_saveexec_b32 s10, s10
; %bb.905:                              ;   in Loop: Header=BB4_129 Depth=2
	v_mov_b64_e32 v[10:11], v[38:39]
	v_bfe_u32 v14, v38, 23, 1
; %bb.906:                              ;   in Loop: Header=BB4_129 Depth=2
	s_or_b32 exec_lo, exec_lo, s10
	s_delay_alu instid0(VALU_DEP_2) | instskip(NEXT) | instid1(VALU_DEP_2)
	v_lshrrev_b64 v[10:11], 21, v[10:11]
	v_cmp_gt_i32_e32 vcc_lo, 32, v14
	v_min_i32_e32 v15, 31, v14
	v_cmp_eq_u32_e64 s10, 0, v14
	s_delay_alu instid0(VALU_DEP_4) | instskip(NEXT) | instid1(VALU_DEP_3)
	v_cndmask_b32_e32 v11, 0, v11, vcc_lo
	v_dual_cndmask_b32 v10, 3, v10 :: v_dual_lshlrev_b32 v15, 2, v15
	s_delay_alu instid0(VALU_DEP_1) | instskip(NEXT) | instid1(VALU_DEP_2)
	v_and_b32_e32 v15, 0xfc, v15
	v_cmp_eq_u64_e32 vcc_lo, 0, v[10:11]
	s_delay_alu instid0(VALU_DEP_2)
	v_and_or_b32 v10, v10, 3, v15
	s_and_b32 s10, s10, vcc_lo
	s_delay_alu instid0(VALU_DEP_1) | instid1(SALU_CYCLE_1)
	v_cndmask_b32_e64 v10, v10, 0, s10
	s_delay_alu instid0(VALU_DEP_1)
	v_or_b32_e32 v117, v10, v2
.LBB4_907:                              ;   in Loop: Header=BB4_129 Depth=2
	s_or_b32 exec_lo, exec_lo, s42
                                        ; implicit-def: $vgpr2
.LBB4_908:                              ;   in Loop: Header=BB4_129 Depth=2
	s_and_not1_saveexec_b32 s10, s41
; %bb.909:                              ;   in Loop: Header=BB4_129 Depth=2
	v_or_b32_e32 v117, 0x7b, v2
; %bb.910:                              ;   in Loop: Header=BB4_129 Depth=2
	s_or_b32 exec_lo, exec_lo, s10
                                        ; implicit-def: $vgpr10
                                        ; implicit-def: $vgpr2
.LBB4_911:                              ;   in Loop: Header=BB4_129 Depth=2
	s_and_not1_saveexec_b32 s10, s40
	s_cbranch_execz .LBB4_917
; %bb.912:                              ;   in Loop: Header=BB4_129 Depth=2
	s_mov_b32 s40, exec_lo
                                        ; implicit-def: $vgpr117
	v_cmpx_ne_u64_e32 0, v[38:39]
	s_xor_b32 s40, exec_lo, s40
; %bb.913:                              ;   in Loop: Header=BB4_129 Depth=2
	v_or_b32_e32 v117, 0x7f, v2
                                        ; implicit-def: $vgpr10
; %bb.914:                              ;   in Loop: Header=BB4_129 Depth=2
	s_and_not1_saveexec_b32 s40, s40
; %bb.915:                              ;   in Loop: Header=BB4_129 Depth=2
	v_cmp_lt_i32_e32 vcc_lo, -1, v10
	v_cndmask_b32_e32 v117, 0xfc, v122, vcc_lo
; %bb.916:                              ;   in Loop: Header=BB4_129 Depth=2
	s_or_b32 exec_lo, exec_lo, s40
.LBB4_917:                              ;   in Loop: Header=BB4_129 Depth=2
	s_delay_alu instid0(SALU_CYCLE_1) | instskip(SKIP_2) | instid1(VALU_DEP_1)
	s_or_b32 exec_lo, exec_lo, s10
	v_dual_mov_b32 v11, 0 :: v_dual_lshrrev_b32 v10, 16, v12
	s_mov_b32 s10, exec_lo
	v_and_b32_e32 v2, 0xff, v10
	s_delay_alu instid0(VALU_DEP_1)
	v_cmpx_ne_u16_e32 0, v2
	s_cbranch_execz .LBB4_927
; %bb.918:                              ;   in Loop: Header=BB4_129 Depth=2
	v_bfrev_b32_e32 v11, 1
	s_mov_b32 s40, exec_lo
	v_cmpx_ne_u16_e32 0x80, v2
	s_cbranch_execz .LBB4_926
; %bb.919:                              ;   in Loop: Header=BB4_129 Depth=2
	v_and_b32_e32 v11, 0x7c0000, v12
	v_bfe_u32 v2, v12, 16, 2
	s_delay_alu instid0(VALU_DEP_2) | instskip(SKIP_1) | instid1(SALU_CYCLE_1)
	v_cmp_ne_u32_e32 vcc_lo, 0x7c0000, v11
                                        ; implicit-def: $vgpr11
	s_and_saveexec_b32 s41, vcc_lo
	s_xor_b32 s41, exec_lo, s41
	s_cbranch_execz .LBB4_923
; %bb.920:                              ;   in Loop: Header=BB4_129 Depth=2
	v_bfe_u32 v11, v12, 18, 5
	s_mov_b32 s42, exec_lo
	s_delay_alu instid0(VALU_DEP_1)
	v_cmpx_eq_u32_e32 0, v11
; %bb.921:                              ;   in Loop: Header=BB4_129 Depth=2
	v_clz_i32_u32_e32 v2, v2
	s_delay_alu instid0(VALU_DEP_1) | instskip(NEXT) | instid1(VALU_DEP_1)
	v_min_u32_e32 v2, 32, v2
	v_subrev_nc_u32_e32 v11, 29, v2
	s_delay_alu instid0(VALU_DEP_1) | instskip(SKIP_1) | instid1(VALU_DEP_2)
	v_lshlrev_b64_e32 v[14:15], v11, v[10:11]
	v_sub_nc_u32_e32 v11, 30, v2
	v_and_b32_e32 v2, 3, v14
; %bb.922:                              ;   in Loop: Header=BB4_129 Depth=2
	s_or_b32 exec_lo, exec_lo, s42
	v_lshlrev_b32_e32 v10, 24, v10
	s_delay_alu instid0(VALU_DEP_1) | instskip(NEXT) | instid1(VALU_DEP_1)
	v_and_b32_e32 v10, 0x80000000, v10
	v_lshl_add_u32 v10, v11, 23, v10
	s_delay_alu instid0(VALU_DEP_1) | instskip(NEXT) | instid1(VALU_DEP_1)
	v_lshl_or_b32 v2, v2, 21, v10
                                        ; implicit-def: $vgpr10
	v_add_nc_u32_e32 v11, 0x38000000, v2
                                        ; implicit-def: $vgpr2
.LBB4_923:                              ;   in Loop: Header=BB4_129 Depth=2
	s_and_not1_saveexec_b32 s41, s41
; %bb.924:                              ;   in Loop: Header=BB4_129 Depth=2
	v_bfe_i32 v10, v10, 0, 8
	s_delay_alu instid0(VALU_DEP_1) | instskip(SKIP_2) | instid1(VALU_DEP_2)
	v_cmp_lt_i16_e32 vcc_lo, -1, v10
	v_cndmask_b32_e32 v10, 0xff800000, v126, vcc_lo
	v_cmp_eq_u32_e32 vcc_lo, 0, v2
	v_cndmask_b32_e32 v11, 0x7f800001, v10, vcc_lo
; %bb.925:                              ;   in Loop: Header=BB4_129 Depth=2
	s_or_b32 exec_lo, exec_lo, s41
.LBB4_926:                              ;   in Loop: Header=BB4_129 Depth=2
	s_delay_alu instid0(SALU_CYCLE_1)
	s_or_b32 exec_lo, exec_lo, s40
.LBB4_927:                              ;   in Loop: Header=BB4_129 Depth=2
	s_delay_alu instid0(SALU_CYCLE_1) | instskip(NEXT) | instid1(VALU_DEP_1)
	s_or_b32 exec_lo, exec_lo, s10
	v_dual_mul_f32 v10, s29, v11 :: v_dual_mov_b32 v15, v39
                                        ; implicit-def: $vgpr40
	s_mov_b32 s10, exec_lo
	s_delay_alu instid0(VALU_DEP_1) | instskip(SKIP_2) | instid1(VALU_DEP_3)
	v_and_b32_e32 v14, 0x7f800000, v10
	v_and_b32_e32 v38, 0x7fffff, v10
	v_lshrrev_b32_e32 v2, 24, v10
	v_cmpx_ne_u64_e32 0x7f800000, v[14:15]
	s_xor_b32 s40, exec_lo, s10
	s_cbranch_execz .LBB4_941
; %bb.928:                              ;   in Loop: Header=BB4_129 Depth=2
	v_and_b32_e32 v14, 0x7fffffff, v10
	v_mov_b32_e32 v15, v39
	v_and_b32_e32 v2, 0x80, v2
                                        ; implicit-def: $vgpr40
	s_mov_b32 s10, exec_lo
	s_delay_alu instid0(VALU_DEP_2)
	v_cmpx_gt_u64_e32 0x47600001, v[14:15]
	s_xor_b32 s41, exec_lo, s10
	s_cbranch_execz .LBB4_938
; %bb.929:                              ;   in Loop: Header=BB4_129 Depth=2
	v_mov_b32_e32 v40, 0
	s_mov_b32 s42, exec_lo
	v_cmpx_ne_u32_e32 0, v10
	s_cbranch_execz .LBB4_937
; %bb.930:                              ;   in Loop: Header=BB4_129 Depth=2
	v_bfe_u32 v16, v10, 23, 8
	v_or_b32_e32 v14, 0x800000, v38
	s_mov_b32 s43, exec_lo
	s_delay_alu instid0(VALU_DEP_2) | instskip(SKIP_1) | instid1(VALU_DEP_2)
	v_dual_mov_b32 v15, v39 :: v_dual_sub_nc_u32 v10, 0x71, v16
	v_cmp_gt_u32_e32 vcc_lo, 0x72, v16
	v_cndmask_b32_e32 v10, 0, v10, vcc_lo
	v_cmp_eq_u32_e32 vcc_lo, 0, v16
	s_delay_alu instid0(VALU_DEP_2) | instskip(NEXT) | instid1(VALU_DEP_1)
	v_cndmask_b32_e64 v17, v10, 0x70, vcc_lo
	v_dual_cndmask_b32 v14, v14, v38, vcc_lo :: v_dual_add_nc_u32 v10, 21, v17
	v_add_nc_u32_e32 v20, 20, v17
	s_delay_alu instid0(VALU_DEP_2) | instskip(NEXT) | instid1(VALU_DEP_2)
	v_lshlrev_b64_e64 v[10:11], v10, -1
	v_lshlrev_b64_e64 v[20:21], v20, 1
	s_delay_alu instid0(VALU_DEP_2) | instskip(NEXT) | instid1(VALU_DEP_3)
	v_bfi_b32 v25, v11, 0, 0
	v_bfi_b32 v24, v10, 0, v14
	v_lshrrev_b64 v[10:11], v17, v[14:15]
	s_delay_alu instid0(VALU_DEP_1) | instskip(NEXT) | instid1(VALU_DEP_3)
	v_mov_b64_e32 v[14:15], v[10:11]
	v_cmpx_eq_u64_e64 v[24:25], v[20:21]
; %bb.931:                              ;   in Loop: Header=BB4_129 Depth=2
	v_bfe_u32 v14, v10, 21, 1
	v_mov_b32_e32 v15, v39
	s_delay_alu instid0(VALU_DEP_1) | instskip(NEXT) | instid1(VALU_DEP_1)
	v_add_nc_u64_e32 v[14:15], v[10:11], v[14:15]
	v_add_nc_u64_e32 v[14:15], -1, v[14:15]
; %bb.932:                              ;   in Loop: Header=BB4_129 Depth=2
	s_or_b32 exec_lo, exec_lo, s43
	v_add_nc_u32_e32 v11, 0xffffff81, v16
	v_lshrrev_b32_e32 v15, 23, v10
	s_mov_b32 s10, exec_lo
	s_delay_alu instid0(VALU_DEP_2) | instskip(NEXT) | instid1(VALU_DEP_1)
	v_cndmask_b32_e64 v11, v11, 0xffffff82, vcc_lo
	v_add3_u32 v15, v17, v11, v15
	v_and_b32_e32 v11, 0x1fffff, v14
                                        ; implicit-def: $vgpr14
	s_delay_alu instid0(VALU_DEP_1) | instskip(NEXT) | instid1(VALU_DEP_1)
	v_dual_add_nc_u32 v16, 14, v15 :: v_dual_add_nc_u32 v38, v11, v10
                                        ; implicit-def: $vgpr10_vgpr11
	v_cmpx_ne_u32_e32 0, v16
	s_xor_b32 s10, exec_lo, s10
; %bb.933:                              ;   in Loop: Header=BB4_129 Depth=2
	s_delay_alu instid0(VALU_DEP_2) | instskip(SKIP_1) | instid1(VALU_DEP_1)
	v_cmp_lt_u64_e32 vcc_lo, 0xffffff, v[38:39]
	v_add_nc_u32_e32 v10, 15, v15
	v_cndmask_b32_e32 v14, v16, v10, vcc_lo
	v_cndmask_b32_e64 v10, 0, 1, vcc_lo
	s_delay_alu instid0(VALU_DEP_1)
	v_lshrrev_b64 v[10:11], v10, v[38:39]
; %bb.934:                              ;   in Loop: Header=BB4_129 Depth=2
	s_and_not1_saveexec_b32 s10, s10
; %bb.935:                              ;   in Loop: Header=BB4_129 Depth=2
	v_mov_b64_e32 v[10:11], v[38:39]
	v_bfe_u32 v14, v38, 23, 1
; %bb.936:                              ;   in Loop: Header=BB4_129 Depth=2
	s_or_b32 exec_lo, exec_lo, s10
	s_delay_alu instid0(VALU_DEP_2) | instskip(NEXT) | instid1(VALU_DEP_2)
	v_lshrrev_b64 v[10:11], 21, v[10:11]
	v_cmp_gt_i32_e32 vcc_lo, 32, v14
	v_min_i32_e32 v15, 31, v14
	v_cmp_eq_u32_e64 s10, 0, v14
	s_delay_alu instid0(VALU_DEP_4) | instskip(NEXT) | instid1(VALU_DEP_3)
	v_cndmask_b32_e32 v11, 0, v11, vcc_lo
	v_dual_cndmask_b32 v10, 3, v10 :: v_dual_lshlrev_b32 v15, 2, v15
	s_delay_alu instid0(VALU_DEP_1) | instskip(NEXT) | instid1(VALU_DEP_2)
	v_and_b32_e32 v15, 0xfc, v15
	v_cmp_eq_u64_e32 vcc_lo, 0, v[10:11]
	s_delay_alu instid0(VALU_DEP_2)
	v_and_or_b32 v10, v10, 3, v15
	s_and_b32 s10, s10, vcc_lo
	s_delay_alu instid0(VALU_DEP_1) | instid1(SALU_CYCLE_1)
	v_cndmask_b32_e64 v10, v10, 0, s10
	s_delay_alu instid0(VALU_DEP_1)
	v_or_b32_e32 v40, v10, v2
.LBB4_937:                              ;   in Loop: Header=BB4_129 Depth=2
	s_or_b32 exec_lo, exec_lo, s42
                                        ; implicit-def: $vgpr2
.LBB4_938:                              ;   in Loop: Header=BB4_129 Depth=2
	s_and_not1_saveexec_b32 s10, s41
; %bb.939:                              ;   in Loop: Header=BB4_129 Depth=2
	v_or_b32_e32 v40, 0x7b, v2
; %bb.940:                              ;   in Loop: Header=BB4_129 Depth=2
	s_or_b32 exec_lo, exec_lo, s10
                                        ; implicit-def: $vgpr10
                                        ; implicit-def: $vgpr2
.LBB4_941:                              ;   in Loop: Header=BB4_129 Depth=2
	s_and_not1_saveexec_b32 s10, s40
	s_cbranch_execz .LBB4_947
; %bb.942:                              ;   in Loop: Header=BB4_129 Depth=2
	s_mov_b32 s40, exec_lo
                                        ; implicit-def: $vgpr40
	v_cmpx_ne_u64_e32 0, v[38:39]
	s_xor_b32 s40, exec_lo, s40
; %bb.943:                              ;   in Loop: Header=BB4_129 Depth=2
	v_or_b32_e32 v40, 0x7f, v2
                                        ; implicit-def: $vgpr10
; %bb.944:                              ;   in Loop: Header=BB4_129 Depth=2
	s_and_not1_saveexec_b32 s40, s40
; %bb.945:                              ;   in Loop: Header=BB4_129 Depth=2
	v_cmp_lt_i32_e32 vcc_lo, -1, v10
	v_cndmask_b32_e32 v40, 0xfc, v122, vcc_lo
; %bb.946:                              ;   in Loop: Header=BB4_129 Depth=2
	s_or_b32 exec_lo, exec_lo, s40
.LBB4_947:                              ;   in Loop: Header=BB4_129 Depth=2
	s_delay_alu instid0(SALU_CYCLE_1)
	s_or_b32 exec_lo, exec_lo, s10
	v_mov_b32_e32 v2, 0
	s_mov_b32 s10, exec_lo
	v_cmpx_lt_u32_e32 0xffffff, v12
	s_cbranch_execz .LBB4_957
; %bb.948:                              ;   in Loop: Header=BB4_129 Depth=2
	v_lshrrev_b32_e32 v10, 24, v12
	v_bfrev_b32_e32 v2, 1
	s_mov_b32 s40, exec_lo
	s_delay_alu instid0(VALU_DEP_2)
	v_cmpx_ne_u32_e32 0x80, v10
	s_cbranch_execz .LBB4_956
; %bb.949:                              ;   in Loop: Header=BB4_129 Depth=2
	v_and_b32_e32 v2, 0x7c000000, v12
	v_bfe_u32 v11, v12, 24, 2
	s_delay_alu instid0(VALU_DEP_2) | instskip(SKIP_1) | instid1(SALU_CYCLE_1)
	v_cmp_ne_u32_e32 vcc_lo, 0x7c000000, v2
                                        ; implicit-def: $vgpr2
	s_and_saveexec_b32 s41, vcc_lo
	s_xor_b32 s41, exec_lo, s41
	s_cbranch_execz .LBB4_953
; %bb.950:                              ;   in Loop: Header=BB4_129 Depth=2
	v_bfe_u32 v2, v12, 26, 5
	s_mov_b32 s42, exec_lo
	s_delay_alu instid0(VALU_DEP_1)
	v_cmpx_eq_u32_e32 0, v2
; %bb.951:                              ;   in Loop: Header=BB4_129 Depth=2
	v_clz_i32_u32_e32 v2, v11
	s_delay_alu instid0(VALU_DEP_1) | instskip(NEXT) | instid1(VALU_DEP_1)
	v_min_u32_e32 v2, 32, v2
	v_subrev_nc_u32_e32 v11, 29, v2
	v_sub_nc_u32_e32 v2, 30, v2
	s_delay_alu instid0(VALU_DEP_2) | instskip(NEXT) | instid1(VALU_DEP_1)
	v_lshlrev_b64_e32 v[10:11], v11, v[10:11]
	v_and_b32_e32 v11, 3, v10
; %bb.952:                              ;   in Loop: Header=BB4_129 Depth=2
	s_or_b32 exec_lo, exec_lo, s42
	v_and_b32_e32 v10, 0x80000000, v12
	s_delay_alu instid0(VALU_DEP_1) | instskip(NEXT) | instid1(VALU_DEP_1)
	v_lshl_add_u32 v2, v2, 23, v10
	v_lshl_or_b32 v2, v11, 21, v2
                                        ; implicit-def: $vgpr11
	s_delay_alu instid0(VALU_DEP_1)
	v_add_nc_u32_e32 v2, 0x38000000, v2
.LBB4_953:                              ;   in Loop: Header=BB4_129 Depth=2
	s_and_not1_saveexec_b32 s41, s41
; %bb.954:                              ;   in Loop: Header=BB4_129 Depth=2
	v_cmp_lt_i32_e32 vcc_lo, -1, v12
	v_cndmask_b32_e32 v2, 0xff800000, v126, vcc_lo
	v_cmp_eq_u32_e32 vcc_lo, 0, v11
	s_delay_alu instid0(VALU_DEP_2)
	v_cndmask_b32_e32 v2, 0x7f800001, v2, vcc_lo
; %bb.955:                              ;   in Loop: Header=BB4_129 Depth=2
	s_or_b32 exec_lo, exec_lo, s41
.LBB4_956:                              ;   in Loop: Header=BB4_129 Depth=2
	s_delay_alu instid0(SALU_CYCLE_1)
	s_or_b32 exec_lo, exec_lo, s40
.LBB4_957:                              ;   in Loop: Header=BB4_129 Depth=2
	s_delay_alu instid0(SALU_CYCLE_1) | instskip(NEXT) | instid1(VALU_DEP_1)
	s_or_b32 exec_lo, exec_lo, s10
	v_dual_mul_f32 v10, s29, v2 :: v_dual_mov_b32 v15, v39
                                        ; implicit-def: $vgpr43
	s_mov_b32 s10, exec_lo
	s_delay_alu instid0(VALU_DEP_1) | instskip(SKIP_2) | instid1(VALU_DEP_3)
	v_and_b32_e32 v14, 0x7f800000, v10
	v_and_b32_e32 v38, 0x7fffff, v10
	v_lshrrev_b32_e32 v2, 24, v10
	v_cmpx_ne_u64_e32 0x7f800000, v[14:15]
	s_xor_b32 s40, exec_lo, s10
	s_cbranch_execz .LBB4_971
; %bb.958:                              ;   in Loop: Header=BB4_129 Depth=2
	v_and_b32_e32 v14, 0x7fffffff, v10
	v_mov_b32_e32 v15, v39
	v_and_b32_e32 v2, 0x80, v2
                                        ; implicit-def: $vgpr43
	s_mov_b32 s10, exec_lo
	s_delay_alu instid0(VALU_DEP_2)
	v_cmpx_gt_u64_e32 0x47600001, v[14:15]
	s_xor_b32 s41, exec_lo, s10
	s_cbranch_execz .LBB4_968
; %bb.959:                              ;   in Loop: Header=BB4_129 Depth=2
	v_mov_b32_e32 v43, 0
	s_mov_b32 s42, exec_lo
	v_cmpx_ne_u32_e32 0, v10
	s_cbranch_execz .LBB4_967
; %bb.960:                              ;   in Loop: Header=BB4_129 Depth=2
	v_bfe_u32 v16, v10, 23, 8
	v_or_b32_e32 v14, 0x800000, v38
	s_mov_b32 s43, exec_lo
	s_delay_alu instid0(VALU_DEP_2) | instskip(SKIP_1) | instid1(VALU_DEP_2)
	v_dual_mov_b32 v15, v39 :: v_dual_sub_nc_u32 v10, 0x71, v16
	v_cmp_gt_u32_e32 vcc_lo, 0x72, v16
	v_cndmask_b32_e32 v10, 0, v10, vcc_lo
	v_cmp_eq_u32_e32 vcc_lo, 0, v16
	s_delay_alu instid0(VALU_DEP_2) | instskip(NEXT) | instid1(VALU_DEP_1)
	v_cndmask_b32_e64 v17, v10, 0x70, vcc_lo
	v_dual_cndmask_b32 v14, v14, v38, vcc_lo :: v_dual_add_nc_u32 v10, 21, v17
	v_add_nc_u32_e32 v20, 20, v17
	s_delay_alu instid0(VALU_DEP_2) | instskip(NEXT) | instid1(VALU_DEP_2)
	v_lshlrev_b64_e64 v[10:11], v10, -1
	v_lshlrev_b64_e64 v[20:21], v20, 1
	s_delay_alu instid0(VALU_DEP_2) | instskip(NEXT) | instid1(VALU_DEP_3)
	v_bfi_b32 v25, v11, 0, 0
	v_bfi_b32 v24, v10, 0, v14
	v_lshrrev_b64 v[10:11], v17, v[14:15]
	s_delay_alu instid0(VALU_DEP_1) | instskip(NEXT) | instid1(VALU_DEP_3)
	v_mov_b64_e32 v[14:15], v[10:11]
	v_cmpx_eq_u64_e64 v[24:25], v[20:21]
; %bb.961:                              ;   in Loop: Header=BB4_129 Depth=2
	v_bfe_u32 v14, v10, 21, 1
	v_mov_b32_e32 v15, v39
	s_delay_alu instid0(VALU_DEP_1) | instskip(NEXT) | instid1(VALU_DEP_1)
	v_add_nc_u64_e32 v[14:15], v[10:11], v[14:15]
	v_add_nc_u64_e32 v[14:15], -1, v[14:15]
; %bb.962:                              ;   in Loop: Header=BB4_129 Depth=2
	s_or_b32 exec_lo, exec_lo, s43
	v_add_nc_u32_e32 v11, 0xffffff81, v16
	v_lshrrev_b32_e32 v15, 23, v10
	s_mov_b32 s10, exec_lo
	s_delay_alu instid0(VALU_DEP_2) | instskip(NEXT) | instid1(VALU_DEP_1)
	v_cndmask_b32_e64 v11, v11, 0xffffff82, vcc_lo
	v_add3_u32 v15, v17, v11, v15
	v_and_b32_e32 v11, 0x1fffff, v14
                                        ; implicit-def: $vgpr14
	s_delay_alu instid0(VALU_DEP_1) | instskip(NEXT) | instid1(VALU_DEP_1)
	v_dual_add_nc_u32 v16, 14, v15 :: v_dual_add_nc_u32 v38, v11, v10
                                        ; implicit-def: $vgpr10_vgpr11
	v_cmpx_ne_u32_e32 0, v16
	s_xor_b32 s10, exec_lo, s10
; %bb.963:                              ;   in Loop: Header=BB4_129 Depth=2
	s_delay_alu instid0(VALU_DEP_2) | instskip(SKIP_1) | instid1(VALU_DEP_1)
	v_cmp_lt_u64_e32 vcc_lo, 0xffffff, v[38:39]
	v_add_nc_u32_e32 v10, 15, v15
	v_cndmask_b32_e32 v14, v16, v10, vcc_lo
	v_cndmask_b32_e64 v10, 0, 1, vcc_lo
	s_delay_alu instid0(VALU_DEP_1)
	v_lshrrev_b64 v[10:11], v10, v[38:39]
; %bb.964:                              ;   in Loop: Header=BB4_129 Depth=2
	s_and_not1_saveexec_b32 s10, s10
; %bb.965:                              ;   in Loop: Header=BB4_129 Depth=2
	v_mov_b64_e32 v[10:11], v[38:39]
	v_bfe_u32 v14, v38, 23, 1
; %bb.966:                              ;   in Loop: Header=BB4_129 Depth=2
	s_or_b32 exec_lo, exec_lo, s10
	s_delay_alu instid0(VALU_DEP_2) | instskip(NEXT) | instid1(VALU_DEP_2)
	v_lshrrev_b64 v[10:11], 21, v[10:11]
	v_cmp_gt_i32_e32 vcc_lo, 32, v14
	v_min_i32_e32 v15, 31, v14
	v_cmp_eq_u32_e64 s10, 0, v14
	s_delay_alu instid0(VALU_DEP_4) | instskip(NEXT) | instid1(VALU_DEP_3)
	v_cndmask_b32_e32 v11, 0, v11, vcc_lo
	v_dual_cndmask_b32 v10, 3, v10 :: v_dual_lshlrev_b32 v15, 2, v15
	s_delay_alu instid0(VALU_DEP_1) | instskip(NEXT) | instid1(VALU_DEP_2)
	v_and_b32_e32 v15, 0xfc, v15
	v_cmp_eq_u64_e32 vcc_lo, 0, v[10:11]
	s_delay_alu instid0(VALU_DEP_2)
	v_and_or_b32 v10, v10, 3, v15
	s_and_b32 s10, s10, vcc_lo
	s_delay_alu instid0(VALU_DEP_1) | instid1(SALU_CYCLE_1)
	v_cndmask_b32_e64 v10, v10, 0, s10
	s_delay_alu instid0(VALU_DEP_1)
	v_or_b32_e32 v43, v10, v2
.LBB4_967:                              ;   in Loop: Header=BB4_129 Depth=2
	s_or_b32 exec_lo, exec_lo, s42
                                        ; implicit-def: $vgpr2
.LBB4_968:                              ;   in Loop: Header=BB4_129 Depth=2
	s_and_not1_saveexec_b32 s10, s41
; %bb.969:                              ;   in Loop: Header=BB4_129 Depth=2
	v_or_b32_e32 v43, 0x7b, v2
; %bb.970:                              ;   in Loop: Header=BB4_129 Depth=2
	s_or_b32 exec_lo, exec_lo, s10
                                        ; implicit-def: $vgpr10
                                        ; implicit-def: $vgpr2
.LBB4_971:                              ;   in Loop: Header=BB4_129 Depth=2
	s_and_not1_saveexec_b32 s10, s40
	s_cbranch_execz .LBB4_977
; %bb.972:                              ;   in Loop: Header=BB4_129 Depth=2
	s_mov_b32 s40, exec_lo
                                        ; implicit-def: $vgpr43
	v_cmpx_ne_u64_e32 0, v[38:39]
	s_xor_b32 s40, exec_lo, s40
; %bb.973:                              ;   in Loop: Header=BB4_129 Depth=2
	v_or_b32_e32 v43, 0x7f, v2
                                        ; implicit-def: $vgpr10
; %bb.974:                              ;   in Loop: Header=BB4_129 Depth=2
	s_and_not1_saveexec_b32 s40, s40
; %bb.975:                              ;   in Loop: Header=BB4_129 Depth=2
	v_cmp_lt_i32_e32 vcc_lo, -1, v10
	v_cndmask_b32_e32 v43, 0xfc, v122, vcc_lo
; %bb.976:                              ;   in Loop: Header=BB4_129 Depth=2
	s_or_b32 exec_lo, exec_lo, s40
.LBB4_977:                              ;   in Loop: Header=BB4_129 Depth=2
	s_delay_alu instid0(SALU_CYCLE_1) | instskip(SKIP_3) | instid1(VALU_DEP_2)
	s_or_b32 exec_lo, exec_lo, s10
	v_and_b32_e32 v2, 0xff, v13
	v_dual_mov_b32 v38, v13 :: v_dual_mov_b32 v10, 0
	s_mov_b32 s10, exec_lo
	v_cmpx_ne_u16_e32 0, v2
	s_cbranch_execz .LBB4_987
; %bb.978:                              ;   in Loop: Header=BB4_129 Depth=2
	v_bfrev_b32_e32 v10, 1
	s_mov_b32 s40, exec_lo
	v_cmpx_ne_u16_e32 0x80, v2
	s_cbranch_execz .LBB4_986
; %bb.979:                              ;   in Loop: Header=BB4_129 Depth=2
	v_and_b32_e32 v10, 0x7c, v13
	v_and_b32_e32 v2, 3, v13
	s_delay_alu instid0(VALU_DEP_2) | instskip(SKIP_1) | instid1(SALU_CYCLE_1)
	v_cmp_ne_u32_e32 vcc_lo, 0x7c, v10
                                        ; implicit-def: $vgpr10
	s_and_saveexec_b32 s41, vcc_lo
	s_xor_b32 s41, exec_lo, s41
	s_cbranch_execz .LBB4_983
; %bb.980:                              ;   in Loop: Header=BB4_129 Depth=2
	v_bfe_u32 v10, v13, 2, 5
	s_mov_b32 s42, exec_lo
	s_delay_alu instid0(VALU_DEP_1)
	v_cmpx_eq_u32_e32 0, v10
; %bb.981:                              ;   in Loop: Header=BB4_129 Depth=2
	v_clz_i32_u32_e32 v2, v2
	s_delay_alu instid0(VALU_DEP_1) | instskip(NEXT) | instid1(VALU_DEP_1)
	v_min_u32_e32 v2, 32, v2
	v_subrev_nc_u32_e32 v10, 29, v2
	s_delay_alu instid0(VALU_DEP_1) | instskip(SKIP_1) | instid1(VALU_DEP_2)
	v_lshlrev_b64_e32 v[14:15], v10, v[38:39]
	v_sub_nc_u32_e32 v10, 30, v2
	v_and_b32_e32 v2, 3, v14
; %bb.982:                              ;   in Loop: Header=BB4_129 Depth=2
	s_or_b32 exec_lo, exec_lo, s42
	v_lshlrev_b32_e32 v11, 24, v13
	s_delay_alu instid0(VALU_DEP_1) | instskip(NEXT) | instid1(VALU_DEP_1)
	v_and_b32_e32 v11, 0x80000000, v11
	v_lshl_add_u32 v10, v10, 23, v11
	s_delay_alu instid0(VALU_DEP_1) | instskip(NEXT) | instid1(VALU_DEP_1)
	v_lshl_or_b32 v2, v2, 21, v10
	v_add_nc_u32_e32 v10, 0x38000000, v2
                                        ; implicit-def: $vgpr2
.LBB4_983:                              ;   in Loop: Header=BB4_129 Depth=2
	s_and_not1_saveexec_b32 s41, s41
; %bb.984:                              ;   in Loop: Header=BB4_129 Depth=2
	v_bfe_i32 v10, v13, 0, 8
	s_delay_alu instid0(VALU_DEP_1) | instskip(SKIP_2) | instid1(VALU_DEP_2)
	v_cmp_lt_i16_e32 vcc_lo, -1, v10
	v_cndmask_b32_e32 v10, 0xff800000, v126, vcc_lo
	v_cmp_eq_u32_e32 vcc_lo, 0, v2
	v_cndmask_b32_e32 v10, 0x7f800001, v10, vcc_lo
; %bb.985:                              ;   in Loop: Header=BB4_129 Depth=2
	s_or_b32 exec_lo, exec_lo, s41
.LBB4_986:                              ;   in Loop: Header=BB4_129 Depth=2
	s_delay_alu instid0(SALU_CYCLE_1)
	s_or_b32 exec_lo, exec_lo, s40
.LBB4_987:                              ;   in Loop: Header=BB4_129 Depth=2
	s_delay_alu instid0(SALU_CYCLE_1) | instskip(NEXT) | instid1(VALU_DEP_1)
	s_or_b32 exec_lo, exec_lo, s10
	v_dual_mul_f32 v14, s29, v10 :: v_dual_mov_b32 v17, v39
	v_mov_b32_e32 v11, v39
                                        ; implicit-def: $vgpr113
	s_mov_b32 s10, exec_lo
	s_delay_alu instid0(VALU_DEP_2) | instskip(SKIP_2) | instid1(VALU_DEP_3)
	v_and_b32_e32 v16, 0x7f800000, v14
	v_and_b32_e32 v10, 0x7fffff, v14
	v_lshrrev_b32_e32 v2, 24, v14
	v_cmpx_ne_u64_e32 0x7f800000, v[16:17]
	s_xor_b32 s40, exec_lo, s10
	s_cbranch_execz .LBB4_1001
; %bb.988:                              ;   in Loop: Header=BB4_129 Depth=2
	v_and_b32_e32 v16, 0x7fffffff, v14
	v_mov_b32_e32 v17, v39
	v_and_b32_e32 v2, 0x80, v2
                                        ; implicit-def: $vgpr113
	s_mov_b32 s10, exec_lo
	s_delay_alu instid0(VALU_DEP_2)
	v_cmpx_gt_u64_e32 0x47600001, v[16:17]
	s_xor_b32 s41, exec_lo, s10
	s_cbranch_execz .LBB4_998
; %bb.989:                              ;   in Loop: Header=BB4_129 Depth=2
	v_mov_b32_e32 v113, 0
	s_mov_b32 s42, exec_lo
	v_cmpx_ne_u32_e32 0, v14
	s_cbranch_execz .LBB4_997
; %bb.990:                              ;   in Loop: Header=BB4_129 Depth=2
	v_bfe_u32 v16, v14, 23, 8
	v_or_b32_e32 v20, 0x800000, v10
	s_delay_alu instid0(VALU_DEP_2) | instskip(SKIP_1) | instid1(VALU_DEP_2)
	v_sub_nc_u32_e32 v14, 0x71, v16
	v_cmp_gt_u32_e32 vcc_lo, 0x72, v16
	v_cndmask_b32_e32 v14, 0, v14, vcc_lo
	v_cmp_eq_u32_e32 vcc_lo, 0, v16
	s_delay_alu instid0(VALU_DEP_2) | instskip(NEXT) | instid1(VALU_DEP_1)
	v_cndmask_b32_e64 v17, v14, 0x70, vcc_lo
	v_dual_cndmask_b32 v10, v20, v10, vcc_lo :: v_dual_add_nc_u32 v14, 21, v17
	v_add_nc_u32_e32 v21, 20, v17
	s_delay_alu instid0(VALU_DEP_2) | instskip(NEXT) | instid1(VALU_DEP_2)
	v_lshlrev_b64_e64 v[14:15], v14, -1
	v_lshlrev_b64_e64 v[20:21], v21, 1
	s_delay_alu instid0(VALU_DEP_2) | instskip(SKIP_1) | instid1(VALU_DEP_4)
	v_bfi_b32 v14, v14, 0, v10
	v_lshrrev_b64 v[10:11], v17, v[10:11]
	v_bfi_b32 v15, v15, 0, 0
	s_delay_alu instid0(VALU_DEP_1) | instskip(NEXT) | instid1(VALU_DEP_3)
	v_cmp_eq_u64_e64 s10, v[14:15], v[20:21]
	v_mov_b64_e32 v[14:15], v[10:11]
	s_and_saveexec_b32 s43, s10
; %bb.991:                              ;   in Loop: Header=BB4_129 Depth=2
	v_bfe_u32 v14, v10, 21, 1
	v_mov_b32_e32 v15, v39
	s_delay_alu instid0(VALU_DEP_1) | instskip(NEXT) | instid1(VALU_DEP_1)
	v_add_nc_u64_e32 v[14:15], v[10:11], v[14:15]
	v_add_nc_u64_e32 v[14:15], -1, v[14:15]
; %bb.992:                              ;   in Loop: Header=BB4_129 Depth=2
	s_or_b32 exec_lo, exec_lo, s43
	v_add_nc_u32_e32 v11, 0xffffff81, v16
	v_lshrrev_b32_e32 v15, 23, v10
	s_mov_b32 s10, exec_lo
	s_delay_alu instid0(VALU_DEP_2) | instskip(NEXT) | instid1(VALU_DEP_1)
	v_cndmask_b32_e64 v11, v11, 0xffffff82, vcc_lo
	v_add3_u32 v15, v17, v11, v15
	v_and_b32_e32 v11, 0x1fffff, v14
                                        ; implicit-def: $vgpr14
	s_delay_alu instid0(VALU_DEP_1) | instskip(SKIP_1) | instid1(VALU_DEP_2)
	v_dual_add_nc_u32 v16, 14, v15 :: v_dual_add_nc_u32 v10, v11, v10
	v_mov_b32_e32 v11, v39
	v_cmpx_ne_u32_e32 0, v16
	s_xor_b32 s10, exec_lo, s10
; %bb.993:                              ;   in Loop: Header=BB4_129 Depth=2
	s_delay_alu instid0(VALU_DEP_2) | instskip(SKIP_2) | instid1(VALU_DEP_2)
	v_cmp_lt_u64_e32 vcc_lo, 0xffffff, v[10:11]
	v_add_nc_u32_e32 v14, 15, v15
	v_cndmask_b32_e64 v15, 0, 1, vcc_lo
	v_cndmask_b32_e32 v14, v16, v14, vcc_lo
	s_delay_alu instid0(VALU_DEP_2)
	v_lshrrev_b64 v[10:11], v15, v[10:11]
; %bb.994:                              ;   in Loop: Header=BB4_129 Depth=2
	s_and_not1_saveexec_b32 s10, s10
; %bb.995:                              ;   in Loop: Header=BB4_129 Depth=2
	s_delay_alu instid0(VALU_DEP_1)
	v_bfe_u32 v14, v10, 23, 1
; %bb.996:                              ;   in Loop: Header=BB4_129 Depth=2
	s_or_b32 exec_lo, exec_lo, s10
	s_delay_alu instid0(VALU_DEP_2) | instskip(NEXT) | instid1(VALU_DEP_2)
	v_lshrrev_b64 v[10:11], 21, v[10:11]
	v_cmp_gt_i32_e32 vcc_lo, 32, v14
	v_min_i32_e32 v15, 31, v14
	v_cmp_eq_u32_e64 s10, 0, v14
	s_delay_alu instid0(VALU_DEP_4) | instskip(NEXT) | instid1(VALU_DEP_3)
	v_cndmask_b32_e32 v11, 0, v11, vcc_lo
	v_dual_cndmask_b32 v10, 3, v10 :: v_dual_lshlrev_b32 v15, 2, v15
	s_delay_alu instid0(VALU_DEP_1) | instskip(NEXT) | instid1(VALU_DEP_2)
	v_and_b32_e32 v15, 0xfc, v15
	v_cmp_eq_u64_e32 vcc_lo, 0, v[10:11]
	s_delay_alu instid0(VALU_DEP_2)
	v_and_or_b32 v10, v10, 3, v15
	s_and_b32 s10, s10, vcc_lo
	s_delay_alu instid0(VALU_DEP_1) | instid1(SALU_CYCLE_1)
	v_cndmask_b32_e64 v10, v10, 0, s10
	s_delay_alu instid0(VALU_DEP_1)
	v_or_b32_e32 v113, v10, v2
.LBB4_997:                              ;   in Loop: Header=BB4_129 Depth=2
	s_or_b32 exec_lo, exec_lo, s42
                                        ; implicit-def: $vgpr2
.LBB4_998:                              ;   in Loop: Header=BB4_129 Depth=2
	s_and_not1_saveexec_b32 s10, s41
; %bb.999:                              ;   in Loop: Header=BB4_129 Depth=2
	v_or_b32_e32 v113, 0x7b, v2
; %bb.1000:                             ;   in Loop: Header=BB4_129 Depth=2
	s_or_b32 exec_lo, exec_lo, s10
                                        ; implicit-def: $vgpr14
                                        ; implicit-def: $vgpr10_vgpr11
                                        ; implicit-def: $vgpr2
.LBB4_1001:                             ;   in Loop: Header=BB4_129 Depth=2
	s_and_not1_saveexec_b32 s10, s40
	s_cbranch_execz .LBB4_1007
; %bb.1002:                             ;   in Loop: Header=BB4_129 Depth=2
	s_mov_b32 s40, exec_lo
                                        ; implicit-def: $vgpr113
	v_cmpx_ne_u64_e32 0, v[10:11]
	s_xor_b32 s40, exec_lo, s40
; %bb.1003:                             ;   in Loop: Header=BB4_129 Depth=2
	v_or_b32_e32 v113, 0x7f, v2
                                        ; implicit-def: $vgpr14
; %bb.1004:                             ;   in Loop: Header=BB4_129 Depth=2
	s_and_not1_saveexec_b32 s40, s40
; %bb.1005:                             ;   in Loop: Header=BB4_129 Depth=2
	v_cmp_lt_i32_e32 vcc_lo, -1, v14
	v_cndmask_b32_e32 v113, 0xfc, v122, vcc_lo
; %bb.1006:                             ;   in Loop: Header=BB4_129 Depth=2
	s_or_b32 exec_lo, exec_lo, s40
.LBB4_1007:                             ;   in Loop: Header=BB4_129 Depth=2
	s_delay_alu instid0(SALU_CYCLE_1) | instskip(SKIP_3) | instid1(VALU_DEP_2)
	s_or_b32 exec_lo, exec_lo, s10
	v_lshrrev_b16 v10, 8, v38
	v_mov_b32_e32 v11, 0
	s_mov_b32 s10, exec_lo
	v_cmpx_ne_u16_e32 0, v10
	s_cbranch_execz .LBB4_1017
; %bb.1008:                             ;   in Loop: Header=BB4_129 Depth=2
	v_bfrev_b32_e32 v11, 1
	s_mov_b32 s40, exec_lo
	v_cmpx_ne_u16_e32 0x80, v10
	s_cbranch_execz .LBB4_1016
; %bb.1009:                             ;   in Loop: Header=BB4_129 Depth=2
	v_and_b32_e32 v14, 0xffff, v10
	s_delay_alu instid0(VALU_DEP_1) | instskip(SKIP_1) | instid1(VALU_DEP_2)
	v_and_b32_e32 v11, 0x7c, v14
	v_and_b32_e32 v2, 3, v14
	v_cmp_ne_u32_e32 vcc_lo, 0x7c, v11
                                        ; implicit-def: $vgpr11
	s_and_saveexec_b32 s41, vcc_lo
	s_delay_alu instid0(SALU_CYCLE_1)
	s_xor_b32 s41, exec_lo, s41
	s_cbranch_execz .LBB4_1013
; %bb.1010:                             ;   in Loop: Header=BB4_129 Depth=2
	v_bfe_u32 v11, v14, 2, 5
	s_mov_b32 s42, exec_lo
	s_delay_alu instid0(VALU_DEP_1)
	v_cmpx_eq_u32_e32 0, v11
	s_cbranch_execz .LBB4_1012
; %bb.1011:                             ;   in Loop: Header=BB4_129 Depth=2
	v_clz_i32_u32_e32 v2, v2
	v_mov_b32_e32 v11, v39
	s_delay_alu instid0(VALU_DEP_2) | instskip(NEXT) | instid1(VALU_DEP_1)
	v_min_u32_e32 v2, 32, v2
	v_subrev_nc_u32_e32 v14, 29, v2
	s_delay_alu instid0(VALU_DEP_1) | instskip(SKIP_1) | instid1(VALU_DEP_2)
	v_lshlrev_b64_e32 v[10:11], v14, v[10:11]
	v_sub_nc_u32_e32 v11, 30, v2
	v_and_b32_e32 v2, 3, v10
.LBB4_1012:                             ;   in Loop: Header=BB4_129 Depth=2
	s_or_b32 exec_lo, exec_lo, s42
	v_lshlrev_b32_e32 v10, 16, v38
	s_delay_alu instid0(VALU_DEP_1) | instskip(NEXT) | instid1(VALU_DEP_1)
	v_and_b32_e32 v10, 0x80000000, v10
	v_lshl_add_u32 v10, v11, 23, v10
	s_delay_alu instid0(VALU_DEP_1) | instskip(NEXT) | instid1(VALU_DEP_1)
	v_lshl_or_b32 v2, v2, 21, v10
	v_add_nc_u32_e32 v11, 0x38000000, v2
                                        ; implicit-def: $vgpr2
.LBB4_1013:                             ;   in Loop: Header=BB4_129 Depth=2
	s_and_not1_saveexec_b32 s41, s41
; %bb.1014:                             ;   in Loop: Header=BB4_129 Depth=2
	v_cmp_lt_i16_e32 vcc_lo, -1, v38
	v_cndmask_b32_e32 v10, 0xff800000, v126, vcc_lo
	v_cmp_eq_u32_e32 vcc_lo, 0, v2
	s_delay_alu instid0(VALU_DEP_2)
	v_cndmask_b32_e32 v11, 0x7f800001, v10, vcc_lo
; %bb.1015:                             ;   in Loop: Header=BB4_129 Depth=2
	s_or_b32 exec_lo, exec_lo, s41
.LBB4_1016:                             ;   in Loop: Header=BB4_129 Depth=2
	s_delay_alu instid0(SALU_CYCLE_1)
	s_or_b32 exec_lo, exec_lo, s40
.LBB4_1017:                             ;   in Loop: Header=BB4_129 Depth=2
	s_delay_alu instid0(SALU_CYCLE_1) | instskip(NEXT) | instid1(VALU_DEP_1)
	s_or_b32 exec_lo, exec_lo, s10
	v_dual_mul_f32 v10, s29, v11 :: v_dual_mov_b32 v15, v39
                                        ; implicit-def: $vgpr71
	s_mov_b32 s10, exec_lo
	s_delay_alu instid0(VALU_DEP_1) | instskip(SKIP_2) | instid1(VALU_DEP_3)
	v_and_b32_e32 v14, 0x7f800000, v10
	v_and_b32_e32 v38, 0x7fffff, v10
	v_lshrrev_b32_e32 v2, 24, v10
	v_cmpx_ne_u64_e32 0x7f800000, v[14:15]
	s_xor_b32 s40, exec_lo, s10
	s_cbranch_execz .LBB4_1031
; %bb.1018:                             ;   in Loop: Header=BB4_129 Depth=2
	v_and_b32_e32 v14, 0x7fffffff, v10
	v_mov_b32_e32 v15, v39
	v_and_b32_e32 v2, 0x80, v2
                                        ; implicit-def: $vgpr71
	s_mov_b32 s10, exec_lo
	s_delay_alu instid0(VALU_DEP_2)
	v_cmpx_gt_u64_e32 0x47600001, v[14:15]
	s_xor_b32 s41, exec_lo, s10
	s_cbranch_execz .LBB4_1028
; %bb.1019:                             ;   in Loop: Header=BB4_129 Depth=2
	v_mov_b32_e32 v71, 0
	s_mov_b32 s42, exec_lo
	v_cmpx_ne_u32_e32 0, v10
	s_cbranch_execz .LBB4_1027
; %bb.1020:                             ;   in Loop: Header=BB4_129 Depth=2
	v_bfe_u32 v16, v10, 23, 8
	v_or_b32_e32 v14, 0x800000, v38
	s_mov_b32 s43, exec_lo
	s_delay_alu instid0(VALU_DEP_2) | instskip(SKIP_1) | instid1(VALU_DEP_2)
	v_dual_mov_b32 v15, v39 :: v_dual_sub_nc_u32 v10, 0x71, v16
	v_cmp_gt_u32_e32 vcc_lo, 0x72, v16
	v_cndmask_b32_e32 v10, 0, v10, vcc_lo
	v_cmp_eq_u32_e32 vcc_lo, 0, v16
	s_delay_alu instid0(VALU_DEP_2) | instskip(NEXT) | instid1(VALU_DEP_1)
	v_cndmask_b32_e64 v17, v10, 0x70, vcc_lo
	v_dual_cndmask_b32 v14, v14, v38, vcc_lo :: v_dual_add_nc_u32 v10, 21, v17
	v_add_nc_u32_e32 v20, 20, v17
	s_delay_alu instid0(VALU_DEP_2) | instskip(NEXT) | instid1(VALU_DEP_2)
	v_lshlrev_b64_e64 v[10:11], v10, -1
	v_lshlrev_b64_e64 v[20:21], v20, 1
	s_delay_alu instid0(VALU_DEP_2) | instskip(NEXT) | instid1(VALU_DEP_3)
	v_bfi_b32 v25, v11, 0, 0
	v_bfi_b32 v24, v10, 0, v14
	v_lshrrev_b64 v[10:11], v17, v[14:15]
	s_delay_alu instid0(VALU_DEP_1) | instskip(NEXT) | instid1(VALU_DEP_3)
	v_mov_b64_e32 v[14:15], v[10:11]
	v_cmpx_eq_u64_e64 v[24:25], v[20:21]
; %bb.1021:                             ;   in Loop: Header=BB4_129 Depth=2
	v_bfe_u32 v14, v10, 21, 1
	v_mov_b32_e32 v15, v39
	s_delay_alu instid0(VALU_DEP_1) | instskip(NEXT) | instid1(VALU_DEP_1)
	v_add_nc_u64_e32 v[14:15], v[10:11], v[14:15]
	v_add_nc_u64_e32 v[14:15], -1, v[14:15]
; %bb.1022:                             ;   in Loop: Header=BB4_129 Depth=2
	s_or_b32 exec_lo, exec_lo, s43
	v_add_nc_u32_e32 v11, 0xffffff81, v16
	v_lshrrev_b32_e32 v15, 23, v10
	s_mov_b32 s10, exec_lo
	s_delay_alu instid0(VALU_DEP_2) | instskip(NEXT) | instid1(VALU_DEP_1)
	v_cndmask_b32_e64 v11, v11, 0xffffff82, vcc_lo
	v_add3_u32 v15, v17, v11, v15
	v_and_b32_e32 v11, 0x1fffff, v14
                                        ; implicit-def: $vgpr14
	s_delay_alu instid0(VALU_DEP_1) | instskip(NEXT) | instid1(VALU_DEP_1)
	v_dual_add_nc_u32 v16, 14, v15 :: v_dual_add_nc_u32 v38, v11, v10
                                        ; implicit-def: $vgpr10_vgpr11
	v_cmpx_ne_u32_e32 0, v16
	s_xor_b32 s10, exec_lo, s10
; %bb.1023:                             ;   in Loop: Header=BB4_129 Depth=2
	s_delay_alu instid0(VALU_DEP_2) | instskip(SKIP_1) | instid1(VALU_DEP_1)
	v_cmp_lt_u64_e32 vcc_lo, 0xffffff, v[38:39]
	v_add_nc_u32_e32 v10, 15, v15
	v_cndmask_b32_e32 v14, v16, v10, vcc_lo
	v_cndmask_b32_e64 v10, 0, 1, vcc_lo
	s_delay_alu instid0(VALU_DEP_1)
	v_lshrrev_b64 v[10:11], v10, v[38:39]
; %bb.1024:                             ;   in Loop: Header=BB4_129 Depth=2
	s_and_not1_saveexec_b32 s10, s10
; %bb.1025:                             ;   in Loop: Header=BB4_129 Depth=2
	v_mov_b64_e32 v[10:11], v[38:39]
	v_bfe_u32 v14, v38, 23, 1
; %bb.1026:                             ;   in Loop: Header=BB4_129 Depth=2
	s_or_b32 exec_lo, exec_lo, s10
	s_delay_alu instid0(VALU_DEP_2) | instskip(NEXT) | instid1(VALU_DEP_2)
	v_lshrrev_b64 v[10:11], 21, v[10:11]
	v_cmp_gt_i32_e32 vcc_lo, 32, v14
	v_min_i32_e32 v15, 31, v14
	v_cmp_eq_u32_e64 s10, 0, v14
	s_delay_alu instid0(VALU_DEP_4) | instskip(NEXT) | instid1(VALU_DEP_3)
	v_cndmask_b32_e32 v11, 0, v11, vcc_lo
	v_dual_cndmask_b32 v10, 3, v10 :: v_dual_lshlrev_b32 v15, 2, v15
	s_delay_alu instid0(VALU_DEP_1) | instskip(NEXT) | instid1(VALU_DEP_2)
	v_and_b32_e32 v15, 0xfc, v15
	v_cmp_eq_u64_e32 vcc_lo, 0, v[10:11]
	s_delay_alu instid0(VALU_DEP_2)
	v_and_or_b32 v10, v10, 3, v15
	s_and_b32 s10, s10, vcc_lo
	s_delay_alu instid0(VALU_DEP_1) | instid1(SALU_CYCLE_1)
	v_cndmask_b32_e64 v10, v10, 0, s10
	s_delay_alu instid0(VALU_DEP_1)
	v_or_b32_e32 v71, v10, v2
.LBB4_1027:                             ;   in Loop: Header=BB4_129 Depth=2
	s_or_b32 exec_lo, exec_lo, s42
                                        ; implicit-def: $vgpr2
.LBB4_1028:                             ;   in Loop: Header=BB4_129 Depth=2
	s_and_not1_saveexec_b32 s10, s41
; %bb.1029:                             ;   in Loop: Header=BB4_129 Depth=2
	v_or_b32_e32 v71, 0x7b, v2
; %bb.1030:                             ;   in Loop: Header=BB4_129 Depth=2
	s_or_b32 exec_lo, exec_lo, s10
                                        ; implicit-def: $vgpr10
                                        ; implicit-def: $vgpr2
.LBB4_1031:                             ;   in Loop: Header=BB4_129 Depth=2
	s_and_not1_saveexec_b32 s10, s40
	s_cbranch_execz .LBB4_1037
; %bb.1032:                             ;   in Loop: Header=BB4_129 Depth=2
	s_mov_b32 s40, exec_lo
                                        ; implicit-def: $vgpr71
	v_cmpx_ne_u64_e32 0, v[38:39]
	s_xor_b32 s40, exec_lo, s40
; %bb.1033:                             ;   in Loop: Header=BB4_129 Depth=2
	v_or_b32_e32 v71, 0x7f, v2
                                        ; implicit-def: $vgpr10
; %bb.1034:                             ;   in Loop: Header=BB4_129 Depth=2
	s_and_not1_saveexec_b32 s40, s40
; %bb.1035:                             ;   in Loop: Header=BB4_129 Depth=2
	v_cmp_lt_i32_e32 vcc_lo, -1, v10
	v_cndmask_b32_e32 v71, 0xfc, v122, vcc_lo
; %bb.1036:                             ;   in Loop: Header=BB4_129 Depth=2
	s_or_b32 exec_lo, exec_lo, s40
.LBB4_1037:                             ;   in Loop: Header=BB4_129 Depth=2
	s_delay_alu instid0(SALU_CYCLE_1) | instskip(SKIP_2) | instid1(VALU_DEP_1)
	s_or_b32 exec_lo, exec_lo, s10
	v_dual_mov_b32 v11, 0 :: v_dual_lshrrev_b32 v10, 16, v13
	s_mov_b32 s10, exec_lo
	v_and_b32_e32 v2, 0xff, v10
	s_delay_alu instid0(VALU_DEP_1)
	v_cmpx_ne_u16_e32 0, v2
	s_cbranch_execz .LBB4_1047
; %bb.1038:                             ;   in Loop: Header=BB4_129 Depth=2
	v_bfrev_b32_e32 v11, 1
	s_mov_b32 s40, exec_lo
	v_cmpx_ne_u16_e32 0x80, v2
	s_cbranch_execz .LBB4_1046
; %bb.1039:                             ;   in Loop: Header=BB4_129 Depth=2
	v_and_b32_e32 v11, 0x7c0000, v13
	v_bfe_u32 v2, v13, 16, 2
	s_delay_alu instid0(VALU_DEP_2) | instskip(SKIP_1) | instid1(SALU_CYCLE_1)
	v_cmp_ne_u32_e32 vcc_lo, 0x7c0000, v11
                                        ; implicit-def: $vgpr11
	s_and_saveexec_b32 s41, vcc_lo
	s_xor_b32 s41, exec_lo, s41
	s_cbranch_execz .LBB4_1043
; %bb.1040:                             ;   in Loop: Header=BB4_129 Depth=2
	v_bfe_u32 v11, v13, 18, 5
	s_mov_b32 s42, exec_lo
	s_delay_alu instid0(VALU_DEP_1)
	v_cmpx_eq_u32_e32 0, v11
; %bb.1041:                             ;   in Loop: Header=BB4_129 Depth=2
	v_clz_i32_u32_e32 v2, v2
	s_delay_alu instid0(VALU_DEP_1) | instskip(NEXT) | instid1(VALU_DEP_1)
	v_min_u32_e32 v2, 32, v2
	v_subrev_nc_u32_e32 v11, 29, v2
	s_delay_alu instid0(VALU_DEP_1) | instskip(SKIP_1) | instid1(VALU_DEP_2)
	v_lshlrev_b64_e32 v[14:15], v11, v[10:11]
	v_sub_nc_u32_e32 v11, 30, v2
	v_and_b32_e32 v2, 3, v14
; %bb.1042:                             ;   in Loop: Header=BB4_129 Depth=2
	s_or_b32 exec_lo, exec_lo, s42
	v_lshlrev_b32_e32 v10, 24, v10
	s_delay_alu instid0(VALU_DEP_1) | instskip(NEXT) | instid1(VALU_DEP_1)
	v_and_b32_e32 v10, 0x80000000, v10
	v_lshl_add_u32 v10, v11, 23, v10
	s_delay_alu instid0(VALU_DEP_1) | instskip(NEXT) | instid1(VALU_DEP_1)
	v_lshl_or_b32 v2, v2, 21, v10
                                        ; implicit-def: $vgpr10
	v_add_nc_u32_e32 v11, 0x38000000, v2
                                        ; implicit-def: $vgpr2
.LBB4_1043:                             ;   in Loop: Header=BB4_129 Depth=2
	s_and_not1_saveexec_b32 s41, s41
; %bb.1044:                             ;   in Loop: Header=BB4_129 Depth=2
	v_bfe_i32 v10, v10, 0, 8
	s_delay_alu instid0(VALU_DEP_1) | instskip(SKIP_2) | instid1(VALU_DEP_2)
	v_cmp_lt_i16_e32 vcc_lo, -1, v10
	v_cndmask_b32_e32 v10, 0xff800000, v126, vcc_lo
	v_cmp_eq_u32_e32 vcc_lo, 0, v2
	v_cndmask_b32_e32 v11, 0x7f800001, v10, vcc_lo
; %bb.1045:                             ;   in Loop: Header=BB4_129 Depth=2
	s_or_b32 exec_lo, exec_lo, s41
.LBB4_1046:                             ;   in Loop: Header=BB4_129 Depth=2
	s_delay_alu instid0(SALU_CYCLE_1)
	s_or_b32 exec_lo, exec_lo, s40
.LBB4_1047:                             ;   in Loop: Header=BB4_129 Depth=2
	s_delay_alu instid0(SALU_CYCLE_1) | instskip(NEXT) | instid1(VALU_DEP_1)
	s_or_b32 exec_lo, exec_lo, s10
	v_dual_mul_f32 v10, s29, v11 :: v_dual_mov_b32 v15, v39
                                        ; implicit-def: $vgpr115
	s_mov_b32 s10, exec_lo
	s_delay_alu instid0(VALU_DEP_1) | instskip(SKIP_2) | instid1(VALU_DEP_3)
	v_and_b32_e32 v14, 0x7f800000, v10
	v_and_b32_e32 v38, 0x7fffff, v10
	v_lshrrev_b32_e32 v2, 24, v10
	v_cmpx_ne_u64_e32 0x7f800000, v[14:15]
	s_xor_b32 s40, exec_lo, s10
	s_cbranch_execz .LBB4_1061
; %bb.1048:                             ;   in Loop: Header=BB4_129 Depth=2
	v_and_b32_e32 v14, 0x7fffffff, v10
	v_mov_b32_e32 v15, v39
	v_and_b32_e32 v2, 0x80, v2
                                        ; implicit-def: $vgpr115
	s_mov_b32 s10, exec_lo
	s_delay_alu instid0(VALU_DEP_2)
	v_cmpx_gt_u64_e32 0x47600001, v[14:15]
	s_xor_b32 s41, exec_lo, s10
	s_cbranch_execz .LBB4_1058
; %bb.1049:                             ;   in Loop: Header=BB4_129 Depth=2
	v_mov_b32_e32 v115, 0
	s_mov_b32 s42, exec_lo
	v_cmpx_ne_u32_e32 0, v10
	s_cbranch_execz .LBB4_1057
; %bb.1050:                             ;   in Loop: Header=BB4_129 Depth=2
	v_bfe_u32 v16, v10, 23, 8
	v_or_b32_e32 v14, 0x800000, v38
	s_mov_b32 s43, exec_lo
	s_delay_alu instid0(VALU_DEP_2) | instskip(SKIP_1) | instid1(VALU_DEP_2)
	v_dual_mov_b32 v15, v39 :: v_dual_sub_nc_u32 v10, 0x71, v16
	v_cmp_gt_u32_e32 vcc_lo, 0x72, v16
	v_cndmask_b32_e32 v10, 0, v10, vcc_lo
	v_cmp_eq_u32_e32 vcc_lo, 0, v16
	s_delay_alu instid0(VALU_DEP_2) | instskip(NEXT) | instid1(VALU_DEP_1)
	v_cndmask_b32_e64 v17, v10, 0x70, vcc_lo
	v_dual_cndmask_b32 v14, v14, v38, vcc_lo :: v_dual_add_nc_u32 v10, 21, v17
	v_add_nc_u32_e32 v20, 20, v17
	s_delay_alu instid0(VALU_DEP_2) | instskip(NEXT) | instid1(VALU_DEP_2)
	v_lshlrev_b64_e64 v[10:11], v10, -1
	v_lshlrev_b64_e64 v[20:21], v20, 1
	s_delay_alu instid0(VALU_DEP_2) | instskip(NEXT) | instid1(VALU_DEP_3)
	v_bfi_b32 v25, v11, 0, 0
	v_bfi_b32 v24, v10, 0, v14
	v_lshrrev_b64 v[10:11], v17, v[14:15]
	s_delay_alu instid0(VALU_DEP_1) | instskip(NEXT) | instid1(VALU_DEP_3)
	v_mov_b64_e32 v[14:15], v[10:11]
	v_cmpx_eq_u64_e64 v[24:25], v[20:21]
; %bb.1051:                             ;   in Loop: Header=BB4_129 Depth=2
	v_bfe_u32 v14, v10, 21, 1
	v_mov_b32_e32 v15, v39
	s_delay_alu instid0(VALU_DEP_1) | instskip(NEXT) | instid1(VALU_DEP_1)
	v_add_nc_u64_e32 v[14:15], v[10:11], v[14:15]
	v_add_nc_u64_e32 v[14:15], -1, v[14:15]
; %bb.1052:                             ;   in Loop: Header=BB4_129 Depth=2
	s_or_b32 exec_lo, exec_lo, s43
	v_add_nc_u32_e32 v11, 0xffffff81, v16
	v_lshrrev_b32_e32 v15, 23, v10
	s_mov_b32 s10, exec_lo
	s_delay_alu instid0(VALU_DEP_2) | instskip(NEXT) | instid1(VALU_DEP_1)
	v_cndmask_b32_e64 v11, v11, 0xffffff82, vcc_lo
	v_add3_u32 v15, v17, v11, v15
	v_and_b32_e32 v11, 0x1fffff, v14
                                        ; implicit-def: $vgpr14
	s_delay_alu instid0(VALU_DEP_1) | instskip(NEXT) | instid1(VALU_DEP_1)
	v_dual_add_nc_u32 v16, 14, v15 :: v_dual_add_nc_u32 v38, v11, v10
                                        ; implicit-def: $vgpr10_vgpr11
	v_cmpx_ne_u32_e32 0, v16
	s_xor_b32 s10, exec_lo, s10
; %bb.1053:                             ;   in Loop: Header=BB4_129 Depth=2
	s_delay_alu instid0(VALU_DEP_2) | instskip(SKIP_1) | instid1(VALU_DEP_1)
	v_cmp_lt_u64_e32 vcc_lo, 0xffffff, v[38:39]
	v_add_nc_u32_e32 v10, 15, v15
	v_cndmask_b32_e32 v14, v16, v10, vcc_lo
	v_cndmask_b32_e64 v10, 0, 1, vcc_lo
	s_delay_alu instid0(VALU_DEP_1)
	v_lshrrev_b64 v[10:11], v10, v[38:39]
; %bb.1054:                             ;   in Loop: Header=BB4_129 Depth=2
	s_and_not1_saveexec_b32 s10, s10
; %bb.1055:                             ;   in Loop: Header=BB4_129 Depth=2
	v_mov_b64_e32 v[10:11], v[38:39]
	v_bfe_u32 v14, v38, 23, 1
; %bb.1056:                             ;   in Loop: Header=BB4_129 Depth=2
	s_or_b32 exec_lo, exec_lo, s10
	s_delay_alu instid0(VALU_DEP_2) | instskip(NEXT) | instid1(VALU_DEP_2)
	v_lshrrev_b64 v[10:11], 21, v[10:11]
	v_cmp_gt_i32_e32 vcc_lo, 32, v14
	v_min_i32_e32 v15, 31, v14
	v_cmp_eq_u32_e64 s10, 0, v14
	s_delay_alu instid0(VALU_DEP_4) | instskip(NEXT) | instid1(VALU_DEP_3)
	v_cndmask_b32_e32 v11, 0, v11, vcc_lo
	v_dual_cndmask_b32 v10, 3, v10 :: v_dual_lshlrev_b32 v15, 2, v15
	s_delay_alu instid0(VALU_DEP_1) | instskip(NEXT) | instid1(VALU_DEP_2)
	v_and_b32_e32 v15, 0xfc, v15
	v_cmp_eq_u64_e32 vcc_lo, 0, v[10:11]
	s_delay_alu instid0(VALU_DEP_2)
	v_and_or_b32 v10, v10, 3, v15
	s_and_b32 s10, s10, vcc_lo
	s_delay_alu instid0(VALU_DEP_1) | instid1(SALU_CYCLE_1)
	v_cndmask_b32_e64 v10, v10, 0, s10
	s_delay_alu instid0(VALU_DEP_1)
	v_or_b32_e32 v115, v10, v2
.LBB4_1057:                             ;   in Loop: Header=BB4_129 Depth=2
	s_or_b32 exec_lo, exec_lo, s42
                                        ; implicit-def: $vgpr2
.LBB4_1058:                             ;   in Loop: Header=BB4_129 Depth=2
	s_and_not1_saveexec_b32 s10, s41
; %bb.1059:                             ;   in Loop: Header=BB4_129 Depth=2
	v_or_b32_e32 v115, 0x7b, v2
; %bb.1060:                             ;   in Loop: Header=BB4_129 Depth=2
	s_or_b32 exec_lo, exec_lo, s10
                                        ; implicit-def: $vgpr10
                                        ; implicit-def: $vgpr2
.LBB4_1061:                             ;   in Loop: Header=BB4_129 Depth=2
	s_and_not1_saveexec_b32 s10, s40
	s_cbranch_execz .LBB4_1067
; %bb.1062:                             ;   in Loop: Header=BB4_129 Depth=2
	s_mov_b32 s40, exec_lo
                                        ; implicit-def: $vgpr115
	v_cmpx_ne_u64_e32 0, v[38:39]
	s_xor_b32 s40, exec_lo, s40
; %bb.1063:                             ;   in Loop: Header=BB4_129 Depth=2
	v_or_b32_e32 v115, 0x7f, v2
                                        ; implicit-def: $vgpr10
; %bb.1064:                             ;   in Loop: Header=BB4_129 Depth=2
	s_and_not1_saveexec_b32 s40, s40
; %bb.1065:                             ;   in Loop: Header=BB4_129 Depth=2
	v_cmp_lt_i32_e32 vcc_lo, -1, v10
	v_cndmask_b32_e32 v115, 0xfc, v122, vcc_lo
; %bb.1066:                             ;   in Loop: Header=BB4_129 Depth=2
	s_or_b32 exec_lo, exec_lo, s40
.LBB4_1067:                             ;   in Loop: Header=BB4_129 Depth=2
	s_delay_alu instid0(SALU_CYCLE_1)
	s_or_b32 exec_lo, exec_lo, s10
	v_mov_b32_e32 v2, 0
	s_mov_b32 s10, exec_lo
	v_cmpx_lt_u64_e64 s[12:13], v[12:13]
	s_cbranch_execz .LBB4_1077
; %bb.1068:                             ;   in Loop: Header=BB4_129 Depth=2
	v_lshrrev_b32_e32 v10, 24, v13
	v_bfrev_b32_e32 v2, 1
	s_mov_b32 s40, exec_lo
	s_delay_alu instid0(VALU_DEP_2)
	v_cmpx_ne_u32_e32 0x80, v10
	s_cbranch_execz .LBB4_1076
; %bb.1069:                             ;   in Loop: Header=BB4_129 Depth=2
	v_and_b32_e32 v2, 0x7c000000, v13
	v_bfe_u32 v11, v13, 24, 2
	s_delay_alu instid0(VALU_DEP_2) | instskip(SKIP_1) | instid1(SALU_CYCLE_1)
	v_cmp_ne_u32_e32 vcc_lo, 0x7c000000, v2
                                        ; implicit-def: $vgpr2
	s_and_saveexec_b32 s41, vcc_lo
	s_xor_b32 s41, exec_lo, s41
	s_cbranch_execz .LBB4_1073
; %bb.1070:                             ;   in Loop: Header=BB4_129 Depth=2
	v_bfe_u32 v2, v13, 26, 5
	s_mov_b32 s42, exec_lo
	s_delay_alu instid0(VALU_DEP_1)
	v_cmpx_eq_u32_e32 0, v2
; %bb.1071:                             ;   in Loop: Header=BB4_129 Depth=2
	v_clz_i32_u32_e32 v2, v11
	s_delay_alu instid0(VALU_DEP_1) | instskip(NEXT) | instid1(VALU_DEP_1)
	v_min_u32_e32 v2, 32, v2
	v_subrev_nc_u32_e32 v11, 29, v2
	v_sub_nc_u32_e32 v2, 30, v2
	s_delay_alu instid0(VALU_DEP_2) | instskip(NEXT) | instid1(VALU_DEP_1)
	v_lshlrev_b64_e32 v[10:11], v11, v[10:11]
	v_and_b32_e32 v11, 3, v10
; %bb.1072:                             ;   in Loop: Header=BB4_129 Depth=2
	s_or_b32 exec_lo, exec_lo, s42
	v_and_b32_e32 v10, 0x80000000, v13
                                        ; implicit-def: $vgpr12_vgpr13
	s_delay_alu instid0(VALU_DEP_1) | instskip(NEXT) | instid1(VALU_DEP_1)
	v_lshl_add_u32 v2, v2, 23, v10
	v_lshl_or_b32 v2, v11, 21, v2
                                        ; implicit-def: $vgpr11
	s_delay_alu instid0(VALU_DEP_1)
	v_add_nc_u32_e32 v2, 0x38000000, v2
.LBB4_1073:                             ;   in Loop: Header=BB4_129 Depth=2
	s_and_not1_saveexec_b32 s41, s41
; %bb.1074:                             ;   in Loop: Header=BB4_129 Depth=2
	v_cmp_lt_i64_e32 vcc_lo, -1, v[12:13]
	v_cndmask_b32_e32 v2, 0xff800000, v126, vcc_lo
	v_cmp_eq_u32_e32 vcc_lo, 0, v11
	s_delay_alu instid0(VALU_DEP_2)
	v_cndmask_b32_e32 v2, 0x7f800001, v2, vcc_lo
; %bb.1075:                             ;   in Loop: Header=BB4_129 Depth=2
	s_or_b32 exec_lo, exec_lo, s41
.LBB4_1076:                             ;   in Loop: Header=BB4_129 Depth=2
	s_delay_alu instid0(SALU_CYCLE_1)
	s_or_b32 exec_lo, exec_lo, s40
.LBB4_1077:                             ;   in Loop: Header=BB4_129 Depth=2
	s_delay_alu instid0(SALU_CYCLE_1) | instskip(NEXT) | instid1(VALU_DEP_1)
	s_or_b32 exec_lo, exec_lo, s10
	v_dual_mul_f32 v10, s29, v2 :: v_dual_mov_b32 v13, v39
                                        ; implicit-def: $vgpr118
	s_mov_b32 s10, exec_lo
	s_delay_alu instid0(VALU_DEP_1) | instskip(SKIP_2) | instid1(VALU_DEP_3)
	v_and_b32_e32 v12, 0x7f800000, v10
	v_and_b32_e32 v38, 0x7fffff, v10
	v_lshrrev_b32_e32 v2, 24, v10
	v_cmpx_ne_u64_e32 0x7f800000, v[12:13]
	s_xor_b32 s29, exec_lo, s10
	s_cbranch_execz .LBB4_1091
; %bb.1078:                             ;   in Loop: Header=BB4_129 Depth=2
	v_and_b32_e32 v12, 0x7fffffff, v10
	v_mov_b32_e32 v13, v39
	v_and_b32_e32 v2, 0x80, v2
                                        ; implicit-def: $vgpr118
	s_mov_b32 s10, exec_lo
	s_delay_alu instid0(VALU_DEP_2)
	v_cmpx_gt_u64_e32 0x47600001, v[12:13]
	s_xor_b32 s40, exec_lo, s10
	s_cbranch_execz .LBB4_1088
; %bb.1079:                             ;   in Loop: Header=BB4_129 Depth=2
	v_mov_b32_e32 v118, 0
	s_mov_b32 s41, exec_lo
	v_cmpx_ne_u32_e32 0, v10
	s_cbranch_execz .LBB4_1087
; %bb.1080:                             ;   in Loop: Header=BB4_129 Depth=2
	v_bfe_u32 v14, v10, 23, 8
	v_or_b32_e32 v12, 0x800000, v38
	s_mov_b32 s42, exec_lo
	s_delay_alu instid0(VALU_DEP_2) | instskip(SKIP_1) | instid1(VALU_DEP_2)
	v_dual_mov_b32 v13, v39 :: v_dual_sub_nc_u32 v10, 0x71, v14
	v_cmp_gt_u32_e32 vcc_lo, 0x72, v14
	v_cndmask_b32_e32 v10, 0, v10, vcc_lo
	v_cmp_eq_u32_e32 vcc_lo, 0, v14
	s_delay_alu instid0(VALU_DEP_2) | instskip(NEXT) | instid1(VALU_DEP_1)
	v_cndmask_b32_e64 v15, v10, 0x70, vcc_lo
	v_dual_cndmask_b32 v12, v12, v38, vcc_lo :: v_dual_add_nc_u32 v10, 21, v15
	v_add_nc_u32_e32 v16, 20, v15
	s_delay_alu instid0(VALU_DEP_2) | instskip(NEXT) | instid1(VALU_DEP_2)
	v_lshlrev_b64_e64 v[10:11], v10, -1
	v_lshlrev_b64_e64 v[16:17], v16, 1
	s_delay_alu instid0(VALU_DEP_2) | instskip(NEXT) | instid1(VALU_DEP_3)
	v_bfi_b32 v21, v11, 0, 0
	v_bfi_b32 v20, v10, 0, v12
	v_lshrrev_b64 v[10:11], v15, v[12:13]
	s_delay_alu instid0(VALU_DEP_1) | instskip(NEXT) | instid1(VALU_DEP_3)
	v_mov_b64_e32 v[12:13], v[10:11]
	v_cmpx_eq_u64_e64 v[20:21], v[16:17]
; %bb.1081:                             ;   in Loop: Header=BB4_129 Depth=2
	v_bfe_u32 v12, v10, 21, 1
	v_mov_b32_e32 v13, v39
	s_delay_alu instid0(VALU_DEP_1) | instskip(NEXT) | instid1(VALU_DEP_1)
	v_add_nc_u64_e32 v[12:13], v[10:11], v[12:13]
	v_add_nc_u64_e32 v[12:13], -1, v[12:13]
; %bb.1082:                             ;   in Loop: Header=BB4_129 Depth=2
	s_or_b32 exec_lo, exec_lo, s42
	v_add_nc_u32_e32 v11, 0xffffff81, v14
	v_lshrrev_b32_e32 v13, 23, v10
	s_mov_b32 s10, exec_lo
	s_delay_alu instid0(VALU_DEP_2) | instskip(NEXT) | instid1(VALU_DEP_1)
	v_cndmask_b32_e64 v11, v11, 0xffffff82, vcc_lo
	v_add3_u32 v13, v15, v11, v13
	v_and_b32_e32 v11, 0x1fffff, v12
                                        ; implicit-def: $vgpr12
	s_delay_alu instid0(VALU_DEP_1) | instskip(NEXT) | instid1(VALU_DEP_1)
	v_dual_add_nc_u32 v14, 14, v13 :: v_dual_add_nc_u32 v38, v11, v10
                                        ; implicit-def: $vgpr10_vgpr11
	v_cmpx_ne_u32_e32 0, v14
	s_xor_b32 s10, exec_lo, s10
; %bb.1083:                             ;   in Loop: Header=BB4_129 Depth=2
	s_delay_alu instid0(VALU_DEP_2) | instskip(SKIP_1) | instid1(VALU_DEP_1)
	v_cmp_lt_u64_e32 vcc_lo, 0xffffff, v[38:39]
	v_add_nc_u32_e32 v10, 15, v13
	v_cndmask_b32_e32 v12, v14, v10, vcc_lo
	v_cndmask_b32_e64 v10, 0, 1, vcc_lo
	s_delay_alu instid0(VALU_DEP_1)
	v_lshrrev_b64 v[10:11], v10, v[38:39]
; %bb.1084:                             ;   in Loop: Header=BB4_129 Depth=2
	s_and_not1_saveexec_b32 s10, s10
; %bb.1085:                             ;   in Loop: Header=BB4_129 Depth=2
	v_mov_b64_e32 v[10:11], v[38:39]
	v_bfe_u32 v12, v38, 23, 1
; %bb.1086:                             ;   in Loop: Header=BB4_129 Depth=2
	s_or_b32 exec_lo, exec_lo, s10
	s_delay_alu instid0(VALU_DEP_2) | instskip(NEXT) | instid1(VALU_DEP_2)
	v_lshrrev_b64 v[10:11], 21, v[10:11]
	v_cmp_gt_i32_e32 vcc_lo, 32, v12
	v_min_i32_e32 v13, 31, v12
	v_cmp_eq_u32_e64 s10, 0, v12
	s_delay_alu instid0(VALU_DEP_2) | instskip(SKIP_1) | instid1(VALU_DEP_2)
	v_dual_cndmask_b32 v11, 0, v11, vcc_lo :: v_dual_lshlrev_b32 v13, 2, v13
	v_cndmask_b32_e32 v10, 3, v10, vcc_lo
	v_and_b32_e32 v13, 0xfc, v13
	s_delay_alu instid0(VALU_DEP_2) | instskip(NEXT) | instid1(VALU_DEP_2)
	v_cmp_eq_u64_e32 vcc_lo, 0, v[10:11]
	v_and_or_b32 v10, v10, 3, v13
	s_and_b32 s10, s10, vcc_lo
	s_delay_alu instid0(VALU_DEP_1) | instid1(SALU_CYCLE_1)
	v_cndmask_b32_e64 v10, v10, 0, s10
	s_delay_alu instid0(VALU_DEP_1)
	v_or_b32_e32 v118, v10, v2
.LBB4_1087:                             ;   in Loop: Header=BB4_129 Depth=2
	s_or_b32 exec_lo, exec_lo, s41
                                        ; implicit-def: $vgpr2
.LBB4_1088:                             ;   in Loop: Header=BB4_129 Depth=2
	s_and_not1_saveexec_b32 s10, s40
; %bb.1089:                             ;   in Loop: Header=BB4_129 Depth=2
	v_or_b32_e32 v118, 0x7b, v2
; %bb.1090:                             ;   in Loop: Header=BB4_129 Depth=2
	s_or_b32 exec_lo, exec_lo, s10
                                        ; implicit-def: $vgpr10
                                        ; implicit-def: $vgpr2
.LBB4_1091:                             ;   in Loop: Header=BB4_129 Depth=2
	s_and_not1_saveexec_b32 s10, s29
	s_cbranch_execz .LBB4_1097
; %bb.1092:                             ;   in Loop: Header=BB4_129 Depth=2
	s_mov_b32 s29, exec_lo
                                        ; implicit-def: $vgpr118
	v_cmpx_ne_u64_e32 0, v[38:39]
	s_xor_b32 s29, exec_lo, s29
; %bb.1093:                             ;   in Loop: Header=BB4_129 Depth=2
	v_or_b32_e32 v118, 0x7f, v2
                                        ; implicit-def: $vgpr10
; %bb.1094:                             ;   in Loop: Header=BB4_129 Depth=2
	s_and_not1_saveexec_b32 s29, s29
; %bb.1095:                             ;   in Loop: Header=BB4_129 Depth=2
	v_cmp_lt_i32_e32 vcc_lo, -1, v10
	v_cndmask_b32_e32 v118, 0xfc, v122, vcc_lo
; %bb.1096:                             ;   in Loop: Header=BB4_129 Depth=2
	s_or_b32 exec_lo, exec_lo, s29
.LBB4_1097:                             ;   in Loop: Header=BB4_129 Depth=2
	s_delay_alu instid0(SALU_CYCLE_1)
	s_or_b32 exec_lo, exec_lo, s10
	s_clause 0x1
	global_load_b128 v[14:17], v[98:99], off th:TH_LOAD_NT
	global_load_b128 v[10:13], v[98:99], off offset:512 th:TH_LOAD_NT
	v_lshl_or_b32 v2, v30, 8, v0
	v_dual_lshlrev_b32 v20, 16, v100 :: v_dual_lshlrev_b32 v21, 24, v101
	v_dual_mov_b32 v30, 0 :: v_dual_mov_b32 v100, 0
	s_mov_b32 s10, exec_lo
	s_delay_alu instid0(VALU_DEP_2)
	v_or3_b32 v38, v20, v21, v2
	s_wait_xcnt 0x0
	v_cmpx_ne_u32_e32 0, v0
	s_cbranch_execz .LBB4_1107
; %bb.1098:                             ;   in Loop: Header=BB4_129 Depth=2
	v_bfrev_b32_e32 v100, 1
	s_mov_b32 s29, exec_lo
	v_cmpx_ne_u32_e32 0x80, v0
	s_cbranch_execz .LBB4_1106
; %bb.1099:                             ;   in Loop: Header=BB4_129 Depth=2
	v_and_b32_e32 v21, 0x7c, v0
	v_and_b32_e32 v20, 3, v0
	s_mov_b32 s40, exec_lo
                                        ; implicit-def: $vgpr100
	s_delay_alu instid0(VALU_DEP_2)
	v_cmpx_ne_u32_e32 0x7c, v21
	s_xor_b32 s40, exec_lo, s40
	s_cbranch_execz .LBB4_1103
; %bb.1100:                             ;   in Loop: Header=BB4_129 Depth=2
	v_bfe_u32 v21, v0, 2, 5
	s_mov_b32 s41, exec_lo
	s_delay_alu instid0(VALU_DEP_1)
	v_cmpx_eq_u32_e32 0, v21
; %bb.1101:                             ;   in Loop: Header=BB4_129 Depth=2
	v_clz_i32_u32_e32 v20, v20
	s_delay_alu instid0(VALU_DEP_1) | instskip(NEXT) | instid1(VALU_DEP_1)
	v_min_u32_e32 v24, 32, v20
	v_subrev_nc_u32_e32 v20, 29, v24
	s_delay_alu instid0(VALU_DEP_1) | instskip(SKIP_1) | instid1(VALU_DEP_2)
	v_lshlrev_b64_e32 v[20:21], v20, v[38:39]
	v_sub_nc_u32_e32 v21, 30, v24
	v_and_b32_e32 v20, 3, v20
; %bb.1102:                             ;   in Loop: Header=BB4_129 Depth=2
	s_or_b32 exec_lo, exec_lo, s41
	v_lshlrev_b32_e32 v0, 24, v0
	s_delay_alu instid0(VALU_DEP_1) | instskip(NEXT) | instid1(VALU_DEP_1)
	v_and_b32_e32 v0, 0x80000000, v0
	v_lshl_add_u32 v0, v21, 23, v0
	s_delay_alu instid0(VALU_DEP_1) | instskip(NEXT) | instid1(VALU_DEP_1)
	v_lshl_or_b32 v0, v20, 21, v0
                                        ; implicit-def: $vgpr20
	v_add_nc_u32_e32 v100, 0x38000000, v0
                                        ; implicit-def: $vgpr0
.LBB4_1103:                             ;   in Loop: Header=BB4_129 Depth=2
	s_and_not1_saveexec_b32 s40, s40
; %bb.1104:                             ;   in Loop: Header=BB4_129 Depth=2
	v_and_b32_e32 v0, 0x80, v0
	s_delay_alu instid0(VALU_DEP_1) | instskip(SKIP_2) | instid1(VALU_DEP_2)
	v_cmp_eq_u32_e32 vcc_lo, 0, v0
	v_cndmask_b32_e32 v0, 0xff800000, v126, vcc_lo
	v_cmp_eq_u32_e32 vcc_lo, 0, v20
	v_cndmask_b32_e32 v100, 0x7f800001, v0, vcc_lo
; %bb.1105:                             ;   in Loop: Header=BB4_129 Depth=2
	s_or_b32 exec_lo, exec_lo, s40
.LBB4_1106:                             ;   in Loop: Header=BB4_129 Depth=2
	s_delay_alu instid0(SALU_CYCLE_1)
	s_or_b32 exec_lo, exec_lo, s29
.LBB4_1107:                             ;   in Loop: Header=BB4_129 Depth=2
	s_delay_alu instid0(SALU_CYCLE_1) | instskip(SKIP_3) | instid1(VALU_DEP_1)
	s_or_b32 exec_lo, exec_lo, s10
	s_wait_loadcnt 0x1
	v_and_b32_e32 v0, 0xff, v14
	s_mov_b32 s10, exec_lo
	v_cmpx_ne_u16_e32 0, v0
	s_cbranch_execz .LBB4_1117
; %bb.1108:                             ;   in Loop: Header=BB4_129 Depth=2
	v_bfe_i32 v20, v14, 0, 8
	v_bfrev_b32_e32 v30, 1
	s_mov_b32 s29, exec_lo
	s_delay_alu instid0(VALU_DEP_2)
	v_cmpx_ne_u16_e32 0xff80, v20
	s_cbranch_execz .LBB4_1116
; %bb.1109:                             ;   in Loop: Header=BB4_129 Depth=2
	v_and_b32_e32 v21, 0x7c, v14
	v_and_b32_e32 v0, 3, v14
	s_mov_b32 s40, exec_lo
                                        ; implicit-def: $vgpr30
	s_delay_alu instid0(VALU_DEP_2)
	v_cmpx_ne_u32_e32 0x7c, v21
	s_xor_b32 s40, exec_lo, s40
	s_cbranch_execz .LBB4_1113
; %bb.1110:                             ;   in Loop: Header=BB4_129 Depth=2
	v_bfe_u32 v20, v14, 2, 5
	s_mov_b32 s41, exec_lo
	s_delay_alu instid0(VALU_DEP_1)
	v_cmpx_eq_u32_e32 0, v20
; %bb.1111:                             ;   in Loop: Header=BB4_129 Depth=2
	v_clz_i32_u32_e32 v0, v0
	s_delay_alu instid0(VALU_DEP_1) | instskip(NEXT) | instid1(VALU_DEP_1)
	v_min_u32_e32 v0, 32, v0
	v_subrev_nc_u32_e32 v20, 29, v0
	s_delay_alu instid0(VALU_DEP_1) | instskip(SKIP_1) | instid1(VALU_DEP_2)
	v_lshlrev_b64_e32 v[24:25], v20, v[14:15]
	v_sub_nc_u32_e32 v20, 30, v0
	v_and_b32_e32 v0, 3, v24
; %bb.1112:                             ;   in Loop: Header=BB4_129 Depth=2
	s_or_b32 exec_lo, exec_lo, s41
	v_lshlrev_b32_e32 v21, 24, v14
	s_delay_alu instid0(VALU_DEP_1) | instskip(NEXT) | instid1(VALU_DEP_1)
	v_and_b32_e32 v21, 0x80000000, v21
	v_lshl_add_u32 v20, v20, 23, v21
	s_delay_alu instid0(VALU_DEP_1) | instskip(NEXT) | instid1(VALU_DEP_1)
	v_lshl_or_b32 v0, v0, 21, v20
                                        ; implicit-def: $vgpr20
	v_add_nc_u32_e32 v30, 0x38000000, v0
                                        ; implicit-def: $vgpr0
.LBB4_1113:                             ;   in Loop: Header=BB4_129 Depth=2
	s_and_not1_saveexec_b32 s40, s40
; %bb.1114:                             ;   in Loop: Header=BB4_129 Depth=2
	v_cmp_lt_i16_e32 vcc_lo, -1, v20
	v_cndmask_b32_e32 v20, 0xff800000, v126, vcc_lo
	v_cmp_eq_u32_e32 vcc_lo, 0, v0
	s_delay_alu instid0(VALU_DEP_2)
	v_cndmask_b32_e32 v30, 0x7f800001, v20, vcc_lo
; %bb.1115:                             ;   in Loop: Header=BB4_129 Depth=2
	s_or_b32 exec_lo, exec_lo, s40
.LBB4_1116:                             ;   in Loop: Header=BB4_129 Depth=2
	s_delay_alu instid0(SALU_CYCLE_1)
	s_or_b32 exec_lo, exec_lo, s29
.LBB4_1117:                             ;   in Loop: Header=BB4_129 Depth=2
	s_delay_alu instid0(SALU_CYCLE_1) | instskip(NEXT) | instid1(VALU_DEP_1)
	s_or_b32 exec_lo, exec_lo, s10
	v_dual_add_f32 v30, v100, v30 :: v_dual_mov_b32 v21, v39
	v_mov_b32_e32 v101, v39
                                        ; implicit-def: $vgpr112
	s_mov_b32 s10, exec_lo
	s_delay_alu instid0(VALU_DEP_2) | instskip(SKIP_2) | instid1(VALU_DEP_3)
	v_and_b32_e32 v20, 0x7f800000, v30
	v_and_b32_e32 v100, 0x7fffff, v30
	v_lshrrev_b32_e32 v0, 24, v30
	v_cmpx_ne_u64_e32 0x7f800000, v[20:21]
	s_xor_b32 s29, exec_lo, s10
	s_cbranch_execz .LBB4_1131
; %bb.1118:                             ;   in Loop: Header=BB4_129 Depth=2
	v_and_b32_e32 v20, 0x7fffffff, v30
	v_mov_b32_e32 v21, v39
	v_and_b32_e32 v0, 0x80, v0
                                        ; implicit-def: $vgpr112
	s_mov_b32 s10, exec_lo
	s_delay_alu instid0(VALU_DEP_2)
	v_cmpx_gt_u64_e32 0x47600001, v[20:21]
	s_xor_b32 s40, exec_lo, s10
	s_cbranch_execz .LBB4_1128
; %bb.1119:                             ;   in Loop: Header=BB4_129 Depth=2
	v_mov_b32_e32 v112, 0
	s_mov_b32 s41, exec_lo
	v_cmpx_ne_u32_e32 0, v30
	s_cbranch_execz .LBB4_1127
; %bb.1120:                             ;   in Loop: Header=BB4_129 Depth=2
	v_bfe_u32 v20, v30, 23, 8
	v_or_b32_e32 v30, 0x800000, v100
	s_mov_b32 s42, exec_lo
	s_delay_alu instid0(VALU_DEP_2) | instskip(SKIP_1) | instid1(VALU_DEP_2)
	v_sub_nc_u32_e32 v21, 0x71, v20
	v_cmp_gt_u32_e32 vcc_lo, 0x72, v20
	v_cndmask_b32_e32 v21, 0, v21, vcc_lo
	v_cmp_eq_u32_e32 vcc_lo, 0, v20
	v_cndmask_b32_e32 v100, v30, v100, vcc_lo
	s_delay_alu instid0(VALU_DEP_3) | instskip(NEXT) | instid1(VALU_DEP_1)
	v_cndmask_b32_e64 v21, v21, 0x70, vcc_lo
	v_dual_add_nc_u32 v24, 21, v21 :: v_dual_add_nc_u32 v31, 20, v21
	s_delay_alu instid0(VALU_DEP_1) | instskip(NEXT) | instid1(VALU_DEP_2)
	v_lshlrev_b64_e64 v[24:25], v24, -1
	v_lshlrev_b64_e64 v[30:31], v31, 1
	s_delay_alu instid0(VALU_DEP_2) | instskip(SKIP_1) | instid1(VALU_DEP_4)
	v_bfi_b32 v24, v24, 0, v100
	v_lshrrev_b64 v[100:101], v21, v[100:101]
	v_bfi_b32 v25, v25, 0, 0
	s_delay_alu instid0(VALU_DEP_2) | instskip(NEXT) | instid1(VALU_DEP_2)
	v_mov_b64_e32 v[102:103], v[100:101]
	v_cmpx_eq_u64_e64 v[24:25], v[30:31]
; %bb.1121:                             ;   in Loop: Header=BB4_129 Depth=2
	v_bfe_u32 v24, v100, 21, 1
	v_mov_b32_e32 v25, v39
	s_delay_alu instid0(VALU_DEP_1) | instskip(NEXT) | instid1(VALU_DEP_1)
	v_add_nc_u64_e32 v[24:25], v[100:101], v[24:25]
	v_add_nc_u64_e32 v[102:103], -1, v[24:25]
; %bb.1122:                             ;   in Loop: Header=BB4_129 Depth=2
	s_or_b32 exec_lo, exec_lo, s42
	v_dual_mov_b32 v101, v39 :: v_dual_add_nc_u32 v20, 0xffffff81, v20
	v_lshrrev_b32_e32 v24, 23, v100
	s_mov_b32 s10, exec_lo
	s_delay_alu instid0(VALU_DEP_2) | instskip(NEXT) | instid1(VALU_DEP_1)
	v_cndmask_b32_e64 v20, v20, 0xffffff82, vcc_lo
	v_add3_u32 v21, v21, v20, v24
	v_and_b32_e32 v20, 0x1fffff, v102
	s_delay_alu instid0(VALU_DEP_1) | instskip(NEXT) | instid1(VALU_DEP_1)
	v_dual_add_nc_u32 v30, 14, v21 :: v_dual_add_nc_u32 v100, v20, v100
                                        ; implicit-def: $vgpr20
	v_cmpx_ne_u32_e32 0, v30
	s_xor_b32 s10, exec_lo, s10
; %bb.1123:                             ;   in Loop: Header=BB4_129 Depth=2
	s_delay_alu instid0(VALU_DEP_2) | instskip(SKIP_2) | instid1(VALU_DEP_2)
	v_cmp_lt_u64_e32 vcc_lo, 0xffffff, v[100:101]
	v_add_nc_u32_e32 v20, 15, v21
	v_cndmask_b32_e64 v21, 0, 1, vcc_lo
	v_cndmask_b32_e32 v20, v30, v20, vcc_lo
	s_delay_alu instid0(VALU_DEP_2)
	v_lshrrev_b64 v[100:101], v21, v[100:101]
; %bb.1124:                             ;   in Loop: Header=BB4_129 Depth=2
	s_and_not1_saveexec_b32 s10, s10
; %bb.1125:                             ;   in Loop: Header=BB4_129 Depth=2
	s_delay_alu instid0(VALU_DEP_1)
	v_bfe_u32 v20, v100, 23, 1
; %bb.1126:                             ;   in Loop: Header=BB4_129 Depth=2
	s_or_b32 exec_lo, exec_lo, s10
	s_delay_alu instid0(VALU_DEP_2) | instskip(NEXT) | instid1(VALU_DEP_2)
	v_lshrrev_b64 v[24:25], 21, v[100:101]
	v_cmp_gt_i32_e32 vcc_lo, 32, v20
	v_min_i32_e32 v21, 31, v20
	v_cmp_eq_u32_e64 s10, 0, v20
	s_delay_alu instid0(VALU_DEP_4) | instskip(NEXT) | instid1(VALU_DEP_3)
	v_cndmask_b32_e32 v25, 0, v25, vcc_lo
	v_dual_cndmask_b32 v24, 3, v24 :: v_dual_lshlrev_b32 v21, 2, v21
	s_delay_alu instid0(VALU_DEP_1) | instskip(NEXT) | instid1(VALU_DEP_2)
	v_and_b32_e32 v21, 0xfc, v21
	v_cmp_eq_u64_e32 vcc_lo, 0, v[24:25]
	s_delay_alu instid0(VALU_DEP_2)
	v_and_or_b32 v20, v24, 3, v21
	s_and_b32 s10, s10, vcc_lo
	s_delay_alu instid0(VALU_DEP_1) | instid1(SALU_CYCLE_1)
	v_cndmask_b32_e64 v20, v20, 0, s10
	s_delay_alu instid0(VALU_DEP_1)
	v_or_b32_e32 v112, v20, v0
.LBB4_1127:                             ;   in Loop: Header=BB4_129 Depth=2
	s_or_b32 exec_lo, exec_lo, s41
                                        ; implicit-def: $vgpr0
.LBB4_1128:                             ;   in Loop: Header=BB4_129 Depth=2
	s_and_not1_saveexec_b32 s10, s40
; %bb.1129:                             ;   in Loop: Header=BB4_129 Depth=2
	v_or_b32_e32 v112, 0x7b, v0
; %bb.1130:                             ;   in Loop: Header=BB4_129 Depth=2
	s_or_b32 exec_lo, exec_lo, s10
                                        ; implicit-def: $vgpr30
                                        ; implicit-def: $vgpr100_vgpr101
                                        ; implicit-def: $vgpr0
.LBB4_1131:                             ;   in Loop: Header=BB4_129 Depth=2
	s_and_not1_saveexec_b32 s10, s29
	s_cbranch_execz .LBB4_1137
; %bb.1132:                             ;   in Loop: Header=BB4_129 Depth=2
	s_mov_b32 s29, exec_lo
                                        ; implicit-def: $vgpr112
	v_cmpx_ne_u64_e32 0, v[100:101]
	s_xor_b32 s29, exec_lo, s29
; %bb.1133:                             ;   in Loop: Header=BB4_129 Depth=2
	v_or_b32_e32 v112, 0x7f, v0
                                        ; implicit-def: $vgpr30
; %bb.1134:                             ;   in Loop: Header=BB4_129 Depth=2
	s_and_not1_saveexec_b32 s29, s29
; %bb.1135:                             ;   in Loop: Header=BB4_129 Depth=2
	v_cmp_lt_i32_e32 vcc_lo, -1, v30
	v_cndmask_b32_e32 v112, 0xfc, v122, vcc_lo
; %bb.1136:                             ;   in Loop: Header=BB4_129 Depth=2
	s_or_b32 exec_lo, exec_lo, s29
.LBB4_1137:                             ;   in Loop: Header=BB4_129 Depth=2
	s_delay_alu instid0(SALU_CYCLE_1) | instskip(SKIP_3) | instid1(VALU_DEP_2)
	s_or_b32 exec_lo, exec_lo, s10
	v_lshrrev_b16 v100, 8, v2
	v_dual_mov_b32 v0, 0 :: v_dual_mov_b32 v30, 0
	s_mov_b32 s10, exec_lo
	v_cmpx_ne_u16_e32 0, v100
	s_cbranch_execz .LBB4_1147
; %bb.1138:                             ;   in Loop: Header=BB4_129 Depth=2
	v_bfrev_b32_e32 v30, 1
	s_mov_b32 s29, exec_lo
	v_cmpx_ne_u16_e32 0x80, v100
	s_cbranch_execz .LBB4_1146
; %bb.1139:                             ;   in Loop: Header=BB4_129 Depth=2
	v_and_b32_e32 v21, 0xffff, v100
	s_mov_b32 s40, exec_lo
                                        ; implicit-def: $vgpr30
	s_delay_alu instid0(VALU_DEP_1) | instskip(SKIP_1) | instid1(VALU_DEP_2)
	v_and_b32_e32 v24, 0x7c, v21
	v_and_b32_e32 v20, 3, v21
	v_cmpx_ne_u32_e32 0x7c, v24
	s_xor_b32 s40, exec_lo, s40
	s_cbranch_execz .LBB4_1143
; %bb.1140:                             ;   in Loop: Header=BB4_129 Depth=2
	v_bfe_u32 v21, v21, 2, 5
	s_mov_b32 s41, exec_lo
	s_delay_alu instid0(VALU_DEP_1)
	v_cmpx_eq_u32_e32 0, v21
	s_cbranch_execz .LBB4_1142
; %bb.1141:                             ;   in Loop: Header=BB4_129 Depth=2
	v_clz_i32_u32_e32 v20, v20
	s_delay_alu instid0(VALU_DEP_1) | instskip(SKIP_1) | instid1(VALU_DEP_2)
	v_min_u32_e32 v24, 32, v20
	v_mov_b32_e32 v101, v39
	v_subrev_nc_u32_e32 v20, 29, v24
	s_delay_alu instid0(VALU_DEP_1) | instskip(SKIP_1) | instid1(VALU_DEP_2)
	v_lshlrev_b64_e32 v[20:21], v20, v[100:101]
	v_sub_nc_u32_e32 v21, 30, v24
	v_and_b32_e32 v20, 3, v20
.LBB4_1142:                             ;   in Loop: Header=BB4_129 Depth=2
	s_or_b32 exec_lo, exec_lo, s41
	v_lshlrev_b32_e32 v2, 16, v2
	s_delay_alu instid0(VALU_DEP_1) | instskip(NEXT) | instid1(VALU_DEP_1)
	v_and_b32_e32 v2, 0x80000000, v2
	v_lshl_add_u32 v2, v21, 23, v2
	s_delay_alu instid0(VALU_DEP_1) | instskip(NEXT) | instid1(VALU_DEP_1)
	v_lshl_or_b32 v2, v20, 21, v2
                                        ; implicit-def: $vgpr20
	v_add_nc_u32_e32 v30, 0x38000000, v2
                                        ; implicit-def: $vgpr2
.LBB4_1143:                             ;   in Loop: Header=BB4_129 Depth=2
	s_and_not1_saveexec_b32 s40, s40
; %bb.1144:                             ;   in Loop: Header=BB4_129 Depth=2
	v_cmp_lt_i16_e32 vcc_lo, -1, v2
	v_cndmask_b32_e32 v2, 0xff800000, v126, vcc_lo
	v_cmp_eq_u32_e32 vcc_lo, 0, v20
	s_delay_alu instid0(VALU_DEP_2)
	v_cndmask_b32_e32 v30, 0x7f800001, v2, vcc_lo
; %bb.1145:                             ;   in Loop: Header=BB4_129 Depth=2
	s_or_b32 exec_lo, exec_lo, s40
.LBB4_1146:                             ;   in Loop: Header=BB4_129 Depth=2
	s_delay_alu instid0(SALU_CYCLE_1)
	s_or_b32 exec_lo, exec_lo, s29
.LBB4_1147:                             ;   in Loop: Header=BB4_129 Depth=2
	s_delay_alu instid0(SALU_CYCLE_1) | instskip(SKIP_2) | instid1(VALU_DEP_1)
	s_or_b32 exec_lo, exec_lo, s10
	v_lshrrev_b16 v100, 8, v14
	s_mov_b32 s10, exec_lo
	v_cmpx_ne_u16_e32 0, v100
	s_cbranch_execz .LBB4_1157
; %bb.1148:                             ;   in Loop: Header=BB4_129 Depth=2
	v_bfrev_b32_e32 v0, 1
	s_mov_b32 s29, exec_lo
	v_cmpx_ne_u16_e32 0x80, v100
	s_cbranch_execz .LBB4_1156
; %bb.1149:                             ;   in Loop: Header=BB4_129 Depth=2
	v_and_b32_e32 v20, 0xffff, v100
	s_delay_alu instid0(VALU_DEP_1) | instskip(SKIP_1) | instid1(VALU_DEP_2)
	v_and_b32_e32 v0, 0x7c, v20
	v_and_b32_e32 v2, 3, v20
	v_cmp_ne_u32_e32 vcc_lo, 0x7c, v0
                                        ; implicit-def: $vgpr0
	s_and_saveexec_b32 s40, vcc_lo
	s_delay_alu instid0(SALU_CYCLE_1)
	s_xor_b32 s40, exec_lo, s40
	s_cbranch_execz .LBB4_1153
; %bb.1150:                             ;   in Loop: Header=BB4_129 Depth=2
	v_bfe_u32 v0, v20, 2, 5
	s_mov_b32 s41, exec_lo
	s_delay_alu instid0(VALU_DEP_1)
	v_cmpx_eq_u32_e32 0, v0
	s_cbranch_execz .LBB4_1152
; %bb.1151:                             ;   in Loop: Header=BB4_129 Depth=2
	v_clz_i32_u32_e32 v0, v2
	s_delay_alu instid0(VALU_DEP_1) | instskip(SKIP_1) | instid1(VALU_DEP_2)
	v_min_u32_e32 v0, 32, v0
	v_mov_b32_e32 v101, v39
	v_subrev_nc_u32_e32 v2, 29, v0
	v_sub_nc_u32_e32 v0, 30, v0
	s_delay_alu instid0(VALU_DEP_2) | instskip(NEXT) | instid1(VALU_DEP_1)
	v_lshlrev_b64_e32 v[20:21], v2, v[100:101]
	v_and_b32_e32 v2, 3, v20
.LBB4_1152:                             ;   in Loop: Header=BB4_129 Depth=2
	s_or_b32 exec_lo, exec_lo, s41
	v_lshlrev_b32_e32 v20, 16, v14
	s_delay_alu instid0(VALU_DEP_1) | instskip(NEXT) | instid1(VALU_DEP_1)
	v_and_b32_e32 v20, 0x80000000, v20
	v_lshl_add_u32 v0, v0, 23, v20
	s_delay_alu instid0(VALU_DEP_1) | instskip(NEXT) | instid1(VALU_DEP_1)
	v_lshl_or_b32 v0, v2, 21, v0
                                        ; implicit-def: $vgpr2
	v_add_nc_u32_e32 v0, 0x38000000, v0
.LBB4_1153:                             ;   in Loop: Header=BB4_129 Depth=2
	s_and_not1_saveexec_b32 s40, s40
; %bb.1154:                             ;   in Loop: Header=BB4_129 Depth=2
	v_cmp_lt_i16_e32 vcc_lo, -1, v14
	v_cndmask_b32_e32 v0, 0xff800000, v126, vcc_lo
	v_cmp_eq_u32_e32 vcc_lo, 0, v2
	s_delay_alu instid0(VALU_DEP_2)
	v_cndmask_b32_e32 v0, 0x7f800001, v0, vcc_lo
; %bb.1155:                             ;   in Loop: Header=BB4_129 Depth=2
	s_or_b32 exec_lo, exec_lo, s40
.LBB4_1156:                             ;   in Loop: Header=BB4_129 Depth=2
	s_delay_alu instid0(SALU_CYCLE_1)
	s_or_b32 exec_lo, exec_lo, s29
.LBB4_1157:                             ;   in Loop: Header=BB4_129 Depth=2
	s_delay_alu instid0(SALU_CYCLE_1) | instskip(NEXT) | instid1(VALU_DEP_1)
	s_or_b32 exec_lo, exec_lo, s10
	v_dual_add_f32 v30, v30, v0 :: v_dual_mov_b32 v21, v39
	v_mov_b32_e32 v101, v39
                                        ; implicit-def: $vgpr0
	s_mov_b32 s10, exec_lo
	s_delay_alu instid0(VALU_DEP_2) | instskip(SKIP_2) | instid1(VALU_DEP_3)
	v_and_b32_e32 v20, 0x7f800000, v30
	v_and_b32_e32 v100, 0x7fffff, v30
	v_lshrrev_b32_e32 v2, 24, v30
	v_cmpx_ne_u64_e32 0x7f800000, v[20:21]
	s_xor_b32 s29, exec_lo, s10
	s_cbranch_execz .LBB4_1171
; %bb.1158:                             ;   in Loop: Header=BB4_129 Depth=2
	v_and_b32_e32 v20, 0x7fffffff, v30
	v_mov_b32_e32 v21, v39
	v_and_b32_e32 v2, 0x80, v2
                                        ; implicit-def: $vgpr0
	s_mov_b32 s10, exec_lo
	s_delay_alu instid0(VALU_DEP_2)
	v_cmpx_gt_u64_e32 0x47600001, v[20:21]
	s_xor_b32 s40, exec_lo, s10
	s_cbranch_execz .LBB4_1168
; %bb.1159:                             ;   in Loop: Header=BB4_129 Depth=2
	v_mov_b32_e32 v0, 0
	s_mov_b32 s41, exec_lo
	v_cmpx_ne_u32_e32 0, v30
	s_cbranch_execz .LBB4_1167
; %bb.1160:                             ;   in Loop: Header=BB4_129 Depth=2
	v_bfe_u32 v0, v30, 23, 8
	v_or_b32_e32 v30, 0x800000, v100
	s_mov_b32 s42, exec_lo
	s_delay_alu instid0(VALU_DEP_2) | instskip(SKIP_1) | instid1(VALU_DEP_2)
	v_sub_nc_u32_e32 v20, 0x71, v0
	v_cmp_gt_u32_e32 vcc_lo, 0x72, v0
	v_cndmask_b32_e32 v20, 0, v20, vcc_lo
	v_cmp_eq_u32_e32 vcc_lo, 0, v0
	s_delay_alu instid0(VALU_DEP_2) | instskip(SKIP_1) | instid1(VALU_DEP_2)
	v_cndmask_b32_e64 v20, v20, 0x70, vcc_lo
	v_cndmask_b32_e32 v100, v30, v100, vcc_lo
	v_add_nc_u32_e32 v21, 21, v20
	s_delay_alu instid0(VALU_DEP_1) | instskip(SKIP_1) | instid1(VALU_DEP_1)
	v_lshlrev_b64_e64 v[24:25], v21, -1
	v_add_nc_u32_e32 v21, 20, v20
	v_lshlrev_b64_e64 v[30:31], v21, 1
	s_delay_alu instid0(VALU_DEP_3) | instskip(SKIP_2) | instid1(VALU_DEP_2)
	v_bfi_b32 v24, v24, 0, v100
	v_lshrrev_b64 v[100:101], v20, v[100:101]
	v_bfi_b32 v25, v25, 0, 0
	v_mov_b64_e32 v[102:103], v[100:101]
	s_delay_alu instid0(VALU_DEP_2)
	v_cmpx_eq_u64_e64 v[24:25], v[30:31]
; %bb.1161:                             ;   in Loop: Header=BB4_129 Depth=2
	v_bfe_u32 v24, v100, 21, 1
	v_mov_b32_e32 v25, v39
	s_delay_alu instid0(VALU_DEP_1) | instskip(NEXT) | instid1(VALU_DEP_1)
	v_add_nc_u64_e32 v[24:25], v[100:101], v[24:25]
	v_add_nc_u64_e32 v[102:103], -1, v[24:25]
; %bb.1162:                             ;   in Loop: Header=BB4_129 Depth=2
	s_or_b32 exec_lo, exec_lo, s42
	v_dual_mov_b32 v101, v39 :: v_dual_add_nc_u32 v0, 0xffffff81, v0
	v_lshrrev_b32_e32 v21, 23, v100
	s_mov_b32 s10, exec_lo
	s_delay_alu instid0(VALU_DEP_2) | instskip(NEXT) | instid1(VALU_DEP_1)
	v_cndmask_b32_e64 v0, v0, 0xffffff82, vcc_lo
	v_add3_u32 v20, v20, v0, v21
	v_and_b32_e32 v0, 0x1fffff, v102
	s_delay_alu instid0(VALU_DEP_2) | instskip(NEXT) | instid1(VALU_DEP_2)
	v_add_nc_u32_e32 v21, 14, v20
	v_add_nc_u32_e32 v100, v0, v100
                                        ; implicit-def: $vgpr0
	s_delay_alu instid0(VALU_DEP_2)
	v_cmpx_ne_u32_e32 0, v21
	s_xor_b32 s10, exec_lo, s10
; %bb.1163:                             ;   in Loop: Header=BB4_129 Depth=2
	s_delay_alu instid0(VALU_DEP_2) | instskip(SKIP_2) | instid1(VALU_DEP_2)
	v_cmp_lt_u64_e32 vcc_lo, 0xffffff, v[100:101]
	v_add_nc_u32_e32 v0, 15, v20
	v_cndmask_b32_e64 v20, 0, 1, vcc_lo
	v_cndmask_b32_e32 v0, v21, v0, vcc_lo
	s_delay_alu instid0(VALU_DEP_2)
	v_lshrrev_b64 v[100:101], v20, v[100:101]
; %bb.1164:                             ;   in Loop: Header=BB4_129 Depth=2
	s_and_not1_saveexec_b32 s10, s10
; %bb.1165:                             ;   in Loop: Header=BB4_129 Depth=2
	s_delay_alu instid0(VALU_DEP_1)
	v_bfe_u32 v0, v100, 23, 1
; %bb.1166:                             ;   in Loop: Header=BB4_129 Depth=2
	s_or_b32 exec_lo, exec_lo, s10
	s_delay_alu instid0(VALU_DEP_2) | instskip(NEXT) | instid1(VALU_DEP_2)
	v_lshrrev_b64 v[20:21], 21, v[100:101]
	v_cmp_gt_i32_e32 vcc_lo, 32, v0
	v_min_i32_e32 v24, 31, v0
	v_cmp_eq_u32_e64 s10, 0, v0
	s_delay_alu instid0(VALU_DEP_2) | instskip(SKIP_1) | instid1(VALU_DEP_2)
	v_dual_cndmask_b32 v21, 0, v21 :: v_dual_lshlrev_b32 v24, 2, v24
	v_cndmask_b32_e32 v20, 3, v20, vcc_lo
	v_and_b32_e32 v24, 0xfc, v24
	s_delay_alu instid0(VALU_DEP_2) | instskip(NEXT) | instid1(VALU_DEP_2)
	v_cmp_eq_u64_e32 vcc_lo, 0, v[20:21]
	v_and_or_b32 v0, v20, 3, v24
	s_and_b32 s10, s10, vcc_lo
	s_delay_alu instid0(VALU_DEP_1) | instid1(SALU_CYCLE_1)
	v_cndmask_b32_e64 v0, v0, 0, s10
	s_delay_alu instid0(VALU_DEP_1)
	v_or_b32_e32 v0, v0, v2
.LBB4_1167:                             ;   in Loop: Header=BB4_129 Depth=2
	s_or_b32 exec_lo, exec_lo, s41
                                        ; implicit-def: $vgpr2
.LBB4_1168:                             ;   in Loop: Header=BB4_129 Depth=2
	s_and_not1_saveexec_b32 s10, s40
; %bb.1169:                             ;   in Loop: Header=BB4_129 Depth=2
	v_or_b32_e32 v0, 0x7b, v2
; %bb.1170:                             ;   in Loop: Header=BB4_129 Depth=2
	s_or_b32 exec_lo, exec_lo, s10
                                        ; implicit-def: $vgpr30
                                        ; implicit-def: $vgpr100_vgpr101
                                        ; implicit-def: $vgpr2
.LBB4_1171:                             ;   in Loop: Header=BB4_129 Depth=2
	s_and_not1_saveexec_b32 s10, s29
	s_cbranch_execz .LBB4_1177
; %bb.1172:                             ;   in Loop: Header=BB4_129 Depth=2
	s_mov_b32 s29, exec_lo
                                        ; implicit-def: $vgpr0
	v_cmpx_ne_u64_e32 0, v[100:101]
	s_xor_b32 s29, exec_lo, s29
; %bb.1173:                             ;   in Loop: Header=BB4_129 Depth=2
	v_or_b32_e32 v0, 0x7f, v2
                                        ; implicit-def: $vgpr30
; %bb.1174:                             ;   in Loop: Header=BB4_129 Depth=2
	s_and_not1_saveexec_b32 s29, s29
; %bb.1175:                             ;   in Loop: Header=BB4_129 Depth=2
	v_cmp_lt_i32_e32 vcc_lo, -1, v30
	v_cndmask_b32_e32 v0, 0xfc, v122, vcc_lo
; %bb.1176:                             ;   in Loop: Header=BB4_129 Depth=2
	s_or_b32 exec_lo, exec_lo, s29
.LBB4_1177:                             ;   in Loop: Header=BB4_129 Depth=2
	s_delay_alu instid0(SALU_CYCLE_1) | instskip(SKIP_3) | instid1(VALU_DEP_2)
	s_or_b32 exec_lo, exec_lo, s10
	v_dual_lshrrev_b32 v30, 16, v38 :: v_dual_mov_b32 v2, 0
	v_mov_b32_e32 v100, 0
	s_mov_b32 s10, exec_lo
	v_and_b32_e32 v20, 0xff, v30
	s_delay_alu instid0(VALU_DEP_1)
	v_cmpx_ne_u16_e32 0, v20
	s_cbranch_execz .LBB4_1187
; %bb.1178:                             ;   in Loop: Header=BB4_129 Depth=2
	v_bfrev_b32_e32 v100, 1
	s_mov_b32 s29, exec_lo
	v_cmpx_ne_u16_e32 0x80, v20
	s_cbranch_execz .LBB4_1186
; %bb.1179:                             ;   in Loop: Header=BB4_129 Depth=2
	v_and_b32_e32 v21, 0x7c0000, v38
	v_bfe_u32 v20, v38, 16, 2
	s_mov_b32 s40, exec_lo
                                        ; implicit-def: $vgpr100
	s_delay_alu instid0(VALU_DEP_2)
	v_cmpx_ne_u32_e32 0x7c0000, v21
	s_xor_b32 s40, exec_lo, s40
	s_cbranch_execz .LBB4_1183
; %bb.1180:                             ;   in Loop: Header=BB4_129 Depth=2
	v_bfe_u32 v21, v38, 18, 5
	s_mov_b32 s41, exec_lo
	s_delay_alu instid0(VALU_DEP_1)
	v_cmpx_eq_u32_e32 0, v21
; %bb.1181:                             ;   in Loop: Header=BB4_129 Depth=2
	v_clz_i32_u32_e32 v20, v20
	s_delay_alu instid0(VALU_DEP_1) | instskip(NEXT) | instid1(VALU_DEP_1)
	v_min_u32_e32 v24, 32, v20
	v_subrev_nc_u32_e32 v20, 29, v24
	s_delay_alu instid0(VALU_DEP_1) | instskip(SKIP_1) | instid1(VALU_DEP_2)
	v_lshlrev_b64_e32 v[20:21], v20, v[30:31]
	v_sub_nc_u32_e32 v21, 30, v24
	v_and_b32_e32 v20, 3, v20
; %bb.1182:                             ;   in Loop: Header=BB4_129 Depth=2
	s_or_b32 exec_lo, exec_lo, s41
	v_lshlrev_b32_e32 v24, 24, v30
                                        ; implicit-def: $vgpr30
	s_delay_alu instid0(VALU_DEP_1) | instskip(NEXT) | instid1(VALU_DEP_1)
	v_and_b32_e32 v24, 0x80000000, v24
	v_lshl_add_u32 v21, v21, 23, v24
	s_delay_alu instid0(VALU_DEP_1) | instskip(NEXT) | instid1(VALU_DEP_1)
	v_lshl_or_b32 v20, v20, 21, v21
	v_add_nc_u32_e32 v100, 0x38000000, v20
                                        ; implicit-def: $vgpr20
.LBB4_1183:                             ;   in Loop: Header=BB4_129 Depth=2
	s_and_not1_saveexec_b32 s40, s40
; %bb.1184:                             ;   in Loop: Header=BB4_129 Depth=2
	v_bfe_i32 v21, v30, 0, 8
	s_delay_alu instid0(VALU_DEP_1) | instskip(SKIP_2) | instid1(VALU_DEP_2)
	v_cmp_lt_i16_e32 vcc_lo, -1, v21
	v_cndmask_b32_e32 v21, 0xff800000, v126, vcc_lo
	v_cmp_eq_u32_e32 vcc_lo, 0, v20
	v_cndmask_b32_e32 v100, 0x7f800001, v21, vcc_lo
; %bb.1185:                             ;   in Loop: Header=BB4_129 Depth=2
	s_or_b32 exec_lo, exec_lo, s40
.LBB4_1186:                             ;   in Loop: Header=BB4_129 Depth=2
	s_delay_alu instid0(SALU_CYCLE_1)
	s_or_b32 exec_lo, exec_lo, s29
.LBB4_1187:                             ;   in Loop: Header=BB4_129 Depth=2
	s_delay_alu instid0(SALU_CYCLE_1) | instskip(SKIP_2) | instid1(VALU_DEP_1)
	s_or_b32 exec_lo, exec_lo, s10
	v_lshrrev_b32_e32 v30, 16, v14
	s_mov_b32 s10, exec_lo
	v_and_b32_e32 v20, 0xff, v30
	s_delay_alu instid0(VALU_DEP_1)
	v_cmpx_ne_u16_e32 0, v20
	s_cbranch_execz .LBB4_1197
; %bb.1188:                             ;   in Loop: Header=BB4_129 Depth=2
	v_bfrev_b32_e32 v2, 1
	s_mov_b32 s29, exec_lo
	v_cmpx_ne_u16_e32 0x80, v20
	s_cbranch_execz .LBB4_1196
; %bb.1189:                             ;   in Loop: Header=BB4_129 Depth=2
	v_and_b32_e32 v2, 0x7c0000, v14
	v_bfe_u32 v20, v14, 16, 2
	s_delay_alu instid0(VALU_DEP_2) | instskip(SKIP_1) | instid1(SALU_CYCLE_1)
	v_cmp_ne_u32_e32 vcc_lo, 0x7c0000, v2
                                        ; implicit-def: $vgpr2
	s_and_saveexec_b32 s40, vcc_lo
	s_xor_b32 s40, exec_lo, s40
	s_cbranch_execz .LBB4_1193
; %bb.1190:                             ;   in Loop: Header=BB4_129 Depth=2
	v_bfe_u32 v2, v14, 18, 5
	s_mov_b32 s41, exec_lo
	s_delay_alu instid0(VALU_DEP_1)
	v_cmpx_eq_u32_e32 0, v2
; %bb.1191:                             ;   in Loop: Header=BB4_129 Depth=2
	v_clz_i32_u32_e32 v2, v20
	s_delay_alu instid0(VALU_DEP_1) | instskip(NEXT) | instid1(VALU_DEP_1)
	v_min_u32_e32 v2, 32, v2
	v_subrev_nc_u32_e32 v20, 29, v2
	s_delay_alu instid0(VALU_DEP_1) | instskip(NEXT) | instid1(VALU_DEP_1)
	v_lshlrev_b64_e32 v[20:21], v20, v[30:31]
	v_dual_sub_nc_u32 v2, 30, v2 :: v_dual_bitop2_b32 v20, 3, v20 bitop3:0x40
; %bb.1192:                             ;   in Loop: Header=BB4_129 Depth=2
	s_or_b32 exec_lo, exec_lo, s41
	v_lshlrev_b32_e32 v21, 24, v30
                                        ; implicit-def: $vgpr30
	s_delay_alu instid0(VALU_DEP_1) | instskip(NEXT) | instid1(VALU_DEP_1)
	v_and_b32_e32 v21, 0x80000000, v21
	v_lshl_add_u32 v2, v2, 23, v21
	s_delay_alu instid0(VALU_DEP_1) | instskip(NEXT) | instid1(VALU_DEP_1)
	v_lshl_or_b32 v2, v20, 21, v2
                                        ; implicit-def: $vgpr20
	v_add_nc_u32_e32 v2, 0x38000000, v2
.LBB4_1193:                             ;   in Loop: Header=BB4_129 Depth=2
	s_and_not1_saveexec_b32 s40, s40
; %bb.1194:                             ;   in Loop: Header=BB4_129 Depth=2
	v_bfe_i32 v2, v30, 0, 8
	s_delay_alu instid0(VALU_DEP_1) | instskip(SKIP_2) | instid1(VALU_DEP_2)
	v_cmp_lt_i16_e32 vcc_lo, -1, v2
	v_cndmask_b32_e32 v2, 0xff800000, v126, vcc_lo
	v_cmp_eq_u32_e32 vcc_lo, 0, v20
	v_cndmask_b32_e32 v2, 0x7f800001, v2, vcc_lo
; %bb.1195:                             ;   in Loop: Header=BB4_129 Depth=2
	s_or_b32 exec_lo, exec_lo, s40
.LBB4_1196:                             ;   in Loop: Header=BB4_129 Depth=2
	s_delay_alu instid0(SALU_CYCLE_1)
	s_or_b32 exec_lo, exec_lo, s29
.LBB4_1197:                             ;   in Loop: Header=BB4_129 Depth=2
	s_delay_alu instid0(SALU_CYCLE_1) | instskip(NEXT) | instid1(VALU_DEP_1)
	s_or_b32 exec_lo, exec_lo, s10
	v_dual_add_f32 v30, v100, v2 :: v_dual_mov_b32 v21, v39
	v_mov_b32_e32 v101, v39
                                        ; implicit-def: $vgpr114
	s_mov_b32 s10, exec_lo
	s_delay_alu instid0(VALU_DEP_2) | instskip(SKIP_2) | instid1(VALU_DEP_3)
	v_and_b32_e32 v20, 0x7f800000, v30
	v_and_b32_e32 v100, 0x7fffff, v30
	v_lshrrev_b32_e32 v2, 24, v30
	v_cmpx_ne_u64_e32 0x7f800000, v[20:21]
	s_xor_b32 s29, exec_lo, s10
	s_cbranch_execz .LBB4_1211
; %bb.1198:                             ;   in Loop: Header=BB4_129 Depth=2
	v_and_b32_e32 v20, 0x7fffffff, v30
	v_mov_b32_e32 v21, v39
	v_and_b32_e32 v2, 0x80, v2
                                        ; implicit-def: $vgpr114
	s_mov_b32 s10, exec_lo
	s_delay_alu instid0(VALU_DEP_2)
	v_cmpx_gt_u64_e32 0x47600001, v[20:21]
	s_xor_b32 s40, exec_lo, s10
	s_cbranch_execz .LBB4_1208
; %bb.1199:                             ;   in Loop: Header=BB4_129 Depth=2
	v_mov_b32_e32 v114, 0
	s_mov_b32 s41, exec_lo
	v_cmpx_ne_u32_e32 0, v30
	s_cbranch_execz .LBB4_1207
; %bb.1200:                             ;   in Loop: Header=BB4_129 Depth=2
	v_bfe_u32 v20, v30, 23, 8
	v_or_b32_e32 v30, 0x800000, v100
	s_mov_b32 s42, exec_lo
	s_delay_alu instid0(VALU_DEP_2) | instskip(SKIP_1) | instid1(VALU_DEP_2)
	v_sub_nc_u32_e32 v21, 0x71, v20
	v_cmp_gt_u32_e32 vcc_lo, 0x72, v20
	v_cndmask_b32_e32 v21, 0, v21, vcc_lo
	v_cmp_eq_u32_e32 vcc_lo, 0, v20
	v_cndmask_b32_e32 v100, v30, v100, vcc_lo
	s_delay_alu instid0(VALU_DEP_3) | instskip(NEXT) | instid1(VALU_DEP_1)
	v_cndmask_b32_e64 v21, v21, 0x70, vcc_lo
	v_dual_add_nc_u32 v24, 21, v21 :: v_dual_add_nc_u32 v31, 20, v21
	s_delay_alu instid0(VALU_DEP_1) | instskip(NEXT) | instid1(VALU_DEP_2)
	v_lshlrev_b64_e64 v[24:25], v24, -1
	v_lshlrev_b64_e64 v[30:31], v31, 1
	s_delay_alu instid0(VALU_DEP_2) | instskip(SKIP_1) | instid1(VALU_DEP_4)
	v_bfi_b32 v24, v24, 0, v100
	v_lshrrev_b64 v[100:101], v21, v[100:101]
	v_bfi_b32 v25, v25, 0, 0
	s_delay_alu instid0(VALU_DEP_2) | instskip(NEXT) | instid1(VALU_DEP_2)
	v_mov_b64_e32 v[102:103], v[100:101]
	v_cmpx_eq_u64_e64 v[24:25], v[30:31]
; %bb.1201:                             ;   in Loop: Header=BB4_129 Depth=2
	v_bfe_u32 v24, v100, 21, 1
	v_mov_b32_e32 v25, v39
	s_delay_alu instid0(VALU_DEP_1) | instskip(NEXT) | instid1(VALU_DEP_1)
	v_add_nc_u64_e32 v[24:25], v[100:101], v[24:25]
	v_add_nc_u64_e32 v[102:103], -1, v[24:25]
; %bb.1202:                             ;   in Loop: Header=BB4_129 Depth=2
	s_or_b32 exec_lo, exec_lo, s42
	v_dual_mov_b32 v101, v39 :: v_dual_add_nc_u32 v20, 0xffffff81, v20
	v_lshrrev_b32_e32 v24, 23, v100
	s_mov_b32 s10, exec_lo
	s_delay_alu instid0(VALU_DEP_2) | instskip(NEXT) | instid1(VALU_DEP_1)
	v_cndmask_b32_e64 v20, v20, 0xffffff82, vcc_lo
	v_add3_u32 v21, v21, v20, v24
	v_and_b32_e32 v20, 0x1fffff, v102
	s_delay_alu instid0(VALU_DEP_1) | instskip(NEXT) | instid1(VALU_DEP_1)
	v_dual_add_nc_u32 v30, 14, v21 :: v_dual_add_nc_u32 v100, v20, v100
                                        ; implicit-def: $vgpr20
	v_cmpx_ne_u32_e32 0, v30
	s_xor_b32 s10, exec_lo, s10
; %bb.1203:                             ;   in Loop: Header=BB4_129 Depth=2
	s_delay_alu instid0(VALU_DEP_2) | instskip(SKIP_2) | instid1(VALU_DEP_2)
	v_cmp_lt_u64_e32 vcc_lo, 0xffffff, v[100:101]
	v_add_nc_u32_e32 v20, 15, v21
	v_cndmask_b32_e64 v21, 0, 1, vcc_lo
	v_cndmask_b32_e32 v20, v30, v20, vcc_lo
	s_delay_alu instid0(VALU_DEP_2)
	v_lshrrev_b64 v[100:101], v21, v[100:101]
; %bb.1204:                             ;   in Loop: Header=BB4_129 Depth=2
	s_and_not1_saveexec_b32 s10, s10
; %bb.1205:                             ;   in Loop: Header=BB4_129 Depth=2
	s_delay_alu instid0(VALU_DEP_1)
	v_bfe_u32 v20, v100, 23, 1
; %bb.1206:                             ;   in Loop: Header=BB4_129 Depth=2
	s_or_b32 exec_lo, exec_lo, s10
	s_delay_alu instid0(VALU_DEP_2) | instskip(NEXT) | instid1(VALU_DEP_2)
	v_lshrrev_b64 v[24:25], 21, v[100:101]
	v_cmp_gt_i32_e32 vcc_lo, 32, v20
	v_min_i32_e32 v21, 31, v20
	v_cmp_eq_u32_e64 s10, 0, v20
	s_delay_alu instid0(VALU_DEP_4) | instskip(NEXT) | instid1(VALU_DEP_3)
	v_cndmask_b32_e32 v25, 0, v25, vcc_lo
	v_dual_cndmask_b32 v24, 3, v24 :: v_dual_lshlrev_b32 v21, 2, v21
	s_delay_alu instid0(VALU_DEP_1) | instskip(NEXT) | instid1(VALU_DEP_2)
	v_and_b32_e32 v21, 0xfc, v21
	v_cmp_eq_u64_e32 vcc_lo, 0, v[24:25]
	s_delay_alu instid0(VALU_DEP_2)
	v_and_or_b32 v20, v24, 3, v21
	s_and_b32 s10, s10, vcc_lo
	s_delay_alu instid0(VALU_DEP_1) | instid1(SALU_CYCLE_1)
	v_cndmask_b32_e64 v20, v20, 0, s10
	s_delay_alu instid0(VALU_DEP_1)
	v_or_b32_e32 v114, v20, v2
.LBB4_1207:                             ;   in Loop: Header=BB4_129 Depth=2
	s_or_b32 exec_lo, exec_lo, s41
                                        ; implicit-def: $vgpr2
.LBB4_1208:                             ;   in Loop: Header=BB4_129 Depth=2
	s_and_not1_saveexec_b32 s10, s40
; %bb.1209:                             ;   in Loop: Header=BB4_129 Depth=2
	v_or_b32_e32 v114, 0x7b, v2
; %bb.1210:                             ;   in Loop: Header=BB4_129 Depth=2
	s_or_b32 exec_lo, exec_lo, s10
                                        ; implicit-def: $vgpr30
                                        ; implicit-def: $vgpr100_vgpr101
                                        ; implicit-def: $vgpr2
.LBB4_1211:                             ;   in Loop: Header=BB4_129 Depth=2
	s_and_not1_saveexec_b32 s10, s29
	s_cbranch_execz .LBB4_1217
; %bb.1212:                             ;   in Loop: Header=BB4_129 Depth=2
	s_mov_b32 s29, exec_lo
                                        ; implicit-def: $vgpr114
	v_cmpx_ne_u64_e32 0, v[100:101]
	s_xor_b32 s29, exec_lo, s29
; %bb.1213:                             ;   in Loop: Header=BB4_129 Depth=2
	v_or_b32_e32 v114, 0x7f, v2
                                        ; implicit-def: $vgpr30
; %bb.1214:                             ;   in Loop: Header=BB4_129 Depth=2
	s_and_not1_saveexec_b32 s29, s29
; %bb.1215:                             ;   in Loop: Header=BB4_129 Depth=2
	v_cmp_lt_i32_e32 vcc_lo, -1, v30
	v_cndmask_b32_e32 v114, 0xfc, v122, vcc_lo
; %bb.1216:                             ;   in Loop: Header=BB4_129 Depth=2
	s_or_b32 exec_lo, exec_lo, s29
.LBB4_1217:                             ;   in Loop: Header=BB4_129 Depth=2
	s_delay_alu instid0(SALU_CYCLE_1)
	s_or_b32 exec_lo, exec_lo, s10
	v_dual_mov_b32 v2, 0 :: v_dual_mov_b32 v100, 0
	s_mov_b32 s10, exec_lo
	v_cmpx_lt_u32_e32 0xffffff, v38
	s_cbranch_execz .LBB4_1227
; %bb.1218:                             ;   in Loop: Header=BB4_129 Depth=2
	v_lshrrev_b32_e32 v30, 24, v38
	v_bfrev_b32_e32 v100, 1
	s_mov_b32 s29, exec_lo
	s_delay_alu instid0(VALU_DEP_2)
	v_cmpx_ne_u32_e32 0x80, v30
	s_cbranch_execz .LBB4_1226
; %bb.1219:                             ;   in Loop: Header=BB4_129 Depth=2
	v_and_b32_e32 v21, 0x7c000000, v38
	v_bfe_u32 v20, v38, 24, 2
	s_mov_b32 s40, exec_lo
                                        ; implicit-def: $vgpr100
	s_delay_alu instid0(VALU_DEP_2)
	v_cmpx_ne_u32_e32 0x7c000000, v21
	s_xor_b32 s40, exec_lo, s40
	s_cbranch_execz .LBB4_1223
; %bb.1220:                             ;   in Loop: Header=BB4_129 Depth=2
	v_bfe_u32 v21, v38, 26, 5
	s_mov_b32 s41, exec_lo
	s_delay_alu instid0(VALU_DEP_1)
	v_cmpx_eq_u32_e32 0, v21
; %bb.1221:                             ;   in Loop: Header=BB4_129 Depth=2
	v_clz_i32_u32_e32 v20, v20
	s_delay_alu instid0(VALU_DEP_1) | instskip(NEXT) | instid1(VALU_DEP_1)
	v_min_u32_e32 v24, 32, v20
	v_subrev_nc_u32_e32 v20, 29, v24
	s_delay_alu instid0(VALU_DEP_1) | instskip(SKIP_1) | instid1(VALU_DEP_2)
	v_lshlrev_b64_e32 v[20:21], v20, v[30:31]
	v_sub_nc_u32_e32 v21, 30, v24
	v_and_b32_e32 v20, 3, v20
; %bb.1222:                             ;   in Loop: Header=BB4_129 Depth=2
	s_or_b32 exec_lo, exec_lo, s41
	v_and_b32_e32 v24, 0x80000000, v38
	s_delay_alu instid0(VALU_DEP_1) | instskip(NEXT) | instid1(VALU_DEP_1)
	v_lshl_add_u32 v21, v21, 23, v24
	v_lshl_or_b32 v20, v20, 21, v21
	s_delay_alu instid0(VALU_DEP_1)
	v_add_nc_u32_e32 v100, 0x38000000, v20
                                        ; implicit-def: $vgpr20
.LBB4_1223:                             ;   in Loop: Header=BB4_129 Depth=2
	s_and_not1_saveexec_b32 s40, s40
; %bb.1224:                             ;   in Loop: Header=BB4_129 Depth=2
	v_cmp_lt_i32_e32 vcc_lo, -1, v38
	v_cndmask_b32_e32 v21, 0xff800000, v126, vcc_lo
	v_cmp_eq_u32_e32 vcc_lo, 0, v20
	s_delay_alu instid0(VALU_DEP_2)
	v_cndmask_b32_e32 v100, 0x7f800001, v21, vcc_lo
; %bb.1225:                             ;   in Loop: Header=BB4_129 Depth=2
	s_or_b32 exec_lo, exec_lo, s40
.LBB4_1226:                             ;   in Loop: Header=BB4_129 Depth=2
	s_delay_alu instid0(SALU_CYCLE_1)
	s_or_b32 exec_lo, exec_lo, s29
.LBB4_1227:                             ;   in Loop: Header=BB4_129 Depth=2
	s_delay_alu instid0(SALU_CYCLE_1) | instskip(NEXT) | instid1(SALU_CYCLE_1)
	s_or_b32 exec_lo, exec_lo, s10
	s_mov_b32 s10, exec_lo
	v_cmpx_lt_u32_e32 0xffffff, v14
	s_cbranch_execz .LBB4_1237
; %bb.1228:                             ;   in Loop: Header=BB4_129 Depth=2
	v_lshrrev_b32_e32 v30, 24, v14
	v_bfrev_b32_e32 v2, 1
	s_mov_b32 s29, exec_lo
	s_delay_alu instid0(VALU_DEP_2)
	v_cmpx_ne_u32_e32 0x80, v30
	s_cbranch_execz .LBB4_1236
; %bb.1229:                             ;   in Loop: Header=BB4_129 Depth=2
	v_and_b32_e32 v2, 0x7c000000, v14
	v_bfe_u32 v20, v14, 24, 2
	s_delay_alu instid0(VALU_DEP_2) | instskip(SKIP_1) | instid1(SALU_CYCLE_1)
	v_cmp_ne_u32_e32 vcc_lo, 0x7c000000, v2
                                        ; implicit-def: $vgpr2
	s_and_saveexec_b32 s40, vcc_lo
	s_xor_b32 s40, exec_lo, s40
	s_cbranch_execz .LBB4_1233
; %bb.1230:                             ;   in Loop: Header=BB4_129 Depth=2
	v_bfe_u32 v2, v14, 26, 5
	s_mov_b32 s41, exec_lo
	s_delay_alu instid0(VALU_DEP_1)
	v_cmpx_eq_u32_e32 0, v2
; %bb.1231:                             ;   in Loop: Header=BB4_129 Depth=2
	v_clz_i32_u32_e32 v2, v20
	s_delay_alu instid0(VALU_DEP_1) | instskip(NEXT) | instid1(VALU_DEP_1)
	v_min_u32_e32 v2, 32, v2
	v_subrev_nc_u32_e32 v20, 29, v2
	s_delay_alu instid0(VALU_DEP_1) | instskip(NEXT) | instid1(VALU_DEP_1)
	v_lshlrev_b64_e32 v[20:21], v20, v[30:31]
	v_dual_sub_nc_u32 v2, 30, v2 :: v_dual_bitop2_b32 v20, 3, v20 bitop3:0x40
; %bb.1232:                             ;   in Loop: Header=BB4_129 Depth=2
	s_or_b32 exec_lo, exec_lo, s41
	v_and_b32_e32 v21, 0x80000000, v14
	s_delay_alu instid0(VALU_DEP_1) | instskip(NEXT) | instid1(VALU_DEP_1)
	v_lshl_add_u32 v2, v2, 23, v21
	v_lshl_or_b32 v2, v20, 21, v2
                                        ; implicit-def: $vgpr20
	s_delay_alu instid0(VALU_DEP_1)
	v_add_nc_u32_e32 v2, 0x38000000, v2
.LBB4_1233:                             ;   in Loop: Header=BB4_129 Depth=2
	s_and_not1_saveexec_b32 s40, s40
; %bb.1234:                             ;   in Loop: Header=BB4_129 Depth=2
	v_cmp_lt_i32_e32 vcc_lo, -1, v14
	v_cndmask_b32_e32 v2, 0xff800000, v126, vcc_lo
	v_cmp_eq_u32_e32 vcc_lo, 0, v20
	s_delay_alu instid0(VALU_DEP_2)
	v_cndmask_b32_e32 v2, 0x7f800001, v2, vcc_lo
; %bb.1235:                             ;   in Loop: Header=BB4_129 Depth=2
	s_or_b32 exec_lo, exec_lo, s40
.LBB4_1236:                             ;   in Loop: Header=BB4_129 Depth=2
	s_delay_alu instid0(SALU_CYCLE_1)
	s_or_b32 exec_lo, exec_lo, s29
.LBB4_1237:                             ;   in Loop: Header=BB4_129 Depth=2
	s_delay_alu instid0(SALU_CYCLE_1) | instskip(NEXT) | instid1(VALU_DEP_1)
	s_or_b32 exec_lo, exec_lo, s10
	v_dual_add_f32 v30, v100, v2 :: v_dual_mov_b32 v21, v39
                                        ; implicit-def: $vgpr119
	s_mov_b32 s10, exec_lo
	s_delay_alu instid0(VALU_DEP_1) | instskip(SKIP_2) | instid1(VALU_DEP_3)
	v_and_b32_e32 v20, 0x7f800000, v30
	v_and_b32_e32 v38, 0x7fffff, v30
	v_lshrrev_b32_e32 v2, 24, v30
	v_cmpx_ne_u64_e32 0x7f800000, v[20:21]
	s_xor_b32 s29, exec_lo, s10
	s_cbranch_execz .LBB4_1251
; %bb.1238:                             ;   in Loop: Header=BB4_129 Depth=2
	v_and_b32_e32 v20, 0x7fffffff, v30
	v_mov_b32_e32 v21, v39
	v_and_b32_e32 v2, 0x80, v2
                                        ; implicit-def: $vgpr119
	s_mov_b32 s10, exec_lo
	s_delay_alu instid0(VALU_DEP_2)
	v_cmpx_gt_u64_e32 0x47600001, v[20:21]
	s_xor_b32 s40, exec_lo, s10
	s_cbranch_execz .LBB4_1248
; %bb.1239:                             ;   in Loop: Header=BB4_129 Depth=2
	v_mov_b32_e32 v119, 0
	s_mov_b32 s41, exec_lo
	v_cmpx_ne_u32_e32 0, v30
	s_cbranch_execz .LBB4_1247
; %bb.1240:                             ;   in Loop: Header=BB4_129 Depth=2
	v_bfe_u32 v20, v30, 23, 8
	v_or_b32_e32 v30, 0x800000, v38
	v_mov_b32_e32 v31, v39
	s_delay_alu instid0(VALU_DEP_3) | instskip(SKIP_1) | instid1(VALU_DEP_2)
	v_sub_nc_u32_e32 v21, 0x71, v20
	v_cmp_gt_u32_e32 vcc_lo, 0x72, v20
	v_cndmask_b32_e32 v21, 0, v21, vcc_lo
	v_cmp_eq_u32_e32 vcc_lo, 0, v20
	s_delay_alu instid0(VALU_DEP_2) | instskip(NEXT) | instid1(VALU_DEP_1)
	v_cndmask_b32_e64 v21, v21, 0x70, vcc_lo
	v_dual_cndmask_b32 v30, v30, v38, vcc_lo :: v_dual_add_nc_u32 v24, 21, v21
	v_add_nc_u32_e32 v100, 20, v21
	s_delay_alu instid0(VALU_DEP_2) | instskip(NEXT) | instid1(VALU_DEP_2)
	v_lshlrev_b64_e64 v[24:25], v24, -1
	v_lshlrev_b64_e64 v[102:103], v100, 1
	s_delay_alu instid0(VALU_DEP_4) | instskip(NEXT) | instid1(VALU_DEP_3)
	v_lshrrev_b64 v[100:101], v21, v[30:31]
	v_bfi_b32 v25, v25, 0, 0
	s_delay_alu instid0(VALU_DEP_4) | instskip(NEXT) | instid1(VALU_DEP_1)
	v_bfi_b32 v24, v24, 0, v30
	v_cmp_eq_u64_e64 s10, v[24:25], v[102:103]
	s_delay_alu instid0(VALU_DEP_4)
	v_mov_b64_e32 v[102:103], v[100:101]
	s_and_saveexec_b32 s42, s10
; %bb.1241:                             ;   in Loop: Header=BB4_129 Depth=2
	v_bfe_u32 v24, v100, 21, 1
	v_mov_b32_e32 v25, v39
	s_delay_alu instid0(VALU_DEP_1) | instskip(NEXT) | instid1(VALU_DEP_1)
	v_add_nc_u64_e32 v[24:25], v[100:101], v[24:25]
	v_add_nc_u64_e32 v[102:103], -1, v[24:25]
; %bb.1242:                             ;   in Loop: Header=BB4_129 Depth=2
	s_or_b32 exec_lo, exec_lo, s42
	v_add_nc_u32_e32 v20, 0xffffff81, v20
	v_lshrrev_b32_e32 v24, 23, v100
	s_mov_b32 s10, exec_lo
	s_delay_alu instid0(VALU_DEP_2) | instskip(NEXT) | instid1(VALU_DEP_1)
	v_cndmask_b32_e64 v20, v20, 0xffffff82, vcc_lo
	v_add3_u32 v21, v21, v20, v24
	v_and_b32_e32 v20, 0x1fffff, v102
	s_delay_alu instid0(VALU_DEP_1) | instskip(NEXT) | instid1(VALU_DEP_1)
	v_dual_add_nc_u32 v30, 14, v21 :: v_dual_add_nc_u32 v38, v20, v100
                                        ; implicit-def: $vgpr100_vgpr101
                                        ; implicit-def: $vgpr20
	v_cmpx_ne_u32_e32 0, v30
	s_xor_b32 s10, exec_lo, s10
; %bb.1243:                             ;   in Loop: Header=BB4_129 Depth=2
	s_delay_alu instid0(VALU_DEP_2) | instskip(SKIP_2) | instid1(VALU_DEP_2)
	v_cmp_lt_u64_e32 vcc_lo, 0xffffff, v[38:39]
	v_add_nc_u32_e32 v20, 15, v21
	v_cndmask_b32_e64 v21, 0, 1, vcc_lo
	v_cndmask_b32_e32 v20, v30, v20, vcc_lo
	s_delay_alu instid0(VALU_DEP_2)
	v_lshrrev_b64 v[100:101], v21, v[38:39]
; %bb.1244:                             ;   in Loop: Header=BB4_129 Depth=2
	s_and_not1_saveexec_b32 s10, s10
; %bb.1245:                             ;   in Loop: Header=BB4_129 Depth=2
	v_mov_b64_e32 v[100:101], v[38:39]
	v_bfe_u32 v20, v38, 23, 1
; %bb.1246:                             ;   in Loop: Header=BB4_129 Depth=2
	s_or_b32 exec_lo, exec_lo, s10
	s_delay_alu instid0(VALU_DEP_2) | instskip(NEXT) | instid1(VALU_DEP_2)
	v_lshrrev_b64 v[24:25], 21, v[100:101]
	v_cmp_gt_i32_e32 vcc_lo, 32, v20
	v_min_i32_e32 v21, 31, v20
	v_cmp_eq_u32_e64 s10, 0, v20
	s_delay_alu instid0(VALU_DEP_4) | instskip(NEXT) | instid1(VALU_DEP_3)
	v_cndmask_b32_e32 v25, 0, v25, vcc_lo
	v_dual_cndmask_b32 v24, 3, v24 :: v_dual_lshlrev_b32 v21, 2, v21
	s_delay_alu instid0(VALU_DEP_1) | instskip(NEXT) | instid1(VALU_DEP_2)
	v_and_b32_e32 v21, 0xfc, v21
	v_cmp_eq_u64_e32 vcc_lo, 0, v[24:25]
	s_delay_alu instid0(VALU_DEP_2)
	v_and_or_b32 v20, v24, 3, v21
	s_and_b32 s10, s10, vcc_lo
	s_delay_alu instid0(VALU_DEP_1) | instid1(SALU_CYCLE_1)
	v_cndmask_b32_e64 v20, v20, 0, s10
	s_delay_alu instid0(VALU_DEP_1)
	v_or_b32_e32 v119, v20, v2
.LBB4_1247:                             ;   in Loop: Header=BB4_129 Depth=2
	s_or_b32 exec_lo, exec_lo, s41
                                        ; implicit-def: $vgpr2
.LBB4_1248:                             ;   in Loop: Header=BB4_129 Depth=2
	s_and_not1_saveexec_b32 s10, s40
; %bb.1249:                             ;   in Loop: Header=BB4_129 Depth=2
	v_or_b32_e32 v119, 0x7b, v2
; %bb.1250:                             ;   in Loop: Header=BB4_129 Depth=2
	s_or_b32 exec_lo, exec_lo, s10
                                        ; implicit-def: $vgpr30
                                        ; implicit-def: $vgpr2
.LBB4_1251:                             ;   in Loop: Header=BB4_129 Depth=2
	s_and_not1_saveexec_b32 s10, s29
	s_cbranch_execz .LBB4_1257
; %bb.1252:                             ;   in Loop: Header=BB4_129 Depth=2
	s_mov_b32 s29, exec_lo
                                        ; implicit-def: $vgpr119
	v_cmpx_ne_u64_e32 0, v[38:39]
	s_xor_b32 s29, exec_lo, s29
; %bb.1253:                             ;   in Loop: Header=BB4_129 Depth=2
	v_or_b32_e32 v119, 0x7f, v2
                                        ; implicit-def: $vgpr30
; %bb.1254:                             ;   in Loop: Header=BB4_129 Depth=2
	s_and_not1_saveexec_b32 s29, s29
; %bb.1255:                             ;   in Loop: Header=BB4_129 Depth=2
	v_cmp_lt_i32_e32 vcc_lo, -1, v30
	v_cndmask_b32_e32 v119, 0xfc, v122, vcc_lo
; %bb.1256:                             ;   in Loop: Header=BB4_129 Depth=2
	s_or_b32 exec_lo, exec_lo, s29
.LBB4_1257:                             ;   in Loop: Header=BB4_129 Depth=2
	s_delay_alu instid0(SALU_CYCLE_1) | instskip(SKIP_4) | instid1(VALU_DEP_2)
	s_or_b32 exec_lo, exec_lo, s10
	v_lshl_or_b32 v2, v60, 8, v45
	v_dual_lshlrev_b32 v20, 16, v75 :: v_dual_lshlrev_b32 v21, 24, v76
	v_dual_mov_b32 v100, 0 :: v_dual_mov_b32 v30, 0
	s_mov_b32 s10, exec_lo
	v_or3_b32 v38, v20, v21, v2
	v_cmpx_ne_u32_e32 0, v45
	s_cbranch_execz .LBB4_1267
; %bb.1258:                             ;   in Loop: Header=BB4_129 Depth=2
	v_bfrev_b32_e32 v30, 1
	s_mov_b32 s29, exec_lo
	v_cmpx_ne_u32_e32 0x80, v45
	s_cbranch_execz .LBB4_1266
; %bb.1259:                             ;   in Loop: Header=BB4_129 Depth=2
	v_and_b32_e32 v21, 0x7c, v45
	v_and_b32_e32 v20, 3, v45
	s_mov_b32 s40, exec_lo
                                        ; implicit-def: $vgpr30
	s_delay_alu instid0(VALU_DEP_2)
	v_cmpx_ne_u32_e32 0x7c, v21
	s_xor_b32 s40, exec_lo, s40
	s_cbranch_execz .LBB4_1263
; %bb.1260:                             ;   in Loop: Header=BB4_129 Depth=2
	v_bfe_u32 v21, v45, 2, 5
	s_mov_b32 s41, exec_lo
	s_delay_alu instid0(VALU_DEP_1)
	v_cmpx_eq_u32_e32 0, v21
; %bb.1261:                             ;   in Loop: Header=BB4_129 Depth=2
	v_clz_i32_u32_e32 v20, v20
	s_delay_alu instid0(VALU_DEP_1) | instskip(NEXT) | instid1(VALU_DEP_1)
	v_min_u32_e32 v24, 32, v20
	v_subrev_nc_u32_e32 v20, 29, v24
	s_delay_alu instid0(VALU_DEP_1) | instskip(SKIP_1) | instid1(VALU_DEP_2)
	v_lshlrev_b64_e32 v[20:21], v20, v[38:39]
	v_sub_nc_u32_e32 v21, 30, v24
	v_and_b32_e32 v20, 3, v20
; %bb.1262:                             ;   in Loop: Header=BB4_129 Depth=2
	s_or_b32 exec_lo, exec_lo, s41
	v_lshlrev_b32_e32 v24, 24, v45
                                        ; implicit-def: $vgpr45
	s_delay_alu instid0(VALU_DEP_1) | instskip(NEXT) | instid1(VALU_DEP_1)
	v_and_b32_e32 v24, 0x80000000, v24
	v_lshl_add_u32 v21, v21, 23, v24
	s_delay_alu instid0(VALU_DEP_1) | instskip(NEXT) | instid1(VALU_DEP_1)
	v_lshl_or_b32 v20, v20, 21, v21
	v_add_nc_u32_e32 v30, 0x38000000, v20
                                        ; implicit-def: $vgpr20
.LBB4_1263:                             ;   in Loop: Header=BB4_129 Depth=2
	s_and_not1_saveexec_b32 s40, s40
; %bb.1264:                             ;   in Loop: Header=BB4_129 Depth=2
	v_and_b32_e32 v21, 0x80, v45
	s_delay_alu instid0(VALU_DEP_1) | instskip(SKIP_2) | instid1(VALU_DEP_2)
	v_cmp_eq_u32_e32 vcc_lo, 0, v21
	v_cndmask_b32_e32 v21, 0xff800000, v126, vcc_lo
	v_cmp_eq_u32_e32 vcc_lo, 0, v20
	v_cndmask_b32_e32 v30, 0x7f800001, v21, vcc_lo
; %bb.1265:                             ;   in Loop: Header=BB4_129 Depth=2
	s_or_b32 exec_lo, exec_lo, s40
.LBB4_1266:                             ;   in Loop: Header=BB4_129 Depth=2
	s_delay_alu instid0(SALU_CYCLE_1)
	s_or_b32 exec_lo, exec_lo, s29
.LBB4_1267:                             ;   in Loop: Header=BB4_129 Depth=2
	s_delay_alu instid0(SALU_CYCLE_1) | instskip(SKIP_2) | instid1(VALU_DEP_1)
	s_or_b32 exec_lo, exec_lo, s10
	v_and_b32_e32 v20, 0xff, v15
	s_mov_b32 s10, exec_lo
	v_cmpx_ne_u16_e32 0, v20
	s_cbranch_execz .LBB4_1277
; %bb.1268:                             ;   in Loop: Header=BB4_129 Depth=2
	v_bfrev_b32_e32 v100, 1
	s_mov_b32 s29, exec_lo
	v_cmpx_ne_u16_e32 0x80, v20
	s_cbranch_execz .LBB4_1276
; %bb.1269:                             ;   in Loop: Header=BB4_129 Depth=2
	v_and_b32_e32 v21, 0x7c, v15
	v_and_b32_e32 v20, 3, v15
	s_mov_b32 s40, exec_lo
                                        ; implicit-def: $vgpr100
	s_delay_alu instid0(VALU_DEP_2)
	v_cmpx_ne_u32_e32 0x7c, v21
	s_xor_b32 s40, exec_lo, s40
	s_cbranch_execz .LBB4_1273
; %bb.1270:                             ;   in Loop: Header=BB4_129 Depth=2
	v_bfe_u32 v21, v15, 2, 5
	s_mov_b32 s41, exec_lo
	s_delay_alu instid0(VALU_DEP_1)
	v_cmpx_eq_u32_e32 0, v21
	s_cbranch_execz .LBB4_1272
; %bb.1271:                             ;   in Loop: Header=BB4_129 Depth=2
	v_clz_i32_u32_e32 v20, v20
	v_mov_b32_e32 v21, v39
	s_delay_alu instid0(VALU_DEP_2) | instskip(SKIP_1) | instid1(VALU_DEP_2)
	v_min_u32_e32 v24, 32, v20
	v_mov_b32_e32 v20, v15
	v_subrev_nc_u32_e32 v25, 29, v24
	s_delay_alu instid0(VALU_DEP_1) | instskip(SKIP_1) | instid1(VALU_DEP_2)
	v_lshlrev_b64_e32 v[20:21], v25, v[20:21]
	v_sub_nc_u32_e32 v21, 30, v24
	v_and_b32_e32 v20, 3, v20
.LBB4_1272:                             ;   in Loop: Header=BB4_129 Depth=2
	s_or_b32 exec_lo, exec_lo, s41
	v_lshlrev_b32_e32 v24, 24, v15
	s_delay_alu instid0(VALU_DEP_1) | instskip(NEXT) | instid1(VALU_DEP_1)
	v_and_b32_e32 v24, 0x80000000, v24
	v_lshl_add_u32 v21, v21, 23, v24
	s_delay_alu instid0(VALU_DEP_1) | instskip(NEXT) | instid1(VALU_DEP_1)
	v_lshl_or_b32 v20, v20, 21, v21
	v_add_nc_u32_e32 v100, 0x38000000, v20
                                        ; implicit-def: $vgpr20
.LBB4_1273:                             ;   in Loop: Header=BB4_129 Depth=2
	s_and_not1_saveexec_b32 s40, s40
; %bb.1274:                             ;   in Loop: Header=BB4_129 Depth=2
	v_bfe_i32 v21, v15, 0, 8
	s_delay_alu instid0(VALU_DEP_1) | instskip(SKIP_2) | instid1(VALU_DEP_2)
	v_cmp_lt_i16_e32 vcc_lo, -1, v21
	v_cndmask_b32_e32 v21, 0xff800000, v126, vcc_lo
	v_cmp_eq_u32_e32 vcc_lo, 0, v20
	v_cndmask_b32_e32 v100, 0x7f800001, v21, vcc_lo
; %bb.1275:                             ;   in Loop: Header=BB4_129 Depth=2
	s_or_b32 exec_lo, exec_lo, s40
.LBB4_1276:                             ;   in Loop: Header=BB4_129 Depth=2
	s_delay_alu instid0(SALU_CYCLE_1)
	s_or_b32 exec_lo, exec_lo, s29
.LBB4_1277:                             ;   in Loop: Header=BB4_129 Depth=2
	s_delay_alu instid0(SALU_CYCLE_1) | instskip(NEXT) | instid1(VALU_DEP_1)
	s_or_b32 exec_lo, exec_lo, s10
	v_dual_add_f32 v102, v30, v100 :: v_dual_mov_b32 v21, v39
	v_mov_b32_e32 v101, v39
                                        ; implicit-def: $vgpr45
	s_delay_alu instid0(VALU_DEP_2) | instskip(SKIP_1) | instid1(VALU_DEP_2)
	v_and_b32_e32 v20, 0x7f800000, v102
	v_and_b32_e32 v100, 0x7fffff, v102
	v_cmp_ne_u64_e32 vcc_lo, 0x7f800000, v[20:21]
	v_lshrrev_b32_e32 v20, 24, v102
	s_and_saveexec_b32 s10, vcc_lo
	s_delay_alu instid0(SALU_CYCLE_1)
	s_xor_b32 s29, exec_lo, s10
	s_cbranch_execz .LBB4_1291
; %bb.1278:                             ;   in Loop: Header=BB4_129 Depth=2
	v_and_b32_e32 v24, 0x7fffffff, v102
	v_mov_b32_e32 v25, v39
	v_and_b32_e32 v30, 0x80, v20
                                        ; implicit-def: $vgpr45
	s_mov_b32 s10, exec_lo
	s_delay_alu instid0(VALU_DEP_2)
	v_cmpx_gt_u64_e32 0x47600001, v[24:25]
	s_xor_b32 s40, exec_lo, s10
	s_cbranch_execz .LBB4_1288
; %bb.1279:                             ;   in Loop: Header=BB4_129 Depth=2
	v_mov_b32_e32 v45, 0
	s_mov_b32 s41, exec_lo
	v_cmpx_ne_u32_e32 0, v102
	s_cbranch_execz .LBB4_1287
; %bb.1280:                             ;   in Loop: Header=BB4_129 Depth=2
	v_bfe_u32 v20, v102, 23, 8
	v_or_b32_e32 v31, 0x800000, v100
	s_delay_alu instid0(VALU_DEP_2) | instskip(SKIP_1) | instid1(VALU_DEP_2)
	v_sub_nc_u32_e32 v21, 0x71, v20
	v_cmp_gt_u32_e32 vcc_lo, 0x72, v20
	v_cndmask_b32_e32 v21, 0, v21, vcc_lo
	v_cmp_eq_u32_e32 vcc_lo, 0, v20
	v_cndmask_b32_e32 v100, v31, v100, vcc_lo
	s_delay_alu instid0(VALU_DEP_3) | instskip(NEXT) | instid1(VALU_DEP_1)
	v_cndmask_b32_e64 v21, v21, 0x70, vcc_lo
	v_dual_add_nc_u32 v24, 21, v21 :: v_dual_add_nc_u32 v102, 20, v21
	s_delay_alu instid0(VALU_DEP_1) | instskip(NEXT) | instid1(VALU_DEP_2)
	v_lshlrev_b64_e64 v[24:25], v24, -1
	v_lshlrev_b64_e64 v[102:103], v102, 1
	s_delay_alu instid0(VALU_DEP_2) | instskip(SKIP_1) | instid1(VALU_DEP_4)
	v_bfi_b32 v24, v24, 0, v100
	v_lshrrev_b64 v[100:101], v21, v[100:101]
	v_bfi_b32 v25, v25, 0, 0
	s_delay_alu instid0(VALU_DEP_1) | instskip(NEXT) | instid1(VALU_DEP_3)
	v_cmp_eq_u64_e64 s10, v[24:25], v[102:103]
	v_mov_b64_e32 v[102:103], v[100:101]
	s_and_saveexec_b32 s42, s10
; %bb.1281:                             ;   in Loop: Header=BB4_129 Depth=2
	v_bfe_u32 v24, v100, 21, 1
	v_mov_b32_e32 v25, v39
	s_delay_alu instid0(VALU_DEP_1) | instskip(NEXT) | instid1(VALU_DEP_1)
	v_add_nc_u64_e32 v[24:25], v[100:101], v[24:25]
	v_add_nc_u64_e32 v[102:103], -1, v[24:25]
; %bb.1282:                             ;   in Loop: Header=BB4_129 Depth=2
	s_or_b32 exec_lo, exec_lo, s42
	v_dual_mov_b32 v101, v39 :: v_dual_add_nc_u32 v20, 0xffffff81, v20
	v_lshrrev_b32_e32 v24, 23, v100
	s_mov_b32 s10, exec_lo
	s_delay_alu instid0(VALU_DEP_2) | instskip(NEXT) | instid1(VALU_DEP_1)
	v_cndmask_b32_e64 v20, v20, 0xffffff82, vcc_lo
	v_add3_u32 v21, v21, v20, v24
	v_and_b32_e32 v20, 0x1fffff, v102
	s_delay_alu instid0(VALU_DEP_1) | instskip(NEXT) | instid1(VALU_DEP_1)
	v_dual_add_nc_u32 v102, 14, v21 :: v_dual_add_nc_u32 v100, v20, v100
                                        ; implicit-def: $vgpr20
	v_cmpx_ne_u32_e32 0, v102
	s_xor_b32 s10, exec_lo, s10
; %bb.1283:                             ;   in Loop: Header=BB4_129 Depth=2
	s_delay_alu instid0(VALU_DEP_2) | instskip(SKIP_2) | instid1(VALU_DEP_2)
	v_cmp_lt_u64_e32 vcc_lo, 0xffffff, v[100:101]
	v_add_nc_u32_e32 v20, 15, v21
	v_cndmask_b32_e64 v21, 0, 1, vcc_lo
	v_cndmask_b32_e32 v20, v102, v20, vcc_lo
	s_delay_alu instid0(VALU_DEP_2)
	v_lshrrev_b64 v[100:101], v21, v[100:101]
; %bb.1284:                             ;   in Loop: Header=BB4_129 Depth=2
	s_and_not1_saveexec_b32 s10, s10
; %bb.1285:                             ;   in Loop: Header=BB4_129 Depth=2
	s_delay_alu instid0(VALU_DEP_1)
	v_bfe_u32 v20, v100, 23, 1
; %bb.1286:                             ;   in Loop: Header=BB4_129 Depth=2
	s_or_b32 exec_lo, exec_lo, s10
	s_delay_alu instid0(VALU_DEP_2) | instskip(NEXT) | instid1(VALU_DEP_2)
	v_lshrrev_b64 v[24:25], 21, v[100:101]
	v_cmp_gt_i32_e32 vcc_lo, 32, v20
	v_min_i32_e32 v21, 31, v20
	v_cmp_eq_u32_e64 s10, 0, v20
	s_delay_alu instid0(VALU_DEP_4) | instskip(NEXT) | instid1(VALU_DEP_3)
	v_cndmask_b32_e32 v25, 0, v25, vcc_lo
	v_dual_cndmask_b32 v24, 3, v24 :: v_dual_lshlrev_b32 v21, 2, v21
	s_delay_alu instid0(VALU_DEP_1) | instskip(NEXT) | instid1(VALU_DEP_2)
	v_and_b32_e32 v21, 0xfc, v21
	v_cmp_eq_u64_e32 vcc_lo, 0, v[24:25]
	s_delay_alu instid0(VALU_DEP_2)
	v_and_or_b32 v20, v24, 3, v21
	s_and_b32 s10, s10, vcc_lo
	s_delay_alu instid0(VALU_DEP_1) | instid1(SALU_CYCLE_1)
	v_cndmask_b32_e64 v20, v20, 0, s10
	s_delay_alu instid0(VALU_DEP_1)
	v_or_b32_e32 v45, v20, v30
.LBB4_1287:                             ;   in Loop: Header=BB4_129 Depth=2
	s_or_b32 exec_lo, exec_lo, s41
                                        ; implicit-def: $vgpr30
.LBB4_1288:                             ;   in Loop: Header=BB4_129 Depth=2
	s_and_not1_saveexec_b32 s10, s40
; %bb.1289:                             ;   in Loop: Header=BB4_129 Depth=2
	v_or_b32_e32 v45, 0x7b, v30
; %bb.1290:                             ;   in Loop: Header=BB4_129 Depth=2
	s_or_b32 exec_lo, exec_lo, s10
                                        ; implicit-def: $vgpr102
                                        ; implicit-def: $vgpr100_vgpr101
                                        ; implicit-def: $vgpr20
.LBB4_1291:                             ;   in Loop: Header=BB4_129 Depth=2
	s_and_not1_saveexec_b32 s10, s29
	s_cbranch_execz .LBB4_1297
; %bb.1292:                             ;   in Loop: Header=BB4_129 Depth=2
	s_mov_b32 s29, exec_lo
                                        ; implicit-def: $vgpr45
	v_cmpx_ne_u64_e32 0, v[100:101]
	s_xor_b32 s29, exec_lo, s29
; %bb.1293:                             ;   in Loop: Header=BB4_129 Depth=2
	v_or_b32_e32 v45, 0x7f, v20
                                        ; implicit-def: $vgpr102
; %bb.1294:                             ;   in Loop: Header=BB4_129 Depth=2
	s_and_not1_saveexec_b32 s29, s29
; %bb.1295:                             ;   in Loop: Header=BB4_129 Depth=2
	v_cmp_lt_i32_e32 vcc_lo, -1, v102
	v_cndmask_b32_e32 v45, 0xfc, v122, vcc_lo
; %bb.1296:                             ;   in Loop: Header=BB4_129 Depth=2
	s_or_b32 exec_lo, exec_lo, s29
.LBB4_1297:                             ;   in Loop: Header=BB4_129 Depth=2
	s_delay_alu instid0(SALU_CYCLE_1) | instskip(SKIP_3) | instid1(VALU_DEP_2)
	s_or_b32 exec_lo, exec_lo, s10
	v_lshrrev_b16 v100, 8, v2
	v_dual_mov_b32 v30, 0 :: v_dual_mov_b32 v102, 0
	s_mov_b32 s10, exec_lo
	v_cmpx_ne_u16_e32 0, v100
	s_cbranch_execz .LBB4_1307
; %bb.1298:                             ;   in Loop: Header=BB4_129 Depth=2
	v_bfrev_b32_e32 v102, 1
	s_mov_b32 s29, exec_lo
	v_cmpx_ne_u16_e32 0x80, v100
	s_cbranch_execz .LBB4_1306
; %bb.1299:                             ;   in Loop: Header=BB4_129 Depth=2
	v_and_b32_e32 v21, 0xffff, v100
	s_mov_b32 s40, exec_lo
                                        ; implicit-def: $vgpr102
	s_delay_alu instid0(VALU_DEP_1) | instskip(SKIP_1) | instid1(VALU_DEP_2)
	v_and_b32_e32 v24, 0x7c, v21
	v_and_b32_e32 v20, 3, v21
	v_cmpx_ne_u32_e32 0x7c, v24
	s_xor_b32 s40, exec_lo, s40
	s_cbranch_execz .LBB4_1303
; %bb.1300:                             ;   in Loop: Header=BB4_129 Depth=2
	v_bfe_u32 v21, v21, 2, 5
	s_mov_b32 s41, exec_lo
	s_delay_alu instid0(VALU_DEP_1)
	v_cmpx_eq_u32_e32 0, v21
	s_cbranch_execz .LBB4_1302
; %bb.1301:                             ;   in Loop: Header=BB4_129 Depth=2
	v_clz_i32_u32_e32 v20, v20
	s_delay_alu instid0(VALU_DEP_1) | instskip(SKIP_1) | instid1(VALU_DEP_2)
	v_min_u32_e32 v24, 32, v20
	v_mov_b32_e32 v101, v39
	v_subrev_nc_u32_e32 v20, 29, v24
	s_delay_alu instid0(VALU_DEP_1) | instskip(SKIP_1) | instid1(VALU_DEP_2)
	v_lshlrev_b64_e32 v[20:21], v20, v[100:101]
	v_sub_nc_u32_e32 v21, 30, v24
	v_and_b32_e32 v20, 3, v20
.LBB4_1302:                             ;   in Loop: Header=BB4_129 Depth=2
	s_or_b32 exec_lo, exec_lo, s41
	v_lshlrev_b32_e32 v2, 16, v2
	s_delay_alu instid0(VALU_DEP_1) | instskip(NEXT) | instid1(VALU_DEP_1)
	v_and_b32_e32 v2, 0x80000000, v2
	v_lshl_add_u32 v2, v21, 23, v2
	s_delay_alu instid0(VALU_DEP_1) | instskip(NEXT) | instid1(VALU_DEP_1)
	v_lshl_or_b32 v2, v20, 21, v2
                                        ; implicit-def: $vgpr20
	v_add_nc_u32_e32 v102, 0x38000000, v2
                                        ; implicit-def: $vgpr2
.LBB4_1303:                             ;   in Loop: Header=BB4_129 Depth=2
	s_and_not1_saveexec_b32 s40, s40
; %bb.1304:                             ;   in Loop: Header=BB4_129 Depth=2
	v_cmp_lt_i16_e32 vcc_lo, -1, v2
	v_cndmask_b32_e32 v2, 0xff800000, v126, vcc_lo
	v_cmp_eq_u32_e32 vcc_lo, 0, v20
	s_delay_alu instid0(VALU_DEP_2)
	v_cndmask_b32_e32 v102, 0x7f800001, v2, vcc_lo
; %bb.1305:                             ;   in Loop: Header=BB4_129 Depth=2
	s_or_b32 exec_lo, exec_lo, s40
.LBB4_1306:                             ;   in Loop: Header=BB4_129 Depth=2
	s_delay_alu instid0(SALU_CYCLE_1)
	s_or_b32 exec_lo, exec_lo, s29
.LBB4_1307:                             ;   in Loop: Header=BB4_129 Depth=2
	s_delay_alu instid0(SALU_CYCLE_1) | instskip(SKIP_2) | instid1(VALU_DEP_1)
	s_or_b32 exec_lo, exec_lo, s10
	v_lshrrev_b16 v100, 8, v15
	s_mov_b32 s10, exec_lo
	v_cmpx_ne_u16_e32 0, v100
	s_cbranch_execz .LBB4_1317
; %bb.1308:                             ;   in Loop: Header=BB4_129 Depth=2
	v_bfrev_b32_e32 v30, 1
	s_mov_b32 s29, exec_lo
	v_cmpx_ne_u16_e32 0x80, v100
	s_cbranch_execz .LBB4_1316
; %bb.1309:                             ;   in Loop: Header=BB4_129 Depth=2
	v_and_b32_e32 v20, 0xffff, v100
	s_mov_b32 s40, exec_lo
                                        ; implicit-def: $vgpr30
	s_delay_alu instid0(VALU_DEP_1) | instskip(SKIP_1) | instid1(VALU_DEP_2)
	v_and_b32_e32 v21, 0x7c, v20
	v_and_b32_e32 v2, 3, v20
	v_cmpx_ne_u32_e32 0x7c, v21
	s_xor_b32 s40, exec_lo, s40
	s_cbranch_execz .LBB4_1313
; %bb.1310:                             ;   in Loop: Header=BB4_129 Depth=2
	v_bfe_u32 v20, v20, 2, 5
	s_mov_b32 s41, exec_lo
	s_delay_alu instid0(VALU_DEP_1)
	v_cmpx_eq_u32_e32 0, v20
; %bb.1311:                             ;   in Loop: Header=BB4_129 Depth=2
	v_clz_i32_u32_e32 v2, v2
	s_delay_alu instid0(VALU_DEP_1) | instskip(SKIP_1) | instid1(VALU_DEP_2)
	v_min_u32_e32 v2, 32, v2
	v_mov_b32_e32 v101, v39
	v_subrev_nc_u32_e32 v20, 29, v2
	s_delay_alu instid0(VALU_DEP_1) | instskip(NEXT) | instid1(VALU_DEP_1)
	v_lshlrev_b64_e32 v[24:25], v20, v[100:101]
	v_dual_sub_nc_u32 v20, 30, v2 :: v_dual_bitop2_b32 v2, 3, v24 bitop3:0x40
; %bb.1312:                             ;   in Loop: Header=BB4_129 Depth=2
	s_or_b32 exec_lo, exec_lo, s41
	v_lshlrev_b32_e32 v21, 16, v15
	s_delay_alu instid0(VALU_DEP_1) | instskip(NEXT) | instid1(VALU_DEP_1)
	v_and_b32_e32 v21, 0x80000000, v21
	v_lshl_add_u32 v20, v20, 23, v21
	s_delay_alu instid0(VALU_DEP_1) | instskip(NEXT) | instid1(VALU_DEP_1)
	v_lshl_or_b32 v2, v2, 21, v20
	v_add_nc_u32_e32 v30, 0x38000000, v2
                                        ; implicit-def: $vgpr2
.LBB4_1313:                             ;   in Loop: Header=BB4_129 Depth=2
	s_and_not1_saveexec_b32 s40, s40
; %bb.1314:                             ;   in Loop: Header=BB4_129 Depth=2
	v_cmp_lt_i16_e32 vcc_lo, -1, v15
	v_cndmask_b32_e32 v20, 0xff800000, v126, vcc_lo
	v_cmp_eq_u32_e32 vcc_lo, 0, v2
	s_delay_alu instid0(VALU_DEP_2)
	v_cndmask_b32_e32 v30, 0x7f800001, v20, vcc_lo
; %bb.1315:                             ;   in Loop: Header=BB4_129 Depth=2
	s_or_b32 exec_lo, exec_lo, s40
.LBB4_1316:                             ;   in Loop: Header=BB4_129 Depth=2
	s_delay_alu instid0(SALU_CYCLE_1)
	s_or_b32 exec_lo, exec_lo, s29
.LBB4_1317:                             ;   in Loop: Header=BB4_129 Depth=2
	s_delay_alu instid0(SALU_CYCLE_1) | instskip(NEXT) | instid1(VALU_DEP_1)
	s_or_b32 exec_lo, exec_lo, s10
	v_dual_add_f32 v30, v102, v30 :: v_dual_mov_b32 v21, v39
	v_mov_b32_e32 v101, v39
                                        ; implicit-def: $vgpr60
	s_mov_b32 s10, exec_lo
	s_delay_alu instid0(VALU_DEP_2) | instskip(SKIP_2) | instid1(VALU_DEP_3)
	v_and_b32_e32 v20, 0x7f800000, v30
	v_and_b32_e32 v100, 0x7fffff, v30
	v_lshrrev_b32_e32 v2, 24, v30
	v_cmpx_ne_u64_e32 0x7f800000, v[20:21]
	s_xor_b32 s29, exec_lo, s10
	s_cbranch_execz .LBB4_1331
; %bb.1318:                             ;   in Loop: Header=BB4_129 Depth=2
	v_and_b32_e32 v20, 0x7fffffff, v30
	v_mov_b32_e32 v21, v39
	v_and_b32_e32 v2, 0x80, v2
                                        ; implicit-def: $vgpr60
	s_mov_b32 s10, exec_lo
	s_delay_alu instid0(VALU_DEP_2)
	v_cmpx_gt_u64_e32 0x47600001, v[20:21]
	s_xor_b32 s40, exec_lo, s10
	s_cbranch_execz .LBB4_1328
; %bb.1319:                             ;   in Loop: Header=BB4_129 Depth=2
	v_mov_b32_e32 v60, 0
	s_mov_b32 s41, exec_lo
	v_cmpx_ne_u32_e32 0, v30
	s_cbranch_execz .LBB4_1327
; %bb.1320:                             ;   in Loop: Header=BB4_129 Depth=2
	v_bfe_u32 v20, v30, 23, 8
	v_or_b32_e32 v30, 0x800000, v100
	s_mov_b32 s42, exec_lo
	s_delay_alu instid0(VALU_DEP_2) | instskip(SKIP_1) | instid1(VALU_DEP_2)
	v_sub_nc_u32_e32 v21, 0x71, v20
	v_cmp_gt_u32_e32 vcc_lo, 0x72, v20
	v_cndmask_b32_e32 v21, 0, v21, vcc_lo
	v_cmp_eq_u32_e32 vcc_lo, 0, v20
	v_cndmask_b32_e32 v100, v30, v100, vcc_lo
	s_delay_alu instid0(VALU_DEP_3) | instskip(NEXT) | instid1(VALU_DEP_1)
	v_cndmask_b32_e64 v21, v21, 0x70, vcc_lo
	v_dual_add_nc_u32 v24, 21, v21 :: v_dual_add_nc_u32 v31, 20, v21
	s_delay_alu instid0(VALU_DEP_1) | instskip(NEXT) | instid1(VALU_DEP_2)
	v_lshlrev_b64_e64 v[24:25], v24, -1
	v_lshlrev_b64_e64 v[30:31], v31, 1
	s_delay_alu instid0(VALU_DEP_2) | instskip(SKIP_1) | instid1(VALU_DEP_4)
	v_bfi_b32 v24, v24, 0, v100
	v_lshrrev_b64 v[100:101], v21, v[100:101]
	v_bfi_b32 v25, v25, 0, 0
	s_delay_alu instid0(VALU_DEP_2) | instskip(NEXT) | instid1(VALU_DEP_2)
	v_mov_b64_e32 v[102:103], v[100:101]
	v_cmpx_eq_u64_e64 v[24:25], v[30:31]
; %bb.1321:                             ;   in Loop: Header=BB4_129 Depth=2
	v_bfe_u32 v24, v100, 21, 1
	v_mov_b32_e32 v25, v39
	s_delay_alu instid0(VALU_DEP_1) | instskip(NEXT) | instid1(VALU_DEP_1)
	v_add_nc_u64_e32 v[24:25], v[100:101], v[24:25]
	v_add_nc_u64_e32 v[102:103], -1, v[24:25]
; %bb.1322:                             ;   in Loop: Header=BB4_129 Depth=2
	s_or_b32 exec_lo, exec_lo, s42
	v_dual_mov_b32 v101, v39 :: v_dual_add_nc_u32 v20, 0xffffff81, v20
	v_lshrrev_b32_e32 v24, 23, v100
	s_mov_b32 s10, exec_lo
	s_delay_alu instid0(VALU_DEP_2) | instskip(NEXT) | instid1(VALU_DEP_1)
	v_cndmask_b32_e64 v20, v20, 0xffffff82, vcc_lo
	v_add3_u32 v21, v21, v20, v24
	v_and_b32_e32 v20, 0x1fffff, v102
	s_delay_alu instid0(VALU_DEP_1) | instskip(NEXT) | instid1(VALU_DEP_1)
	v_dual_add_nc_u32 v30, 14, v21 :: v_dual_add_nc_u32 v100, v20, v100
                                        ; implicit-def: $vgpr20
	v_cmpx_ne_u32_e32 0, v30
	s_xor_b32 s10, exec_lo, s10
; %bb.1323:                             ;   in Loop: Header=BB4_129 Depth=2
	s_delay_alu instid0(VALU_DEP_2) | instskip(SKIP_2) | instid1(VALU_DEP_2)
	v_cmp_lt_u64_e32 vcc_lo, 0xffffff, v[100:101]
	v_add_nc_u32_e32 v20, 15, v21
	v_cndmask_b32_e64 v21, 0, 1, vcc_lo
	v_cndmask_b32_e32 v20, v30, v20, vcc_lo
	s_delay_alu instid0(VALU_DEP_2)
	v_lshrrev_b64 v[100:101], v21, v[100:101]
; %bb.1324:                             ;   in Loop: Header=BB4_129 Depth=2
	s_and_not1_saveexec_b32 s10, s10
; %bb.1325:                             ;   in Loop: Header=BB4_129 Depth=2
	s_delay_alu instid0(VALU_DEP_1)
	v_bfe_u32 v20, v100, 23, 1
; %bb.1326:                             ;   in Loop: Header=BB4_129 Depth=2
	s_or_b32 exec_lo, exec_lo, s10
	s_delay_alu instid0(VALU_DEP_2) | instskip(NEXT) | instid1(VALU_DEP_2)
	v_lshrrev_b64 v[24:25], 21, v[100:101]
	v_cmp_gt_i32_e32 vcc_lo, 32, v20
	v_min_i32_e32 v21, 31, v20
	v_cmp_eq_u32_e64 s10, 0, v20
	s_delay_alu instid0(VALU_DEP_4) | instskip(NEXT) | instid1(VALU_DEP_3)
	v_cndmask_b32_e32 v25, 0, v25, vcc_lo
	v_dual_cndmask_b32 v24, 3, v24 :: v_dual_lshlrev_b32 v21, 2, v21
	s_delay_alu instid0(VALU_DEP_1) | instskip(NEXT) | instid1(VALU_DEP_2)
	v_and_b32_e32 v21, 0xfc, v21
	v_cmp_eq_u64_e32 vcc_lo, 0, v[24:25]
	s_delay_alu instid0(VALU_DEP_2)
	v_and_or_b32 v20, v24, 3, v21
	s_and_b32 s10, s10, vcc_lo
	s_delay_alu instid0(VALU_DEP_1) | instid1(SALU_CYCLE_1)
	v_cndmask_b32_e64 v20, v20, 0, s10
	s_delay_alu instid0(VALU_DEP_1)
	v_or_b32_e32 v60, v20, v2
.LBB4_1327:                             ;   in Loop: Header=BB4_129 Depth=2
	s_or_b32 exec_lo, exec_lo, s41
                                        ; implicit-def: $vgpr2
.LBB4_1328:                             ;   in Loop: Header=BB4_129 Depth=2
	s_and_not1_saveexec_b32 s10, s40
; %bb.1329:                             ;   in Loop: Header=BB4_129 Depth=2
	v_or_b32_e32 v60, 0x7b, v2
; %bb.1330:                             ;   in Loop: Header=BB4_129 Depth=2
	s_or_b32 exec_lo, exec_lo, s10
                                        ; implicit-def: $vgpr30
                                        ; implicit-def: $vgpr100_vgpr101
                                        ; implicit-def: $vgpr2
.LBB4_1331:                             ;   in Loop: Header=BB4_129 Depth=2
	s_and_not1_saveexec_b32 s10, s29
	s_cbranch_execz .LBB4_1337
; %bb.1332:                             ;   in Loop: Header=BB4_129 Depth=2
	s_mov_b32 s29, exec_lo
                                        ; implicit-def: $vgpr60
	v_cmpx_ne_u64_e32 0, v[100:101]
	s_xor_b32 s29, exec_lo, s29
; %bb.1333:                             ;   in Loop: Header=BB4_129 Depth=2
	v_or_b32_e32 v60, 0x7f, v2
                                        ; implicit-def: $vgpr30
; %bb.1334:                             ;   in Loop: Header=BB4_129 Depth=2
	s_and_not1_saveexec_b32 s29, s29
; %bb.1335:                             ;   in Loop: Header=BB4_129 Depth=2
	v_cmp_lt_i32_e32 vcc_lo, -1, v30
	v_cndmask_b32_e32 v60, 0xfc, v122, vcc_lo
; %bb.1336:                             ;   in Loop: Header=BB4_129 Depth=2
	s_or_b32 exec_lo, exec_lo, s29
.LBB4_1337:                             ;   in Loop: Header=BB4_129 Depth=2
	s_delay_alu instid0(SALU_CYCLE_1) | instskip(SKIP_3) | instid1(VALU_DEP_2)
	s_or_b32 exec_lo, exec_lo, s10
	v_dual_lshrrev_b32 v30, 16, v38 :: v_dual_mov_b32 v2, 0
	v_mov_b32_e32 v100, 0
	s_mov_b32 s10, exec_lo
	v_and_b32_e32 v20, 0xff, v30
	s_delay_alu instid0(VALU_DEP_1)
	v_cmpx_ne_u16_e32 0, v20
	s_cbranch_execz .LBB4_1347
; %bb.1338:                             ;   in Loop: Header=BB4_129 Depth=2
	v_bfrev_b32_e32 v100, 1
	s_mov_b32 s29, exec_lo
	v_cmpx_ne_u16_e32 0x80, v20
	s_cbranch_execz .LBB4_1346
; %bb.1339:                             ;   in Loop: Header=BB4_129 Depth=2
	v_and_b32_e32 v21, 0x7c0000, v38
	v_bfe_u32 v20, v38, 16, 2
	s_mov_b32 s40, exec_lo
                                        ; implicit-def: $vgpr100
	s_delay_alu instid0(VALU_DEP_2)
	v_cmpx_ne_u32_e32 0x7c0000, v21
	s_xor_b32 s40, exec_lo, s40
	s_cbranch_execz .LBB4_1343
; %bb.1340:                             ;   in Loop: Header=BB4_129 Depth=2
	v_bfe_u32 v21, v38, 18, 5
	s_mov_b32 s41, exec_lo
	s_delay_alu instid0(VALU_DEP_1)
	v_cmpx_eq_u32_e32 0, v21
; %bb.1341:                             ;   in Loop: Header=BB4_129 Depth=2
	v_clz_i32_u32_e32 v20, v20
	s_delay_alu instid0(VALU_DEP_1) | instskip(NEXT) | instid1(VALU_DEP_1)
	v_min_u32_e32 v24, 32, v20
	v_subrev_nc_u32_e32 v20, 29, v24
	s_delay_alu instid0(VALU_DEP_1) | instskip(SKIP_1) | instid1(VALU_DEP_2)
	v_lshlrev_b64_e32 v[20:21], v20, v[30:31]
	v_sub_nc_u32_e32 v21, 30, v24
	v_and_b32_e32 v20, 3, v20
; %bb.1342:                             ;   in Loop: Header=BB4_129 Depth=2
	s_or_b32 exec_lo, exec_lo, s41
	v_lshlrev_b32_e32 v24, 24, v30
                                        ; implicit-def: $vgpr30
	s_delay_alu instid0(VALU_DEP_1) | instskip(NEXT) | instid1(VALU_DEP_1)
	v_and_b32_e32 v24, 0x80000000, v24
	v_lshl_add_u32 v21, v21, 23, v24
	s_delay_alu instid0(VALU_DEP_1) | instskip(NEXT) | instid1(VALU_DEP_1)
	v_lshl_or_b32 v20, v20, 21, v21
	v_add_nc_u32_e32 v100, 0x38000000, v20
                                        ; implicit-def: $vgpr20
.LBB4_1343:                             ;   in Loop: Header=BB4_129 Depth=2
	s_and_not1_saveexec_b32 s40, s40
; %bb.1344:                             ;   in Loop: Header=BB4_129 Depth=2
	v_bfe_i32 v21, v30, 0, 8
	s_delay_alu instid0(VALU_DEP_1) | instskip(SKIP_2) | instid1(VALU_DEP_2)
	v_cmp_lt_i16_e32 vcc_lo, -1, v21
	v_cndmask_b32_e32 v21, 0xff800000, v126, vcc_lo
	v_cmp_eq_u32_e32 vcc_lo, 0, v20
	v_cndmask_b32_e32 v100, 0x7f800001, v21, vcc_lo
; %bb.1345:                             ;   in Loop: Header=BB4_129 Depth=2
	s_or_b32 exec_lo, exec_lo, s40
.LBB4_1346:                             ;   in Loop: Header=BB4_129 Depth=2
	s_delay_alu instid0(SALU_CYCLE_1)
	s_or_b32 exec_lo, exec_lo, s29
.LBB4_1347:                             ;   in Loop: Header=BB4_129 Depth=2
	s_delay_alu instid0(SALU_CYCLE_1) | instskip(SKIP_2) | instid1(VALU_DEP_1)
	s_or_b32 exec_lo, exec_lo, s10
	v_lshrrev_b32_e32 v30, 16, v15
	s_mov_b32 s10, exec_lo
	v_and_b32_e32 v20, 0xff, v30
	s_delay_alu instid0(VALU_DEP_1)
	v_cmpx_ne_u16_e32 0, v20
	s_cbranch_execz .LBB4_1357
; %bb.1348:                             ;   in Loop: Header=BB4_129 Depth=2
	v_bfrev_b32_e32 v2, 1
	s_mov_b32 s29, exec_lo
	v_cmpx_ne_u16_e32 0x80, v20
	s_cbranch_execz .LBB4_1356
; %bb.1349:                             ;   in Loop: Header=BB4_129 Depth=2
	v_and_b32_e32 v2, 0x7c0000, v15
	v_bfe_u32 v20, v15, 16, 2
	s_delay_alu instid0(VALU_DEP_2) | instskip(SKIP_1) | instid1(SALU_CYCLE_1)
	v_cmp_ne_u32_e32 vcc_lo, 0x7c0000, v2
                                        ; implicit-def: $vgpr2
	s_and_saveexec_b32 s40, vcc_lo
	s_xor_b32 s40, exec_lo, s40
	s_cbranch_execz .LBB4_1353
; %bb.1350:                             ;   in Loop: Header=BB4_129 Depth=2
	v_bfe_u32 v2, v15, 18, 5
	s_mov_b32 s41, exec_lo
	s_delay_alu instid0(VALU_DEP_1)
	v_cmpx_eq_u32_e32 0, v2
; %bb.1351:                             ;   in Loop: Header=BB4_129 Depth=2
	v_clz_i32_u32_e32 v2, v20
	s_delay_alu instid0(VALU_DEP_1) | instskip(NEXT) | instid1(VALU_DEP_1)
	v_min_u32_e32 v2, 32, v2
	v_subrev_nc_u32_e32 v20, 29, v2
	s_delay_alu instid0(VALU_DEP_1) | instskip(NEXT) | instid1(VALU_DEP_1)
	v_lshlrev_b64_e32 v[20:21], v20, v[30:31]
	v_dual_sub_nc_u32 v2, 30, v2 :: v_dual_bitop2_b32 v20, 3, v20 bitop3:0x40
; %bb.1352:                             ;   in Loop: Header=BB4_129 Depth=2
	s_or_b32 exec_lo, exec_lo, s41
	v_lshlrev_b32_e32 v21, 24, v30
                                        ; implicit-def: $vgpr30
	s_delay_alu instid0(VALU_DEP_1) | instskip(NEXT) | instid1(VALU_DEP_1)
	v_and_b32_e32 v21, 0x80000000, v21
	v_lshl_add_u32 v2, v2, 23, v21
	s_delay_alu instid0(VALU_DEP_1) | instskip(NEXT) | instid1(VALU_DEP_1)
	v_lshl_or_b32 v2, v20, 21, v2
                                        ; implicit-def: $vgpr20
	v_add_nc_u32_e32 v2, 0x38000000, v2
.LBB4_1353:                             ;   in Loop: Header=BB4_129 Depth=2
	s_and_not1_saveexec_b32 s40, s40
; %bb.1354:                             ;   in Loop: Header=BB4_129 Depth=2
	v_bfe_i32 v2, v30, 0, 8
	s_delay_alu instid0(VALU_DEP_1) | instskip(SKIP_2) | instid1(VALU_DEP_2)
	v_cmp_lt_i16_e32 vcc_lo, -1, v2
	v_cndmask_b32_e32 v2, 0xff800000, v126, vcc_lo
	v_cmp_eq_u32_e32 vcc_lo, 0, v20
	v_cndmask_b32_e32 v2, 0x7f800001, v2, vcc_lo
; %bb.1355:                             ;   in Loop: Header=BB4_129 Depth=2
	s_or_b32 exec_lo, exec_lo, s40
.LBB4_1356:                             ;   in Loop: Header=BB4_129 Depth=2
	s_delay_alu instid0(SALU_CYCLE_1)
	s_or_b32 exec_lo, exec_lo, s29
.LBB4_1357:                             ;   in Loop: Header=BB4_129 Depth=2
	s_delay_alu instid0(SALU_CYCLE_1) | instskip(NEXT) | instid1(VALU_DEP_1)
	s_or_b32 exec_lo, exec_lo, s10
	v_dual_add_f32 v30, v100, v2 :: v_dual_mov_b32 v21, v39
	v_mov_b32_e32 v101, v39
                                        ; implicit-def: $vgpr102
	s_mov_b32 s10, exec_lo
	s_delay_alu instid0(VALU_DEP_2) | instskip(SKIP_2) | instid1(VALU_DEP_3)
	v_and_b32_e32 v20, 0x7f800000, v30
	v_and_b32_e32 v100, 0x7fffff, v30
	v_lshrrev_b32_e32 v2, 24, v30
	v_cmpx_ne_u64_e32 0x7f800000, v[20:21]
	s_xor_b32 s29, exec_lo, s10
	s_cbranch_execz .LBB4_1371
; %bb.1358:                             ;   in Loop: Header=BB4_129 Depth=2
	v_and_b32_e32 v20, 0x7fffffff, v30
	v_mov_b32_e32 v21, v39
	v_and_b32_e32 v2, 0x80, v2
                                        ; implicit-def: $vgpr102
	s_mov_b32 s10, exec_lo
	s_delay_alu instid0(VALU_DEP_2)
	v_cmpx_gt_u64_e32 0x47600001, v[20:21]
	s_xor_b32 s40, exec_lo, s10
	s_cbranch_execz .LBB4_1368
; %bb.1359:                             ;   in Loop: Header=BB4_129 Depth=2
	v_mov_b32_e32 v102, 0
	s_mov_b32 s41, exec_lo
	v_cmpx_ne_u32_e32 0, v30
	s_cbranch_execz .LBB4_1367
; %bb.1360:                             ;   in Loop: Header=BB4_129 Depth=2
	v_bfe_u32 v20, v30, 23, 8
	v_or_b32_e32 v30, 0x800000, v100
	s_mov_b32 s42, exec_lo
	s_delay_alu instid0(VALU_DEP_2) | instskip(SKIP_1) | instid1(VALU_DEP_2)
	v_sub_nc_u32_e32 v21, 0x71, v20
	v_cmp_gt_u32_e32 vcc_lo, 0x72, v20
	v_cndmask_b32_e32 v21, 0, v21, vcc_lo
	v_cmp_eq_u32_e32 vcc_lo, 0, v20
	v_cndmask_b32_e32 v100, v30, v100, vcc_lo
	s_delay_alu instid0(VALU_DEP_3) | instskip(NEXT) | instid1(VALU_DEP_1)
	v_cndmask_b32_e64 v21, v21, 0x70, vcc_lo
	v_dual_add_nc_u32 v24, 21, v21 :: v_dual_add_nc_u32 v31, 20, v21
	s_delay_alu instid0(VALU_DEP_1) | instskip(NEXT) | instid1(VALU_DEP_2)
	v_lshlrev_b64_e64 v[24:25], v24, -1
	v_lshlrev_b64_e64 v[30:31], v31, 1
	s_delay_alu instid0(VALU_DEP_2) | instskip(SKIP_1) | instid1(VALU_DEP_4)
	v_bfi_b32 v24, v24, 0, v100
	v_lshrrev_b64 v[100:101], v21, v[100:101]
	v_bfi_b32 v25, v25, 0, 0
	s_delay_alu instid0(VALU_DEP_2) | instskip(NEXT) | instid1(VALU_DEP_2)
	v_mov_b64_e32 v[102:103], v[100:101]
	v_cmpx_eq_u64_e64 v[24:25], v[30:31]
; %bb.1361:                             ;   in Loop: Header=BB4_129 Depth=2
	v_bfe_u32 v24, v100, 21, 1
	v_mov_b32_e32 v25, v39
	s_delay_alu instid0(VALU_DEP_1) | instskip(NEXT) | instid1(VALU_DEP_1)
	v_add_nc_u64_e32 v[24:25], v[100:101], v[24:25]
	v_add_nc_u64_e32 v[102:103], -1, v[24:25]
; %bb.1362:                             ;   in Loop: Header=BB4_129 Depth=2
	s_or_b32 exec_lo, exec_lo, s42
	v_dual_mov_b32 v101, v39 :: v_dual_add_nc_u32 v20, 0xffffff81, v20
	v_lshrrev_b32_e32 v24, 23, v100
	s_mov_b32 s10, exec_lo
	s_delay_alu instid0(VALU_DEP_2) | instskip(NEXT) | instid1(VALU_DEP_1)
	v_cndmask_b32_e64 v20, v20, 0xffffff82, vcc_lo
	v_add3_u32 v21, v21, v20, v24
	v_and_b32_e32 v20, 0x1fffff, v102
	s_delay_alu instid0(VALU_DEP_1) | instskip(NEXT) | instid1(VALU_DEP_1)
	v_dual_add_nc_u32 v30, 14, v21 :: v_dual_add_nc_u32 v100, v20, v100
                                        ; implicit-def: $vgpr20
	v_cmpx_ne_u32_e32 0, v30
	s_xor_b32 s10, exec_lo, s10
; %bb.1363:                             ;   in Loop: Header=BB4_129 Depth=2
	s_delay_alu instid0(VALU_DEP_2) | instskip(SKIP_2) | instid1(VALU_DEP_2)
	v_cmp_lt_u64_e32 vcc_lo, 0xffffff, v[100:101]
	v_add_nc_u32_e32 v20, 15, v21
	v_cndmask_b32_e64 v21, 0, 1, vcc_lo
	v_cndmask_b32_e32 v20, v30, v20, vcc_lo
	s_delay_alu instid0(VALU_DEP_2)
	v_lshrrev_b64 v[100:101], v21, v[100:101]
; %bb.1364:                             ;   in Loop: Header=BB4_129 Depth=2
	s_and_not1_saveexec_b32 s10, s10
; %bb.1365:                             ;   in Loop: Header=BB4_129 Depth=2
	s_delay_alu instid0(VALU_DEP_1)
	v_bfe_u32 v20, v100, 23, 1
; %bb.1366:                             ;   in Loop: Header=BB4_129 Depth=2
	s_or_b32 exec_lo, exec_lo, s10
	s_delay_alu instid0(VALU_DEP_2) | instskip(NEXT) | instid1(VALU_DEP_2)
	v_lshrrev_b64 v[24:25], 21, v[100:101]
	v_cmp_gt_i32_e32 vcc_lo, 32, v20
	v_min_i32_e32 v21, 31, v20
	v_cmp_eq_u32_e64 s10, 0, v20
	s_delay_alu instid0(VALU_DEP_4) | instskip(NEXT) | instid1(VALU_DEP_3)
	v_cndmask_b32_e32 v25, 0, v25, vcc_lo
	v_dual_cndmask_b32 v24, 3, v24 :: v_dual_lshlrev_b32 v21, 2, v21
	s_delay_alu instid0(VALU_DEP_1) | instskip(NEXT) | instid1(VALU_DEP_2)
	v_and_b32_e32 v21, 0xfc, v21
	v_cmp_eq_u64_e32 vcc_lo, 0, v[24:25]
	s_delay_alu instid0(VALU_DEP_2)
	v_and_or_b32 v20, v24, 3, v21
	s_and_b32 s10, s10, vcc_lo
	s_delay_alu instid0(VALU_DEP_1) | instid1(SALU_CYCLE_1)
	v_cndmask_b32_e64 v20, v20, 0, s10
	s_delay_alu instid0(VALU_DEP_1)
	v_or_b32_e32 v102, v20, v2
.LBB4_1367:                             ;   in Loop: Header=BB4_129 Depth=2
	s_or_b32 exec_lo, exec_lo, s41
                                        ; implicit-def: $vgpr2
.LBB4_1368:                             ;   in Loop: Header=BB4_129 Depth=2
	s_and_not1_saveexec_b32 s10, s40
; %bb.1369:                             ;   in Loop: Header=BB4_129 Depth=2
	v_or_b32_e32 v102, 0x7b, v2
; %bb.1370:                             ;   in Loop: Header=BB4_129 Depth=2
	s_or_b32 exec_lo, exec_lo, s10
                                        ; implicit-def: $vgpr30
                                        ; implicit-def: $vgpr100_vgpr101
                                        ; implicit-def: $vgpr2
.LBB4_1371:                             ;   in Loop: Header=BB4_129 Depth=2
	s_and_not1_saveexec_b32 s10, s29
	s_cbranch_execz .LBB4_1377
; %bb.1372:                             ;   in Loop: Header=BB4_129 Depth=2
	s_mov_b32 s29, exec_lo
                                        ; implicit-def: $vgpr102
	v_cmpx_ne_u64_e32 0, v[100:101]
	s_xor_b32 s29, exec_lo, s29
; %bb.1373:                             ;   in Loop: Header=BB4_129 Depth=2
	v_or_b32_e32 v102, 0x7f, v2
                                        ; implicit-def: $vgpr30
; %bb.1374:                             ;   in Loop: Header=BB4_129 Depth=2
	s_and_not1_saveexec_b32 s29, s29
; %bb.1375:                             ;   in Loop: Header=BB4_129 Depth=2
	v_cmp_lt_i32_e32 vcc_lo, -1, v30
	v_cndmask_b32_e32 v102, 0xfc, v122, vcc_lo
; %bb.1376:                             ;   in Loop: Header=BB4_129 Depth=2
	s_or_b32 exec_lo, exec_lo, s29
.LBB4_1377:                             ;   in Loop: Header=BB4_129 Depth=2
	s_delay_alu instid0(SALU_CYCLE_1)
	s_or_b32 exec_lo, exec_lo, s10
	v_dual_mov_b32 v2, 0 :: v_dual_mov_b32 v100, 0
	s_mov_b32 s10, exec_lo
	v_cmpx_lt_u32_e32 0xffffff, v38
	s_cbranch_execz .LBB4_1387
; %bb.1378:                             ;   in Loop: Header=BB4_129 Depth=2
	v_lshrrev_b32_e32 v30, 24, v38
	v_bfrev_b32_e32 v100, 1
	s_mov_b32 s29, exec_lo
	s_delay_alu instid0(VALU_DEP_2)
	v_cmpx_ne_u32_e32 0x80, v30
	s_cbranch_execz .LBB4_1386
; %bb.1379:                             ;   in Loop: Header=BB4_129 Depth=2
	v_and_b32_e32 v21, 0x7c000000, v38
	v_bfe_u32 v20, v38, 24, 2
	s_mov_b32 s40, exec_lo
                                        ; implicit-def: $vgpr100
	s_delay_alu instid0(VALU_DEP_2)
	v_cmpx_ne_u32_e32 0x7c000000, v21
	s_xor_b32 s40, exec_lo, s40
	s_cbranch_execz .LBB4_1383
; %bb.1380:                             ;   in Loop: Header=BB4_129 Depth=2
	v_bfe_u32 v21, v38, 26, 5
	s_mov_b32 s41, exec_lo
	s_delay_alu instid0(VALU_DEP_1)
	v_cmpx_eq_u32_e32 0, v21
; %bb.1381:                             ;   in Loop: Header=BB4_129 Depth=2
	v_clz_i32_u32_e32 v20, v20
	s_delay_alu instid0(VALU_DEP_1) | instskip(NEXT) | instid1(VALU_DEP_1)
	v_min_u32_e32 v24, 32, v20
	v_subrev_nc_u32_e32 v20, 29, v24
	s_delay_alu instid0(VALU_DEP_1) | instskip(SKIP_1) | instid1(VALU_DEP_2)
	v_lshlrev_b64_e32 v[20:21], v20, v[30:31]
	v_sub_nc_u32_e32 v21, 30, v24
	v_and_b32_e32 v20, 3, v20
; %bb.1382:                             ;   in Loop: Header=BB4_129 Depth=2
	s_or_b32 exec_lo, exec_lo, s41
	v_and_b32_e32 v24, 0x80000000, v38
	s_delay_alu instid0(VALU_DEP_1) | instskip(NEXT) | instid1(VALU_DEP_1)
	v_lshl_add_u32 v21, v21, 23, v24
	v_lshl_or_b32 v20, v20, 21, v21
	s_delay_alu instid0(VALU_DEP_1)
	v_add_nc_u32_e32 v100, 0x38000000, v20
                                        ; implicit-def: $vgpr20
.LBB4_1383:                             ;   in Loop: Header=BB4_129 Depth=2
	s_and_not1_saveexec_b32 s40, s40
; %bb.1384:                             ;   in Loop: Header=BB4_129 Depth=2
	v_cmp_lt_i32_e32 vcc_lo, -1, v38
	v_cndmask_b32_e32 v21, 0xff800000, v126, vcc_lo
	v_cmp_eq_u32_e32 vcc_lo, 0, v20
	s_delay_alu instid0(VALU_DEP_2)
	v_cndmask_b32_e32 v100, 0x7f800001, v21, vcc_lo
; %bb.1385:                             ;   in Loop: Header=BB4_129 Depth=2
	s_or_b32 exec_lo, exec_lo, s40
.LBB4_1386:                             ;   in Loop: Header=BB4_129 Depth=2
	s_delay_alu instid0(SALU_CYCLE_1)
	s_or_b32 exec_lo, exec_lo, s29
.LBB4_1387:                             ;   in Loop: Header=BB4_129 Depth=2
	s_delay_alu instid0(SALU_CYCLE_1) | instskip(NEXT) | instid1(SALU_CYCLE_1)
	s_or_b32 exec_lo, exec_lo, s10
	s_mov_b32 s10, exec_lo
	v_cmpx_lt_u64_e64 s[12:13], v[14:15]
	s_cbranch_execz .LBB4_1397
; %bb.1388:                             ;   in Loop: Header=BB4_129 Depth=2
	v_lshrrev_b32_e32 v30, 24, v15
	v_bfrev_b32_e32 v2, 1
	s_mov_b32 s29, exec_lo
	s_delay_alu instid0(VALU_DEP_2)
	v_cmpx_ne_u32_e32 0x80, v30
	s_cbranch_execz .LBB4_1396
; %bb.1389:                             ;   in Loop: Header=BB4_129 Depth=2
	v_and_b32_e32 v2, 0x7c000000, v15
	v_bfe_u32 v20, v15, 24, 2
	s_delay_alu instid0(VALU_DEP_2) | instskip(SKIP_1) | instid1(SALU_CYCLE_1)
	v_cmp_ne_u32_e32 vcc_lo, 0x7c000000, v2
                                        ; implicit-def: $vgpr2
	s_and_saveexec_b32 s40, vcc_lo
	s_xor_b32 s40, exec_lo, s40
	s_cbranch_execz .LBB4_1393
; %bb.1390:                             ;   in Loop: Header=BB4_129 Depth=2
	v_bfe_u32 v2, v15, 26, 5
	s_mov_b32 s41, exec_lo
	s_delay_alu instid0(VALU_DEP_1)
	v_cmpx_eq_u32_e32 0, v2
; %bb.1391:                             ;   in Loop: Header=BB4_129 Depth=2
	v_clz_i32_u32_e32 v2, v20
	s_delay_alu instid0(VALU_DEP_1) | instskip(NEXT) | instid1(VALU_DEP_1)
	v_min_u32_e32 v2, 32, v2
	v_subrev_nc_u32_e32 v20, 29, v2
	s_delay_alu instid0(VALU_DEP_1) | instskip(NEXT) | instid1(VALU_DEP_1)
	v_lshlrev_b64_e32 v[20:21], v20, v[30:31]
	v_dual_sub_nc_u32 v2, 30, v2 :: v_dual_bitop2_b32 v20, 3, v20 bitop3:0x40
; %bb.1392:                             ;   in Loop: Header=BB4_129 Depth=2
	s_or_b32 exec_lo, exec_lo, s41
	v_and_b32_e32 v21, 0x80000000, v15
	s_delay_alu instid0(VALU_DEP_1) | instskip(NEXT) | instid1(VALU_DEP_1)
	v_lshl_add_u32 v2, v2, 23, v21
	v_lshl_or_b32 v2, v20, 21, v2
                                        ; implicit-def: $vgpr20
	s_delay_alu instid0(VALU_DEP_1)
	v_add_nc_u32_e32 v2, 0x38000000, v2
.LBB4_1393:                             ;   in Loop: Header=BB4_129 Depth=2
	s_and_not1_saveexec_b32 s40, s40
; %bb.1394:                             ;   in Loop: Header=BB4_129 Depth=2
	v_cmp_lt_i64_e32 vcc_lo, -1, v[14:15]
	v_cndmask_b32_e32 v2, 0xff800000, v126, vcc_lo
	v_cmp_eq_u32_e32 vcc_lo, 0, v20
	s_delay_alu instid0(VALU_DEP_2)
	v_cndmask_b32_e32 v2, 0x7f800001, v2, vcc_lo
; %bb.1395:                             ;   in Loop: Header=BB4_129 Depth=2
	s_or_b32 exec_lo, exec_lo, s40
.LBB4_1396:                             ;   in Loop: Header=BB4_129 Depth=2
	s_delay_alu instid0(SALU_CYCLE_1)
	s_or_b32 exec_lo, exec_lo, s29
.LBB4_1397:                             ;   in Loop: Header=BB4_129 Depth=2
	s_delay_alu instid0(SALU_CYCLE_1) | instskip(NEXT) | instid1(VALU_DEP_1)
	s_or_b32 exec_lo, exec_lo, s10
	v_dual_add_f32 v14, v100, v2 :: v_dual_mov_b32 v21, v39
                                        ; implicit-def: $vgpr30
	s_mov_b32 s10, exec_lo
	s_delay_alu instid0(VALU_DEP_1) | instskip(SKIP_2) | instid1(VALU_DEP_3)
	v_and_b32_e32 v20, 0x7f800000, v14
	v_and_b32_e32 v38, 0x7fffff, v14
	v_lshrrev_b32_e32 v2, 24, v14
	v_cmpx_ne_u64_e32 0x7f800000, v[20:21]
	s_xor_b32 s29, exec_lo, s10
	s_cbranch_execz .LBB4_1411
; %bb.1398:                             ;   in Loop: Header=BB4_129 Depth=2
	v_and_b32_e32 v20, 0x7fffffff, v14
	v_mov_b32_e32 v21, v39
	v_and_b32_e32 v2, 0x80, v2
                                        ; implicit-def: $vgpr30
	s_mov_b32 s10, exec_lo
	s_delay_alu instid0(VALU_DEP_2)
	v_cmpx_gt_u64_e32 0x47600001, v[20:21]
	s_xor_b32 s40, exec_lo, s10
	s_cbranch_execz .LBB4_1408
; %bb.1399:                             ;   in Loop: Header=BB4_129 Depth=2
	v_mov_b32_e32 v30, 0
	s_mov_b32 s41, exec_lo
	v_cmpx_ne_u32_e32 0, v14
	s_cbranch_execz .LBB4_1407
; %bb.1400:                             ;   in Loop: Header=BB4_129 Depth=2
	v_bfe_u32 v20, v14, 23, 8
	v_or_b32_e32 v24, 0x800000, v38
	s_delay_alu instid0(VALU_DEP_2) | instskip(SKIP_1) | instid1(VALU_DEP_2)
	v_dual_mov_b32 v25, v39 :: v_dual_sub_nc_u32 v14, 0x71, v20
	v_cmp_gt_u32_e32 vcc_lo, 0x72, v20
	v_cndmask_b32_e32 v14, 0, v14, vcc_lo
	v_cmp_eq_u32_e32 vcc_lo, 0, v20
	s_delay_alu instid0(VALU_DEP_2) | instskip(NEXT) | instid1(VALU_DEP_1)
	v_cndmask_b32_e64 v21, v14, 0x70, vcc_lo
	v_dual_cndmask_b32 v24, v24, v38, vcc_lo :: v_dual_add_nc_u32 v14, 21, v21
	v_add_nc_u32_e32 v30, 20, v21
	s_delay_alu instid0(VALU_DEP_2) | instskip(NEXT) | instid1(VALU_DEP_2)
	v_lshlrev_b64_e64 v[14:15], v14, -1
	v_lshlrev_b64_e64 v[30:31], v30, 1
	s_delay_alu instid0(VALU_DEP_2) | instskip(NEXT) | instid1(VALU_DEP_3)
	v_bfi_b32 v101, v15, 0, 0
	v_bfi_b32 v100, v14, 0, v24
	v_lshrrev_b64 v[14:15], v21, v[24:25]
	s_delay_alu instid0(VALU_DEP_2) | instskip(NEXT) | instid1(VALU_DEP_2)
	v_cmp_eq_u64_e64 s10, v[100:101], v[30:31]
	v_mov_b64_e32 v[100:101], v[14:15]
	s_and_saveexec_b32 s42, s10
; %bb.1401:                             ;   in Loop: Header=BB4_129 Depth=2
	v_bfe_u32 v24, v14, 21, 1
	v_mov_b32_e32 v25, v39
	s_delay_alu instid0(VALU_DEP_1) | instskip(NEXT) | instid1(VALU_DEP_1)
	v_add_nc_u64_e32 v[24:25], v[14:15], v[24:25]
	v_add_nc_u64_e32 v[100:101], -1, v[24:25]
; %bb.1402:                             ;   in Loop: Header=BB4_129 Depth=2
	s_or_b32 exec_lo, exec_lo, s42
	v_add_nc_u32_e32 v15, 0xffffff81, v20
	v_lshrrev_b32_e32 v20, 23, v14
	s_mov_b32 s10, exec_lo
	s_delay_alu instid0(VALU_DEP_2) | instskip(NEXT) | instid1(VALU_DEP_1)
	v_cndmask_b32_e64 v15, v15, 0xffffff82, vcc_lo
	v_add3_u32 v21, v21, v15, v20
	v_and_b32_e32 v15, 0x1fffff, v100
                                        ; implicit-def: $vgpr20
	s_delay_alu instid0(VALU_DEP_1) | instskip(NEXT) | instid1(VALU_DEP_1)
	v_dual_add_nc_u32 v30, 14, v21 :: v_dual_add_nc_u32 v38, v15, v14
                                        ; implicit-def: $vgpr14_vgpr15
	v_cmpx_ne_u32_e32 0, v30
	s_xor_b32 s10, exec_lo, s10
; %bb.1403:                             ;   in Loop: Header=BB4_129 Depth=2
	s_delay_alu instid0(VALU_DEP_2) | instskip(SKIP_1) | instid1(VALU_DEP_1)
	v_cmp_lt_u64_e32 vcc_lo, 0xffffff, v[38:39]
	v_add_nc_u32_e32 v14, 15, v21
	v_cndmask_b32_e32 v20, v30, v14, vcc_lo
	v_cndmask_b32_e64 v14, 0, 1, vcc_lo
	s_delay_alu instid0(VALU_DEP_1)
	v_lshrrev_b64 v[14:15], v14, v[38:39]
; %bb.1404:                             ;   in Loop: Header=BB4_129 Depth=2
	s_and_not1_saveexec_b32 s10, s10
; %bb.1405:                             ;   in Loop: Header=BB4_129 Depth=2
	v_mov_b64_e32 v[14:15], v[38:39]
	v_bfe_u32 v20, v38, 23, 1
; %bb.1406:                             ;   in Loop: Header=BB4_129 Depth=2
	s_or_b32 exec_lo, exec_lo, s10
	s_delay_alu instid0(VALU_DEP_2) | instskip(NEXT) | instid1(VALU_DEP_2)
	v_lshrrev_b64 v[14:15], 21, v[14:15]
	v_cmp_gt_i32_e32 vcc_lo, 32, v20
	v_min_i32_e32 v21, 31, v20
	v_cmp_eq_u32_e64 s10, 0, v20
	s_delay_alu instid0(VALU_DEP_2) | instskip(SKIP_1) | instid1(VALU_DEP_2)
	v_dual_cndmask_b32 v15, 0, v15, vcc_lo :: v_dual_lshlrev_b32 v21, 2, v21
	v_cndmask_b32_e32 v14, 3, v14, vcc_lo
	v_and_b32_e32 v21, 0xfc, v21
	s_delay_alu instid0(VALU_DEP_2) | instskip(NEXT) | instid1(VALU_DEP_2)
	v_cmp_eq_u64_e32 vcc_lo, 0, v[14:15]
	v_and_or_b32 v14, v14, 3, v21
	s_and_b32 s10, s10, vcc_lo
	s_delay_alu instid0(VALU_DEP_1) | instid1(SALU_CYCLE_1)
	v_cndmask_b32_e64 v14, v14, 0, s10
	s_delay_alu instid0(VALU_DEP_1)
	v_or_b32_e32 v30, v14, v2
.LBB4_1407:                             ;   in Loop: Header=BB4_129 Depth=2
	s_or_b32 exec_lo, exec_lo, s41
                                        ; implicit-def: $vgpr2
.LBB4_1408:                             ;   in Loop: Header=BB4_129 Depth=2
	s_and_not1_saveexec_b32 s10, s40
; %bb.1409:                             ;   in Loop: Header=BB4_129 Depth=2
	v_or_b32_e32 v30, 0x7b, v2
; %bb.1410:                             ;   in Loop: Header=BB4_129 Depth=2
	s_or_b32 exec_lo, exec_lo, s10
                                        ; implicit-def: $vgpr14
                                        ; implicit-def: $vgpr2
.LBB4_1411:                             ;   in Loop: Header=BB4_129 Depth=2
	s_and_not1_saveexec_b32 s10, s29
	s_cbranch_execz .LBB4_1417
; %bb.1412:                             ;   in Loop: Header=BB4_129 Depth=2
	s_mov_b32 s29, exec_lo
                                        ; implicit-def: $vgpr30
	v_cmpx_ne_u64_e32 0, v[38:39]
	s_xor_b32 s29, exec_lo, s29
; %bb.1413:                             ;   in Loop: Header=BB4_129 Depth=2
	v_or_b32_e32 v30, 0x7f, v2
                                        ; implicit-def: $vgpr14
; %bb.1414:                             ;   in Loop: Header=BB4_129 Depth=2
	s_and_not1_saveexec_b32 s29, s29
; %bb.1415:                             ;   in Loop: Header=BB4_129 Depth=2
	v_cmp_lt_i32_e32 vcc_lo, -1, v14
	v_cndmask_b32_e32 v30, 0xfc, v122, vcc_lo
; %bb.1416:                             ;   in Loop: Header=BB4_129 Depth=2
	s_or_b32 exec_lo, exec_lo, s29
.LBB4_1417:                             ;   in Loop: Header=BB4_129 Depth=2
	s_delay_alu instid0(SALU_CYCLE_1) | instskip(SKIP_4) | instid1(VALU_DEP_2)
	s_or_b32 exec_lo, exec_lo, s10
	v_lshl_or_b32 v2, v63, 8, v58
	v_dual_lshlrev_b32 v15, 16, v73 :: v_dual_lshlrev_b32 v20, 24, v74
	v_mov_b32_e32 v14, 0
	s_mov_b32 s10, exec_lo
	v_or3_b32 v38, v15, v20, v2
	v_mov_b32_e32 v15, 0
	v_cmpx_ne_u32_e32 0, v58
	s_cbranch_execz .LBB4_1427
; %bb.1418:                             ;   in Loop: Header=BB4_129 Depth=2
	v_bfrev_b32_e32 v15, 1
	s_mov_b32 s29, exec_lo
	v_cmpx_ne_u32_e32 0x80, v58
	s_cbranch_execz .LBB4_1426
; %bb.1419:                             ;   in Loop: Header=BB4_129 Depth=2
	v_and_b32_e32 v15, 0x7c, v58
	v_and_b32_e32 v20, 3, v58
	s_delay_alu instid0(VALU_DEP_2) | instskip(SKIP_1) | instid1(SALU_CYCLE_1)
	v_cmp_ne_u32_e32 vcc_lo, 0x7c, v15
                                        ; implicit-def: $vgpr15
	s_and_saveexec_b32 s40, vcc_lo
	s_xor_b32 s40, exec_lo, s40
	s_cbranch_execz .LBB4_1423
; %bb.1420:                             ;   in Loop: Header=BB4_129 Depth=2
	v_bfe_u32 v15, v58, 2, 5
	s_mov_b32 s41, exec_lo
	s_delay_alu instid0(VALU_DEP_1)
	v_cmpx_eq_u32_e32 0, v15
; %bb.1421:                             ;   in Loop: Header=BB4_129 Depth=2
	v_clz_i32_u32_e32 v15, v20
	s_delay_alu instid0(VALU_DEP_1) | instskip(NEXT) | instid1(VALU_DEP_1)
	v_min_u32_e32 v15, 32, v15
	v_subrev_nc_u32_e32 v20, 29, v15
	s_delay_alu instid0(VALU_DEP_1) | instskip(NEXT) | instid1(VALU_DEP_1)
	v_lshlrev_b64_e32 v[20:21], v20, v[38:39]
	v_dual_sub_nc_u32 v15, 30, v15 :: v_dual_bitop2_b32 v20, 3, v20 bitop3:0x40
; %bb.1422:                             ;   in Loop: Header=BB4_129 Depth=2
	s_or_b32 exec_lo, exec_lo, s41
	v_lshlrev_b32_e32 v21, 24, v58
                                        ; implicit-def: $vgpr58
	s_delay_alu instid0(VALU_DEP_1) | instskip(NEXT) | instid1(VALU_DEP_1)
	v_and_b32_e32 v21, 0x80000000, v21
	v_lshl_add_u32 v15, v15, 23, v21
	s_delay_alu instid0(VALU_DEP_1) | instskip(NEXT) | instid1(VALU_DEP_1)
	v_lshl_or_b32 v15, v20, 21, v15
                                        ; implicit-def: $vgpr20
	v_add_nc_u32_e32 v15, 0x38000000, v15
.LBB4_1423:                             ;   in Loop: Header=BB4_129 Depth=2
	s_and_not1_saveexec_b32 s40, s40
; %bb.1424:                             ;   in Loop: Header=BB4_129 Depth=2
	v_and_b32_e32 v15, 0x80, v58
	s_delay_alu instid0(VALU_DEP_1) | instskip(SKIP_2) | instid1(VALU_DEP_2)
	v_cmp_eq_u32_e32 vcc_lo, 0, v15
	v_cndmask_b32_e32 v15, 0xff800000, v126, vcc_lo
	v_cmp_eq_u32_e32 vcc_lo, 0, v20
	v_cndmask_b32_e32 v15, 0x7f800001, v15, vcc_lo
; %bb.1425:                             ;   in Loop: Header=BB4_129 Depth=2
	s_or_b32 exec_lo, exec_lo, s40
.LBB4_1426:                             ;   in Loop: Header=BB4_129 Depth=2
	s_delay_alu instid0(SALU_CYCLE_1)
	s_or_b32 exec_lo, exec_lo, s29
.LBB4_1427:                             ;   in Loop: Header=BB4_129 Depth=2
	s_delay_alu instid0(SALU_CYCLE_1) | instskip(SKIP_2) | instid1(VALU_DEP_1)
	s_or_b32 exec_lo, exec_lo, s10
	v_and_b32_e32 v20, 0xff, v16
	s_mov_b32 s10, exec_lo
	v_cmpx_ne_u16_e32 0, v20
	s_cbranch_execz .LBB4_1437
; %bb.1428:                             ;   in Loop: Header=BB4_129 Depth=2
	v_bfe_i32 v21, v16, 0, 8
	v_bfrev_b32_e32 v14, 1
	s_mov_b32 s29, exec_lo
	s_delay_alu instid0(VALU_DEP_2)
	v_cmpx_ne_u16_e32 0xff80, v21
	s_cbranch_execz .LBB4_1436
; %bb.1429:                             ;   in Loop: Header=BB4_129 Depth=2
	v_and_b32_e32 v14, 0x7c, v16
	v_and_b32_e32 v20, 3, v16
	s_delay_alu instid0(VALU_DEP_2) | instskip(SKIP_1) | instid1(SALU_CYCLE_1)
	v_cmp_ne_u32_e32 vcc_lo, 0x7c, v14
                                        ; implicit-def: $vgpr14
	s_and_saveexec_b32 s40, vcc_lo
	s_xor_b32 s40, exec_lo, s40
	s_cbranch_execz .LBB4_1433
; %bb.1430:                             ;   in Loop: Header=BB4_129 Depth=2
	v_bfe_u32 v14, v16, 2, 5
	s_mov_b32 s41, exec_lo
	s_delay_alu instid0(VALU_DEP_1)
	v_cmpx_eq_u32_e32 0, v14
; %bb.1431:                             ;   in Loop: Header=BB4_129 Depth=2
	v_clz_i32_u32_e32 v14, v20
	s_delay_alu instid0(VALU_DEP_1) | instskip(NEXT) | instid1(VALU_DEP_1)
	v_min_u32_e32 v14, 32, v14
	v_subrev_nc_u32_e32 v20, 29, v14
	s_delay_alu instid0(VALU_DEP_1) | instskip(NEXT) | instid1(VALU_DEP_1)
	v_lshlrev_b64_e32 v[20:21], v20, v[16:17]
	v_dual_sub_nc_u32 v14, 30, v14 :: v_dual_bitop2_b32 v20, 3, v20 bitop3:0x40
; %bb.1432:                             ;   in Loop: Header=BB4_129 Depth=2
	s_or_b32 exec_lo, exec_lo, s41
	v_lshlrev_b32_e32 v21, 24, v16
	s_delay_alu instid0(VALU_DEP_1) | instskip(NEXT) | instid1(VALU_DEP_1)
	v_and_b32_e32 v21, 0x80000000, v21
	v_lshl_add_u32 v14, v14, 23, v21
                                        ; implicit-def: $vgpr21
	s_delay_alu instid0(VALU_DEP_1) | instskip(NEXT) | instid1(VALU_DEP_1)
	v_lshl_or_b32 v14, v20, 21, v14
                                        ; implicit-def: $vgpr20
	v_add_nc_u32_e32 v14, 0x38000000, v14
.LBB4_1433:                             ;   in Loop: Header=BB4_129 Depth=2
	s_and_not1_saveexec_b32 s40, s40
; %bb.1434:                             ;   in Loop: Header=BB4_129 Depth=2
	v_cmp_lt_i16_e32 vcc_lo, -1, v21
	v_cndmask_b32_e32 v14, 0xff800000, v126, vcc_lo
	v_cmp_eq_u32_e32 vcc_lo, 0, v20
	s_delay_alu instid0(VALU_DEP_2)
	v_cndmask_b32_e32 v14, 0x7f800001, v14, vcc_lo
; %bb.1435:                             ;   in Loop: Header=BB4_129 Depth=2
	s_or_b32 exec_lo, exec_lo, s40
.LBB4_1436:                             ;   in Loop: Header=BB4_129 Depth=2
	s_delay_alu instid0(SALU_CYCLE_1)
	s_or_b32 exec_lo, exec_lo, s29
.LBB4_1437:                             ;   in Loop: Header=BB4_129 Depth=2
	s_delay_alu instid0(SALU_CYCLE_1) | instskip(NEXT) | instid1(VALU_DEP_1)
	s_or_b32 exec_lo, exec_lo, s10
	v_add_f32_e32 v100, v15, v14
	v_dual_mov_b32 v21, v39 :: v_dual_mov_b32 v15, v39
                                        ; implicit-def: $vgpr103
	s_delay_alu instid0(VALU_DEP_2) | instskip(SKIP_1) | instid1(VALU_DEP_2)
	v_and_b32_e32 v20, 0x7f800000, v100
	v_and_b32_e32 v14, 0x7fffff, v100
	v_cmp_ne_u64_e32 vcc_lo, 0x7f800000, v[20:21]
	v_lshrrev_b32_e32 v20, 24, v100
	s_and_saveexec_b32 s10, vcc_lo
	s_delay_alu instid0(SALU_CYCLE_1)
	s_xor_b32 s29, exec_lo, s10
	s_cbranch_execz .LBB4_1451
; %bb.1438:                             ;   in Loop: Header=BB4_129 Depth=2
	v_and_b32_e32 v24, 0x7fffffff, v100
	v_mov_b32_e32 v25, v39
	v_and_b32_e32 v58, 0x80, v20
                                        ; implicit-def: $vgpr103
	s_mov_b32 s10, exec_lo
	s_delay_alu instid0(VALU_DEP_2)
	v_cmpx_gt_u64_e32 0x47600001, v[24:25]
	s_xor_b32 s40, exec_lo, s10
	s_cbranch_execz .LBB4_1448
; %bb.1439:                             ;   in Loop: Header=BB4_129 Depth=2
	v_mov_b32_e32 v103, 0
	s_mov_b32 s41, exec_lo
	v_cmpx_ne_u32_e32 0, v100
	s_cbranch_execz .LBB4_1447
; %bb.1440:                             ;   in Loop: Header=BB4_129 Depth=2
	v_bfe_u32 v20, v100, 23, 8
	v_or_b32_e32 v31, 0x800000, v14
	s_delay_alu instid0(VALU_DEP_2) | instskip(SKIP_1) | instid1(VALU_DEP_2)
	v_sub_nc_u32_e32 v21, 0x71, v20
	v_cmp_gt_u32_e32 vcc_lo, 0x72, v20
	v_cndmask_b32_e32 v21, 0, v21, vcc_lo
	v_cmp_eq_u32_e32 vcc_lo, 0, v20
	s_delay_alu instid0(VALU_DEP_2) | instskip(NEXT) | instid1(VALU_DEP_1)
	v_cndmask_b32_e64 v21, v21, 0x70, vcc_lo
	v_dual_cndmask_b32 v14, v31, v14, vcc_lo :: v_dual_add_nc_u32 v24, 21, v21
	v_add_nc_u32_e32 v100, 20, v21
	s_delay_alu instid0(VALU_DEP_2) | instskip(NEXT) | instid1(VALU_DEP_2)
	v_lshlrev_b64_e64 v[24:25], v24, -1
	v_lshlrev_b64_e64 v[100:101], v100, 1
	s_delay_alu instid0(VALU_DEP_2) | instskip(SKIP_1) | instid1(VALU_DEP_4)
	v_bfi_b32 v24, v24, 0, v14
	v_lshrrev_b64 v[14:15], v21, v[14:15]
	v_bfi_b32 v25, v25, 0, 0
	s_delay_alu instid0(VALU_DEP_1) | instskip(NEXT) | instid1(VALU_DEP_3)
	v_cmp_eq_u64_e64 s10, v[24:25], v[100:101]
	v_mov_b64_e32 v[100:101], v[14:15]
	s_and_saveexec_b32 s42, s10
; %bb.1441:                             ;   in Loop: Header=BB4_129 Depth=2
	v_bfe_u32 v24, v14, 21, 1
	v_mov_b32_e32 v25, v39
	s_delay_alu instid0(VALU_DEP_1) | instskip(NEXT) | instid1(VALU_DEP_1)
	v_add_nc_u64_e32 v[24:25], v[14:15], v[24:25]
	v_add_nc_u64_e32 v[100:101], -1, v[24:25]
; %bb.1442:                             ;   in Loop: Header=BB4_129 Depth=2
	s_or_b32 exec_lo, exec_lo, s42
	v_add_nc_u32_e32 v15, 0xffffff81, v20
	v_lshrrev_b32_e32 v20, 23, v14
	s_mov_b32 s10, exec_lo
	s_delay_alu instid0(VALU_DEP_2) | instskip(NEXT) | instid1(VALU_DEP_1)
	v_cndmask_b32_e64 v15, v15, 0xffffff82, vcc_lo
	v_add3_u32 v21, v21, v15, v20
	v_and_b32_e32 v15, 0x1fffff, v100
                                        ; implicit-def: $vgpr20
	s_delay_alu instid0(VALU_DEP_1) | instskip(SKIP_1) | instid1(VALU_DEP_2)
	v_dual_add_nc_u32 v100, 14, v21 :: v_dual_add_nc_u32 v14, v15, v14
	v_mov_b32_e32 v15, v39
	v_cmpx_ne_u32_e32 0, v100
	s_xor_b32 s10, exec_lo, s10
; %bb.1443:                             ;   in Loop: Header=BB4_129 Depth=2
	s_delay_alu instid0(VALU_DEP_2) | instskip(SKIP_2) | instid1(VALU_DEP_2)
	v_cmp_lt_u64_e32 vcc_lo, 0xffffff, v[14:15]
	v_add_nc_u32_e32 v20, 15, v21
	v_cndmask_b32_e64 v21, 0, 1, vcc_lo
	v_cndmask_b32_e32 v20, v100, v20, vcc_lo
	s_delay_alu instid0(VALU_DEP_2)
	v_lshrrev_b64 v[14:15], v21, v[14:15]
; %bb.1444:                             ;   in Loop: Header=BB4_129 Depth=2
	s_and_not1_saveexec_b32 s10, s10
; %bb.1445:                             ;   in Loop: Header=BB4_129 Depth=2
	s_delay_alu instid0(VALU_DEP_1)
	v_bfe_u32 v20, v14, 23, 1
; %bb.1446:                             ;   in Loop: Header=BB4_129 Depth=2
	s_or_b32 exec_lo, exec_lo, s10
	s_delay_alu instid0(VALU_DEP_2) | instskip(NEXT) | instid1(VALU_DEP_2)
	v_lshrrev_b64 v[14:15], 21, v[14:15]
	v_cmp_gt_i32_e32 vcc_lo, 32, v20
	v_min_i32_e32 v21, 31, v20
	v_cmp_eq_u32_e64 s10, 0, v20
	s_delay_alu instid0(VALU_DEP_2) | instskip(SKIP_1) | instid1(VALU_DEP_2)
	v_dual_cndmask_b32 v15, 0, v15, vcc_lo :: v_dual_lshlrev_b32 v21, 2, v21
	v_cndmask_b32_e32 v14, 3, v14, vcc_lo
	v_and_b32_e32 v21, 0xfc, v21
	s_delay_alu instid0(VALU_DEP_2) | instskip(NEXT) | instid1(VALU_DEP_2)
	v_cmp_eq_u64_e32 vcc_lo, 0, v[14:15]
	v_and_or_b32 v14, v14, 3, v21
	s_and_b32 s10, s10, vcc_lo
	s_delay_alu instid0(VALU_DEP_1) | instid1(SALU_CYCLE_1)
	v_cndmask_b32_e64 v14, v14, 0, s10
	s_delay_alu instid0(VALU_DEP_1)
	v_or_b32_e32 v103, v14, v58
.LBB4_1447:                             ;   in Loop: Header=BB4_129 Depth=2
	s_or_b32 exec_lo, exec_lo, s41
                                        ; implicit-def: $vgpr58
.LBB4_1448:                             ;   in Loop: Header=BB4_129 Depth=2
	s_and_not1_saveexec_b32 s10, s40
; %bb.1449:                             ;   in Loop: Header=BB4_129 Depth=2
	v_or_b32_e32 v103, 0x7b, v58
; %bb.1450:                             ;   in Loop: Header=BB4_129 Depth=2
	s_or_b32 exec_lo, exec_lo, s10
                                        ; implicit-def: $vgpr100
                                        ; implicit-def: $vgpr14_vgpr15
                                        ; implicit-def: $vgpr20
.LBB4_1451:                             ;   in Loop: Header=BB4_129 Depth=2
	s_and_not1_saveexec_b32 s10, s29
	s_cbranch_execz .LBB4_1457
; %bb.1452:                             ;   in Loop: Header=BB4_129 Depth=2
	s_mov_b32 s29, exec_lo
                                        ; implicit-def: $vgpr103
	v_cmpx_ne_u64_e32 0, v[14:15]
	s_xor_b32 s29, exec_lo, s29
; %bb.1453:                             ;   in Loop: Header=BB4_129 Depth=2
	v_or_b32_e32 v103, 0x7f, v20
                                        ; implicit-def: $vgpr100
; %bb.1454:                             ;   in Loop: Header=BB4_129 Depth=2
	s_and_not1_saveexec_b32 s29, s29
; %bb.1455:                             ;   in Loop: Header=BB4_129 Depth=2
	v_cmp_lt_i32_e32 vcc_lo, -1, v100
	v_cndmask_b32_e32 v103, 0xfc, v122, vcc_lo
; %bb.1456:                             ;   in Loop: Header=BB4_129 Depth=2
	s_or_b32 exec_lo, exec_lo, s29
.LBB4_1457:                             ;   in Loop: Header=BB4_129 Depth=2
	s_delay_alu instid0(SALU_CYCLE_1) | instskip(SKIP_3) | instid1(VALU_DEP_2)
	s_or_b32 exec_lo, exec_lo, s10
	v_lshrrev_b16 v14, 8, v2
	v_dual_mov_b32 v100, 0 :: v_dual_mov_b32 v101, 0
	s_mov_b32 s10, exec_lo
	v_cmpx_ne_u16_e32 0, v14
	s_cbranch_execz .LBB4_1467
; %bb.1458:                             ;   in Loop: Header=BB4_129 Depth=2
	v_bfrev_b32_e32 v101, 1
	s_mov_b32 s29, exec_lo
	v_cmpx_ne_u16_e32 0x80, v14
	s_cbranch_execz .LBB4_1466
; %bb.1459:                             ;   in Loop: Header=BB4_129 Depth=2
	v_and_b32_e32 v20, 0xffff, v14
	s_mov_b32 s40, exec_lo
                                        ; implicit-def: $vgpr101
	s_delay_alu instid0(VALU_DEP_1) | instskip(SKIP_1) | instid1(VALU_DEP_2)
	v_and_b32_e32 v21, 0x7c, v20
	v_and_b32_e32 v15, 3, v20
	v_cmpx_ne_u32_e32 0x7c, v21
	s_xor_b32 s40, exec_lo, s40
	s_cbranch_execz .LBB4_1463
; %bb.1460:                             ;   in Loop: Header=BB4_129 Depth=2
	v_bfe_u32 v20, v20, 2, 5
	s_mov_b32 s41, exec_lo
	s_delay_alu instid0(VALU_DEP_1)
	v_cmpx_eq_u32_e32 0, v20
	s_cbranch_execz .LBB4_1462
; %bb.1461:                             ;   in Loop: Header=BB4_129 Depth=2
	v_clz_i32_u32_e32 v15, v15
	s_delay_alu instid0(VALU_DEP_1) | instskip(SKIP_1) | instid1(VALU_DEP_2)
	v_min_u32_e32 v20, 32, v15
	v_mov_b32_e32 v15, v39
	v_subrev_nc_u32_e32 v21, 29, v20
	v_sub_nc_u32_e32 v20, 30, v20
	s_delay_alu instid0(VALU_DEP_2) | instskip(NEXT) | instid1(VALU_DEP_1)
	v_lshlrev_b64_e32 v[14:15], v21, v[14:15]
	v_and_b32_e32 v15, 3, v14
.LBB4_1462:                             ;   in Loop: Header=BB4_129 Depth=2
	s_or_b32 exec_lo, exec_lo, s41
	v_lshlrev_b32_e32 v2, 16, v2
	s_delay_alu instid0(VALU_DEP_1) | instskip(NEXT) | instid1(VALU_DEP_1)
	v_and_b32_e32 v2, 0x80000000, v2
	v_lshl_add_u32 v2, v20, 23, v2
	s_delay_alu instid0(VALU_DEP_1) | instskip(NEXT) | instid1(VALU_DEP_1)
	v_lshl_or_b32 v2, v15, 21, v2
                                        ; implicit-def: $vgpr15
	v_add_nc_u32_e32 v101, 0x38000000, v2
                                        ; implicit-def: $vgpr2
.LBB4_1463:                             ;   in Loop: Header=BB4_129 Depth=2
	s_and_not1_saveexec_b32 s40, s40
; %bb.1464:                             ;   in Loop: Header=BB4_129 Depth=2
	v_cmp_lt_i16_e32 vcc_lo, -1, v2
	v_cndmask_b32_e32 v2, 0xff800000, v126, vcc_lo
	v_cmp_eq_u32_e32 vcc_lo, 0, v15
	s_delay_alu instid0(VALU_DEP_2)
	v_cndmask_b32_e32 v101, 0x7f800001, v2, vcc_lo
; %bb.1465:                             ;   in Loop: Header=BB4_129 Depth=2
	s_or_b32 exec_lo, exec_lo, s40
.LBB4_1466:                             ;   in Loop: Header=BB4_129 Depth=2
	s_delay_alu instid0(SALU_CYCLE_1)
	s_or_b32 exec_lo, exec_lo, s29
.LBB4_1467:                             ;   in Loop: Header=BB4_129 Depth=2
	s_delay_alu instid0(SALU_CYCLE_1) | instskip(SKIP_2) | instid1(VALU_DEP_1)
	s_or_b32 exec_lo, exec_lo, s10
	v_lshrrev_b16 v14, 8, v16
	s_mov_b32 s10, exec_lo
	v_cmpx_ne_u16_e32 0, v14
	s_cbranch_execz .LBB4_1477
; %bb.1468:                             ;   in Loop: Header=BB4_129 Depth=2
	v_bfrev_b32_e32 v100, 1
	s_mov_b32 s29, exec_lo
	v_cmpx_ne_u16_e32 0x80, v14
	s_cbranch_execz .LBB4_1476
; %bb.1469:                             ;   in Loop: Header=BB4_129 Depth=2
	v_and_b32_e32 v15, 0xffff, v14
	s_mov_b32 s40, exec_lo
                                        ; implicit-def: $vgpr100
	s_delay_alu instid0(VALU_DEP_1) | instskip(SKIP_1) | instid1(VALU_DEP_2)
	v_and_b32_e32 v20, 0x7c, v15
	v_and_b32_e32 v2, 3, v15
	v_cmpx_ne_u32_e32 0x7c, v20
	s_xor_b32 s40, exec_lo, s40
	s_cbranch_execz .LBB4_1473
; %bb.1470:                             ;   in Loop: Header=BB4_129 Depth=2
	v_bfe_u32 v15, v15, 2, 5
	s_mov_b32 s41, exec_lo
	s_delay_alu instid0(VALU_DEP_1)
	v_cmpx_eq_u32_e32 0, v15
	s_cbranch_execz .LBB4_1472
; %bb.1471:                             ;   in Loop: Header=BB4_129 Depth=2
	v_clz_i32_u32_e32 v2, v2
	v_mov_b32_e32 v15, v39
	s_delay_alu instid0(VALU_DEP_2) | instskip(NEXT) | instid1(VALU_DEP_1)
	v_min_u32_e32 v2, 32, v2
	v_subrev_nc_u32_e32 v20, 29, v2
	s_delay_alu instid0(VALU_DEP_1) | instskip(SKIP_1) | instid1(VALU_DEP_2)
	v_lshlrev_b64_e32 v[14:15], v20, v[14:15]
	v_sub_nc_u32_e32 v15, 30, v2
	v_and_b32_e32 v2, 3, v14
.LBB4_1472:                             ;   in Loop: Header=BB4_129 Depth=2
	s_or_b32 exec_lo, exec_lo, s41
	v_lshlrev_b32_e32 v14, 16, v16
	s_delay_alu instid0(VALU_DEP_1) | instskip(NEXT) | instid1(VALU_DEP_1)
	v_and_b32_e32 v14, 0x80000000, v14
	v_lshl_add_u32 v14, v15, 23, v14
	s_delay_alu instid0(VALU_DEP_1) | instskip(NEXT) | instid1(VALU_DEP_1)
	v_lshl_or_b32 v2, v2, 21, v14
	v_add_nc_u32_e32 v100, 0x38000000, v2
                                        ; implicit-def: $vgpr2
.LBB4_1473:                             ;   in Loop: Header=BB4_129 Depth=2
	s_and_not1_saveexec_b32 s40, s40
; %bb.1474:                             ;   in Loop: Header=BB4_129 Depth=2
	v_cmp_lt_i16_e32 vcc_lo, -1, v16
	v_cndmask_b32_e32 v14, 0xff800000, v126, vcc_lo
	v_cmp_eq_u32_e32 vcc_lo, 0, v2
	s_delay_alu instid0(VALU_DEP_2)
	v_cndmask_b32_e32 v100, 0x7f800001, v14, vcc_lo
; %bb.1475:                             ;   in Loop: Header=BB4_129 Depth=2
	s_or_b32 exec_lo, exec_lo, s40
.LBB4_1476:                             ;   in Loop: Header=BB4_129 Depth=2
	s_delay_alu instid0(SALU_CYCLE_1)
	s_or_b32 exec_lo, exec_lo, s29
.LBB4_1477:                             ;   in Loop: Header=BB4_129 Depth=2
	s_delay_alu instid0(SALU_CYCLE_1) | instskip(NEXT) | instid1(VALU_DEP_1)
	s_or_b32 exec_lo, exec_lo, s10
	v_dual_add_f32 v100, v101, v100 :: v_dual_mov_b32 v21, v39
	v_mov_b32_e32 v15, v39
                                        ; implicit-def: $vgpr58
	s_mov_b32 s10, exec_lo
	s_delay_alu instid0(VALU_DEP_2) | instskip(SKIP_2) | instid1(VALU_DEP_3)
	v_and_b32_e32 v20, 0x7f800000, v100
	v_and_b32_e32 v14, 0x7fffff, v100
	v_lshrrev_b32_e32 v2, 24, v100
	v_cmpx_ne_u64_e32 0x7f800000, v[20:21]
	s_xor_b32 s29, exec_lo, s10
	s_cbranch_execz .LBB4_1491
; %bb.1478:                             ;   in Loop: Header=BB4_129 Depth=2
	v_and_b32_e32 v20, 0x7fffffff, v100
	v_mov_b32_e32 v21, v39
	v_and_b32_e32 v2, 0x80, v2
                                        ; implicit-def: $vgpr58
	s_mov_b32 s10, exec_lo
	s_delay_alu instid0(VALU_DEP_2)
	v_cmpx_gt_u64_e32 0x47600001, v[20:21]
	s_xor_b32 s40, exec_lo, s10
	s_cbranch_execz .LBB4_1488
; %bb.1479:                             ;   in Loop: Header=BB4_129 Depth=2
	v_mov_b32_e32 v58, 0
	s_mov_b32 s41, exec_lo
	v_cmpx_ne_u32_e32 0, v100
	s_cbranch_execz .LBB4_1487
; %bb.1480:                             ;   in Loop: Header=BB4_129 Depth=2
	v_bfe_u32 v20, v100, 23, 8
	v_or_b32_e32 v31, 0x800000, v14
	s_delay_alu instid0(VALU_DEP_2) | instskip(SKIP_1) | instid1(VALU_DEP_2)
	v_sub_nc_u32_e32 v21, 0x71, v20
	v_cmp_gt_u32_e32 vcc_lo, 0x72, v20
	v_cndmask_b32_e32 v21, 0, v21, vcc_lo
	v_cmp_eq_u32_e32 vcc_lo, 0, v20
	s_delay_alu instid0(VALU_DEP_2) | instskip(NEXT) | instid1(VALU_DEP_1)
	v_cndmask_b32_e64 v21, v21, 0x70, vcc_lo
	v_dual_cndmask_b32 v14, v31, v14, vcc_lo :: v_dual_add_nc_u32 v24, 21, v21
	v_add_nc_u32_e32 v100, 20, v21
	s_delay_alu instid0(VALU_DEP_2) | instskip(NEXT) | instid1(VALU_DEP_2)
	v_lshlrev_b64_e64 v[24:25], v24, -1
	v_lshlrev_b64_e64 v[100:101], v100, 1
	s_delay_alu instid0(VALU_DEP_2) | instskip(SKIP_1) | instid1(VALU_DEP_4)
	v_bfi_b32 v24, v24, 0, v14
	v_lshrrev_b64 v[14:15], v21, v[14:15]
	v_bfi_b32 v25, v25, 0, 0
	s_delay_alu instid0(VALU_DEP_1) | instskip(NEXT) | instid1(VALU_DEP_3)
	v_cmp_eq_u64_e64 s10, v[24:25], v[100:101]
	v_mov_b64_e32 v[100:101], v[14:15]
	s_and_saveexec_b32 s42, s10
; %bb.1481:                             ;   in Loop: Header=BB4_129 Depth=2
	v_bfe_u32 v24, v14, 21, 1
	v_mov_b32_e32 v25, v39
	s_delay_alu instid0(VALU_DEP_1) | instskip(NEXT) | instid1(VALU_DEP_1)
	v_add_nc_u64_e32 v[24:25], v[14:15], v[24:25]
	v_add_nc_u64_e32 v[100:101], -1, v[24:25]
; %bb.1482:                             ;   in Loop: Header=BB4_129 Depth=2
	s_or_b32 exec_lo, exec_lo, s42
	v_add_nc_u32_e32 v15, 0xffffff81, v20
	v_lshrrev_b32_e32 v20, 23, v14
	s_mov_b32 s10, exec_lo
	s_delay_alu instid0(VALU_DEP_2) | instskip(NEXT) | instid1(VALU_DEP_1)
	v_cndmask_b32_e64 v15, v15, 0xffffff82, vcc_lo
	v_add3_u32 v21, v21, v15, v20
	v_and_b32_e32 v15, 0x1fffff, v100
                                        ; implicit-def: $vgpr20
	s_delay_alu instid0(VALU_DEP_1) | instskip(SKIP_1) | instid1(VALU_DEP_2)
	v_dual_add_nc_u32 v100, 14, v21 :: v_dual_add_nc_u32 v14, v15, v14
	v_mov_b32_e32 v15, v39
	v_cmpx_ne_u32_e32 0, v100
	s_xor_b32 s10, exec_lo, s10
; %bb.1483:                             ;   in Loop: Header=BB4_129 Depth=2
	s_delay_alu instid0(VALU_DEP_2) | instskip(SKIP_2) | instid1(VALU_DEP_2)
	v_cmp_lt_u64_e32 vcc_lo, 0xffffff, v[14:15]
	v_add_nc_u32_e32 v20, 15, v21
	v_cndmask_b32_e64 v21, 0, 1, vcc_lo
	v_cndmask_b32_e32 v20, v100, v20, vcc_lo
	s_delay_alu instid0(VALU_DEP_2)
	v_lshrrev_b64 v[14:15], v21, v[14:15]
; %bb.1484:                             ;   in Loop: Header=BB4_129 Depth=2
	s_and_not1_saveexec_b32 s10, s10
; %bb.1485:                             ;   in Loop: Header=BB4_129 Depth=2
	s_delay_alu instid0(VALU_DEP_1)
	v_bfe_u32 v20, v14, 23, 1
; %bb.1486:                             ;   in Loop: Header=BB4_129 Depth=2
	s_or_b32 exec_lo, exec_lo, s10
	s_delay_alu instid0(VALU_DEP_2) | instskip(NEXT) | instid1(VALU_DEP_2)
	v_lshrrev_b64 v[14:15], 21, v[14:15]
	v_cmp_gt_i32_e32 vcc_lo, 32, v20
	v_min_i32_e32 v21, 31, v20
	v_cmp_eq_u32_e64 s10, 0, v20
	s_delay_alu instid0(VALU_DEP_2) | instskip(SKIP_1) | instid1(VALU_DEP_2)
	v_dual_cndmask_b32 v15, 0, v15, vcc_lo :: v_dual_lshlrev_b32 v21, 2, v21
	v_cndmask_b32_e32 v14, 3, v14, vcc_lo
	v_and_b32_e32 v21, 0xfc, v21
	s_delay_alu instid0(VALU_DEP_2) | instskip(NEXT) | instid1(VALU_DEP_2)
	v_cmp_eq_u64_e32 vcc_lo, 0, v[14:15]
	v_and_or_b32 v14, v14, 3, v21
	s_and_b32 s10, s10, vcc_lo
	s_delay_alu instid0(VALU_DEP_1) | instid1(SALU_CYCLE_1)
	v_cndmask_b32_e64 v14, v14, 0, s10
	s_delay_alu instid0(VALU_DEP_1)
	v_or_b32_e32 v58, v14, v2
.LBB4_1487:                             ;   in Loop: Header=BB4_129 Depth=2
	s_or_b32 exec_lo, exec_lo, s41
                                        ; implicit-def: $vgpr2
.LBB4_1488:                             ;   in Loop: Header=BB4_129 Depth=2
	s_and_not1_saveexec_b32 s10, s40
; %bb.1489:                             ;   in Loop: Header=BB4_129 Depth=2
	v_or_b32_e32 v58, 0x7b, v2
; %bb.1490:                             ;   in Loop: Header=BB4_129 Depth=2
	s_or_b32 exec_lo, exec_lo, s10
                                        ; implicit-def: $vgpr100
                                        ; implicit-def: $vgpr14_vgpr15
                                        ; implicit-def: $vgpr2
.LBB4_1491:                             ;   in Loop: Header=BB4_129 Depth=2
	s_and_not1_saveexec_b32 s10, s29
	s_cbranch_execz .LBB4_1497
; %bb.1492:                             ;   in Loop: Header=BB4_129 Depth=2
	s_mov_b32 s29, exec_lo
                                        ; implicit-def: $vgpr58
	v_cmpx_ne_u64_e32 0, v[14:15]
	s_xor_b32 s29, exec_lo, s29
; %bb.1493:                             ;   in Loop: Header=BB4_129 Depth=2
	v_or_b32_e32 v58, 0x7f, v2
                                        ; implicit-def: $vgpr100
; %bb.1494:                             ;   in Loop: Header=BB4_129 Depth=2
	s_and_not1_saveexec_b32 s29, s29
; %bb.1495:                             ;   in Loop: Header=BB4_129 Depth=2
	v_cmp_lt_i32_e32 vcc_lo, -1, v100
	v_cndmask_b32_e32 v58, 0xfc, v122, vcc_lo
; %bb.1496:                             ;   in Loop: Header=BB4_129 Depth=2
	s_or_b32 exec_lo, exec_lo, s29
.LBB4_1497:                             ;   in Loop: Header=BB4_129 Depth=2
	s_delay_alu instid0(SALU_CYCLE_1) | instskip(SKIP_3) | instid1(VALU_DEP_2)
	s_or_b32 exec_lo, exec_lo, s10
	v_dual_lshrrev_b32 v14, 16, v38 :: v_dual_mov_b32 v2, 0
	v_mov_b32_e32 v15, 0
	s_mov_b32 s10, exec_lo
	v_and_b32_e32 v20, 0xff, v14
	s_delay_alu instid0(VALU_DEP_1)
	v_cmpx_ne_u16_e32 0, v20
	s_cbranch_execz .LBB4_1507
; %bb.1498:                             ;   in Loop: Header=BB4_129 Depth=2
	v_bfrev_b32_e32 v15, 1
	s_mov_b32 s29, exec_lo
	v_cmpx_ne_u16_e32 0x80, v20
	s_cbranch_execz .LBB4_1506
; %bb.1499:                             ;   in Loop: Header=BB4_129 Depth=2
	v_and_b32_e32 v15, 0x7c0000, v38
	v_bfe_u32 v20, v38, 16, 2
	s_delay_alu instid0(VALU_DEP_2) | instskip(SKIP_1) | instid1(SALU_CYCLE_1)
	v_cmp_ne_u32_e32 vcc_lo, 0x7c0000, v15
                                        ; implicit-def: $vgpr15
	s_and_saveexec_b32 s40, vcc_lo
	s_xor_b32 s40, exec_lo, s40
	s_cbranch_execz .LBB4_1503
; %bb.1500:                             ;   in Loop: Header=BB4_129 Depth=2
	v_bfe_u32 v15, v38, 18, 5
	s_mov_b32 s41, exec_lo
	s_delay_alu instid0(VALU_DEP_1)
	v_cmpx_eq_u32_e32 0, v15
; %bb.1501:                             ;   in Loop: Header=BB4_129 Depth=2
	v_clz_i32_u32_e32 v15, v20
	s_delay_alu instid0(VALU_DEP_1) | instskip(NEXT) | instid1(VALU_DEP_1)
	v_min_u32_e32 v15, 32, v15
	v_subrev_nc_u32_e32 v20, 29, v15
	s_delay_alu instid0(VALU_DEP_1) | instskip(NEXT) | instid1(VALU_DEP_1)
	v_lshlrev_b64_e32 v[20:21], v20, v[14:15]
	v_dual_sub_nc_u32 v15, 30, v15 :: v_dual_bitop2_b32 v20, 3, v20 bitop3:0x40
; %bb.1502:                             ;   in Loop: Header=BB4_129 Depth=2
	s_or_b32 exec_lo, exec_lo, s41
	v_lshlrev_b32_e32 v14, 24, v14
	s_delay_alu instid0(VALU_DEP_1) | instskip(NEXT) | instid1(VALU_DEP_1)
	v_and_b32_e32 v14, 0x80000000, v14
	v_lshl_add_u32 v14, v15, 23, v14
	s_delay_alu instid0(VALU_DEP_1) | instskip(NEXT) | instid1(VALU_DEP_1)
	v_lshl_or_b32 v14, v20, 21, v14
                                        ; implicit-def: $vgpr20
	v_add_nc_u32_e32 v15, 0x38000000, v14
                                        ; implicit-def: $vgpr14
.LBB4_1503:                             ;   in Loop: Header=BB4_129 Depth=2
	s_and_not1_saveexec_b32 s40, s40
; %bb.1504:                             ;   in Loop: Header=BB4_129 Depth=2
	v_bfe_i32 v14, v14, 0, 8
	s_delay_alu instid0(VALU_DEP_1) | instskip(SKIP_2) | instid1(VALU_DEP_2)
	v_cmp_lt_i16_e32 vcc_lo, -1, v14
	v_cndmask_b32_e32 v14, 0xff800000, v126, vcc_lo
	v_cmp_eq_u32_e32 vcc_lo, 0, v20
	v_cndmask_b32_e32 v15, 0x7f800001, v14, vcc_lo
; %bb.1505:                             ;   in Loop: Header=BB4_129 Depth=2
	s_or_b32 exec_lo, exec_lo, s40
.LBB4_1506:                             ;   in Loop: Header=BB4_129 Depth=2
	s_delay_alu instid0(SALU_CYCLE_1)
	s_or_b32 exec_lo, exec_lo, s29
.LBB4_1507:                             ;   in Loop: Header=BB4_129 Depth=2
	s_delay_alu instid0(SALU_CYCLE_1) | instskip(SKIP_2) | instid1(VALU_DEP_1)
	s_or_b32 exec_lo, exec_lo, s10
	v_lshrrev_b32_e32 v14, 16, v16
	s_mov_b32 s10, exec_lo
	v_and_b32_e32 v20, 0xff, v14
	s_delay_alu instid0(VALU_DEP_1)
	v_cmpx_ne_u16_e32 0, v20
	s_cbranch_execz .LBB4_1517
; %bb.1508:                             ;   in Loop: Header=BB4_129 Depth=2
	v_bfrev_b32_e32 v2, 1
	s_mov_b32 s29, exec_lo
	v_cmpx_ne_u16_e32 0x80, v20
	s_cbranch_execz .LBB4_1516
; %bb.1509:                             ;   in Loop: Header=BB4_129 Depth=2
	v_and_b32_e32 v2, 0x7c0000, v16
	v_bfe_u32 v20, v16, 16, 2
	s_delay_alu instid0(VALU_DEP_2) | instskip(SKIP_1) | instid1(SALU_CYCLE_1)
	v_cmp_ne_u32_e32 vcc_lo, 0x7c0000, v2
                                        ; implicit-def: $vgpr2
	s_and_saveexec_b32 s40, vcc_lo
	s_xor_b32 s40, exec_lo, s40
	s_cbranch_execz .LBB4_1513
; %bb.1510:                             ;   in Loop: Header=BB4_129 Depth=2
	v_bfe_u32 v2, v16, 18, 5
	s_mov_b32 s41, exec_lo
	s_delay_alu instid0(VALU_DEP_1)
	v_cmpx_eq_u32_e32 0, v2
; %bb.1511:                             ;   in Loop: Header=BB4_129 Depth=2
	v_clz_i32_u32_e32 v2, v20
	s_delay_alu instid0(VALU_DEP_1) | instskip(NEXT) | instid1(VALU_DEP_1)
	v_min_u32_e32 v2, 32, v2
	v_subrev_nc_u32_e32 v20, 29, v2
	s_delay_alu instid0(VALU_DEP_1) | instskip(NEXT) | instid1(VALU_DEP_1)
	v_lshlrev_b64_e32 v[20:21], v20, v[14:15]
	v_dual_sub_nc_u32 v2, 30, v2 :: v_dual_bitop2_b32 v20, 3, v20 bitop3:0x40
; %bb.1512:                             ;   in Loop: Header=BB4_129 Depth=2
	s_or_b32 exec_lo, exec_lo, s41
	v_lshlrev_b32_e32 v14, 24, v14
	s_delay_alu instid0(VALU_DEP_1) | instskip(NEXT) | instid1(VALU_DEP_1)
	v_and_b32_e32 v14, 0x80000000, v14
	v_lshl_add_u32 v2, v2, 23, v14
                                        ; implicit-def: $vgpr14
	s_delay_alu instid0(VALU_DEP_1) | instskip(NEXT) | instid1(VALU_DEP_1)
	v_lshl_or_b32 v2, v20, 21, v2
                                        ; implicit-def: $vgpr20
	v_add_nc_u32_e32 v2, 0x38000000, v2
.LBB4_1513:                             ;   in Loop: Header=BB4_129 Depth=2
	s_and_not1_saveexec_b32 s40, s40
; %bb.1514:                             ;   in Loop: Header=BB4_129 Depth=2
	v_bfe_i32 v2, v14, 0, 8
	s_delay_alu instid0(VALU_DEP_1) | instskip(SKIP_2) | instid1(VALU_DEP_2)
	v_cmp_lt_i16_e32 vcc_lo, -1, v2
	v_cndmask_b32_e32 v2, 0xff800000, v126, vcc_lo
	v_cmp_eq_u32_e32 vcc_lo, 0, v20
	v_cndmask_b32_e32 v2, 0x7f800001, v2, vcc_lo
; %bb.1515:                             ;   in Loop: Header=BB4_129 Depth=2
	s_or_b32 exec_lo, exec_lo, s40
.LBB4_1516:                             ;   in Loop: Header=BB4_129 Depth=2
	s_delay_alu instid0(SALU_CYCLE_1)
	s_or_b32 exec_lo, exec_lo, s29
.LBB4_1517:                             ;   in Loop: Header=BB4_129 Depth=2
	s_delay_alu instid0(SALU_CYCLE_1) | instskip(NEXT) | instid1(VALU_DEP_1)
	s_or_b32 exec_lo, exec_lo, s10
	v_add_f32_e32 v100, v15, v2
	v_dual_mov_b32 v21, v39 :: v_dual_mov_b32 v15, v39
                                        ; implicit-def: $vgpr63
	s_mov_b32 s10, exec_lo
	s_delay_alu instid0(VALU_DEP_2) | instskip(SKIP_2) | instid1(VALU_DEP_3)
	v_and_b32_e32 v20, 0x7f800000, v100
	v_and_b32_e32 v14, 0x7fffff, v100
	v_lshrrev_b32_e32 v2, 24, v100
	v_cmpx_ne_u64_e32 0x7f800000, v[20:21]
	s_xor_b32 s29, exec_lo, s10
	s_cbranch_execz .LBB4_1531
; %bb.1518:                             ;   in Loop: Header=BB4_129 Depth=2
	v_and_b32_e32 v20, 0x7fffffff, v100
	v_mov_b32_e32 v21, v39
	v_and_b32_e32 v2, 0x80, v2
                                        ; implicit-def: $vgpr63
	s_mov_b32 s10, exec_lo
	s_delay_alu instid0(VALU_DEP_2)
	v_cmpx_gt_u64_e32 0x47600001, v[20:21]
	s_xor_b32 s40, exec_lo, s10
	s_cbranch_execz .LBB4_1528
; %bb.1519:                             ;   in Loop: Header=BB4_129 Depth=2
	v_mov_b32_e32 v63, 0
	s_mov_b32 s41, exec_lo
	v_cmpx_ne_u32_e32 0, v100
	s_cbranch_execz .LBB4_1527
; %bb.1520:                             ;   in Loop: Header=BB4_129 Depth=2
	v_bfe_u32 v20, v100, 23, 8
	v_or_b32_e32 v31, 0x800000, v14
	s_delay_alu instid0(VALU_DEP_2) | instskip(SKIP_1) | instid1(VALU_DEP_2)
	v_sub_nc_u32_e32 v21, 0x71, v20
	v_cmp_gt_u32_e32 vcc_lo, 0x72, v20
	v_cndmask_b32_e32 v21, 0, v21, vcc_lo
	v_cmp_eq_u32_e32 vcc_lo, 0, v20
	s_delay_alu instid0(VALU_DEP_2) | instskip(NEXT) | instid1(VALU_DEP_1)
	v_cndmask_b32_e64 v21, v21, 0x70, vcc_lo
	v_dual_cndmask_b32 v14, v31, v14, vcc_lo :: v_dual_add_nc_u32 v24, 21, v21
	v_add_nc_u32_e32 v100, 20, v21
	s_delay_alu instid0(VALU_DEP_2) | instskip(NEXT) | instid1(VALU_DEP_2)
	v_lshlrev_b64_e64 v[24:25], v24, -1
	v_lshlrev_b64_e64 v[100:101], v100, 1
	s_delay_alu instid0(VALU_DEP_2) | instskip(SKIP_1) | instid1(VALU_DEP_4)
	v_bfi_b32 v24, v24, 0, v14
	v_lshrrev_b64 v[14:15], v21, v[14:15]
	v_bfi_b32 v25, v25, 0, 0
	s_delay_alu instid0(VALU_DEP_1) | instskip(NEXT) | instid1(VALU_DEP_3)
	v_cmp_eq_u64_e64 s10, v[24:25], v[100:101]
	v_mov_b64_e32 v[100:101], v[14:15]
	s_and_saveexec_b32 s42, s10
; %bb.1521:                             ;   in Loop: Header=BB4_129 Depth=2
	v_bfe_u32 v24, v14, 21, 1
	v_mov_b32_e32 v25, v39
	s_delay_alu instid0(VALU_DEP_1) | instskip(NEXT) | instid1(VALU_DEP_1)
	v_add_nc_u64_e32 v[24:25], v[14:15], v[24:25]
	v_add_nc_u64_e32 v[100:101], -1, v[24:25]
; %bb.1522:                             ;   in Loop: Header=BB4_129 Depth=2
	s_or_b32 exec_lo, exec_lo, s42
	v_add_nc_u32_e32 v15, 0xffffff81, v20
	v_lshrrev_b32_e32 v20, 23, v14
	s_mov_b32 s10, exec_lo
	s_delay_alu instid0(VALU_DEP_2) | instskip(NEXT) | instid1(VALU_DEP_1)
	v_cndmask_b32_e64 v15, v15, 0xffffff82, vcc_lo
	v_add3_u32 v21, v21, v15, v20
	v_and_b32_e32 v15, 0x1fffff, v100
                                        ; implicit-def: $vgpr20
	s_delay_alu instid0(VALU_DEP_1) | instskip(SKIP_1) | instid1(VALU_DEP_2)
	v_dual_add_nc_u32 v100, 14, v21 :: v_dual_add_nc_u32 v14, v15, v14
	v_mov_b32_e32 v15, v39
	v_cmpx_ne_u32_e32 0, v100
	s_xor_b32 s10, exec_lo, s10
; %bb.1523:                             ;   in Loop: Header=BB4_129 Depth=2
	s_delay_alu instid0(VALU_DEP_2) | instskip(SKIP_2) | instid1(VALU_DEP_2)
	v_cmp_lt_u64_e32 vcc_lo, 0xffffff, v[14:15]
	v_add_nc_u32_e32 v20, 15, v21
	v_cndmask_b32_e64 v21, 0, 1, vcc_lo
	v_cndmask_b32_e32 v20, v100, v20, vcc_lo
	s_delay_alu instid0(VALU_DEP_2)
	v_lshrrev_b64 v[14:15], v21, v[14:15]
; %bb.1524:                             ;   in Loop: Header=BB4_129 Depth=2
	s_and_not1_saveexec_b32 s10, s10
; %bb.1525:                             ;   in Loop: Header=BB4_129 Depth=2
	s_delay_alu instid0(VALU_DEP_1)
	v_bfe_u32 v20, v14, 23, 1
; %bb.1526:                             ;   in Loop: Header=BB4_129 Depth=2
	s_or_b32 exec_lo, exec_lo, s10
	s_delay_alu instid0(VALU_DEP_2) | instskip(NEXT) | instid1(VALU_DEP_2)
	v_lshrrev_b64 v[14:15], 21, v[14:15]
	v_cmp_gt_i32_e32 vcc_lo, 32, v20
	v_min_i32_e32 v21, 31, v20
	v_cmp_eq_u32_e64 s10, 0, v20
	s_delay_alu instid0(VALU_DEP_2) | instskip(SKIP_1) | instid1(VALU_DEP_2)
	v_dual_cndmask_b32 v15, 0, v15, vcc_lo :: v_dual_lshlrev_b32 v21, 2, v21
	v_cndmask_b32_e32 v14, 3, v14, vcc_lo
	v_and_b32_e32 v21, 0xfc, v21
	s_delay_alu instid0(VALU_DEP_2) | instskip(NEXT) | instid1(VALU_DEP_2)
	v_cmp_eq_u64_e32 vcc_lo, 0, v[14:15]
	v_and_or_b32 v14, v14, 3, v21
	s_and_b32 s10, s10, vcc_lo
	s_delay_alu instid0(VALU_DEP_1) | instid1(SALU_CYCLE_1)
	v_cndmask_b32_e64 v14, v14, 0, s10
	s_delay_alu instid0(VALU_DEP_1)
	v_or_b32_e32 v63, v14, v2
.LBB4_1527:                             ;   in Loop: Header=BB4_129 Depth=2
	s_or_b32 exec_lo, exec_lo, s41
                                        ; implicit-def: $vgpr2
.LBB4_1528:                             ;   in Loop: Header=BB4_129 Depth=2
	s_and_not1_saveexec_b32 s10, s40
; %bb.1529:                             ;   in Loop: Header=BB4_129 Depth=2
	v_or_b32_e32 v63, 0x7b, v2
; %bb.1530:                             ;   in Loop: Header=BB4_129 Depth=2
	s_or_b32 exec_lo, exec_lo, s10
                                        ; implicit-def: $vgpr100
                                        ; implicit-def: $vgpr14_vgpr15
                                        ; implicit-def: $vgpr2
.LBB4_1531:                             ;   in Loop: Header=BB4_129 Depth=2
	s_and_not1_saveexec_b32 s10, s29
	s_cbranch_execz .LBB4_1537
; %bb.1532:                             ;   in Loop: Header=BB4_129 Depth=2
	s_mov_b32 s29, exec_lo
                                        ; implicit-def: $vgpr63
	v_cmpx_ne_u64_e32 0, v[14:15]
	s_xor_b32 s29, exec_lo, s29
; %bb.1533:                             ;   in Loop: Header=BB4_129 Depth=2
	v_or_b32_e32 v63, 0x7f, v2
                                        ; implicit-def: $vgpr100
; %bb.1534:                             ;   in Loop: Header=BB4_129 Depth=2
	s_and_not1_saveexec_b32 s29, s29
; %bb.1535:                             ;   in Loop: Header=BB4_129 Depth=2
	v_cmp_lt_i32_e32 vcc_lo, -1, v100
	v_cndmask_b32_e32 v63, 0xfc, v122, vcc_lo
; %bb.1536:                             ;   in Loop: Header=BB4_129 Depth=2
	s_or_b32 exec_lo, exec_lo, s29
.LBB4_1537:                             ;   in Loop: Header=BB4_129 Depth=2
	s_delay_alu instid0(SALU_CYCLE_1)
	s_or_b32 exec_lo, exec_lo, s10
	v_dual_mov_b32 v2, 0 :: v_dual_mov_b32 v15, 0
	s_mov_b32 s10, exec_lo
	v_cmpx_lt_u32_e32 0xffffff, v38
	s_cbranch_execz .LBB4_1547
; %bb.1538:                             ;   in Loop: Header=BB4_129 Depth=2
	v_lshrrev_b32_e32 v14, 24, v38
	v_bfrev_b32_e32 v15, 1
	s_mov_b32 s29, exec_lo
	s_delay_alu instid0(VALU_DEP_2)
	v_cmpx_ne_u32_e32 0x80, v14
	s_cbranch_execz .LBB4_1546
; %bb.1539:                             ;   in Loop: Header=BB4_129 Depth=2
	v_and_b32_e32 v15, 0x7c000000, v38
	v_bfe_u32 v20, v38, 24, 2
	s_delay_alu instid0(VALU_DEP_2) | instskip(SKIP_1) | instid1(SALU_CYCLE_1)
	v_cmp_ne_u32_e32 vcc_lo, 0x7c000000, v15
                                        ; implicit-def: $vgpr15
	s_and_saveexec_b32 s40, vcc_lo
	s_xor_b32 s40, exec_lo, s40
	s_cbranch_execz .LBB4_1543
; %bb.1540:                             ;   in Loop: Header=BB4_129 Depth=2
	v_bfe_u32 v15, v38, 26, 5
	s_mov_b32 s41, exec_lo
	s_delay_alu instid0(VALU_DEP_1)
	v_cmpx_eq_u32_e32 0, v15
; %bb.1541:                             ;   in Loop: Header=BB4_129 Depth=2
	v_clz_i32_u32_e32 v15, v20
	s_delay_alu instid0(VALU_DEP_1) | instskip(NEXT) | instid1(VALU_DEP_1)
	v_min_u32_e32 v20, 32, v15
	v_subrev_nc_u32_e32 v15, 29, v20
	s_delay_alu instid0(VALU_DEP_1) | instskip(NEXT) | instid1(VALU_DEP_1)
	v_lshlrev_b64_e32 v[14:15], v15, v[14:15]
	v_dual_sub_nc_u32 v15, 30, v20 :: v_dual_bitop2_b32 v20, 3, v14 bitop3:0x40
; %bb.1542:                             ;   in Loop: Header=BB4_129 Depth=2
	s_or_b32 exec_lo, exec_lo, s41
	v_and_b32_e32 v14, 0x80000000, v38
	s_delay_alu instid0(VALU_DEP_1) | instskip(NEXT) | instid1(VALU_DEP_1)
	v_lshl_add_u32 v14, v15, 23, v14
	v_lshl_or_b32 v14, v20, 21, v14
                                        ; implicit-def: $vgpr20
	s_delay_alu instid0(VALU_DEP_1)
	v_add_nc_u32_e32 v15, 0x38000000, v14
.LBB4_1543:                             ;   in Loop: Header=BB4_129 Depth=2
	s_and_not1_saveexec_b32 s40, s40
; %bb.1544:                             ;   in Loop: Header=BB4_129 Depth=2
	v_cmp_lt_i32_e32 vcc_lo, -1, v38
	v_cndmask_b32_e32 v14, 0xff800000, v126, vcc_lo
	v_cmp_eq_u32_e32 vcc_lo, 0, v20
	s_delay_alu instid0(VALU_DEP_2)
	v_cndmask_b32_e32 v15, 0x7f800001, v14, vcc_lo
; %bb.1545:                             ;   in Loop: Header=BB4_129 Depth=2
	s_or_b32 exec_lo, exec_lo, s40
.LBB4_1546:                             ;   in Loop: Header=BB4_129 Depth=2
	s_delay_alu instid0(SALU_CYCLE_1)
	s_or_b32 exec_lo, exec_lo, s29
.LBB4_1547:                             ;   in Loop: Header=BB4_129 Depth=2
	s_delay_alu instid0(SALU_CYCLE_1) | instskip(NEXT) | instid1(SALU_CYCLE_1)
	s_or_b32 exec_lo, exec_lo, s10
	s_mov_b32 s10, exec_lo
	v_cmpx_lt_u32_e32 0xffffff, v16
	s_cbranch_execz .LBB4_1557
; %bb.1548:                             ;   in Loop: Header=BB4_129 Depth=2
	v_lshrrev_b32_e32 v14, 24, v16
	v_bfrev_b32_e32 v2, 1
	s_mov_b32 s29, exec_lo
	s_delay_alu instid0(VALU_DEP_2)
	v_cmpx_ne_u32_e32 0x80, v14
	s_cbranch_execz .LBB4_1556
; %bb.1549:                             ;   in Loop: Header=BB4_129 Depth=2
	v_and_b32_e32 v2, 0x7c000000, v16
	v_bfe_u32 v20, v16, 24, 2
	s_delay_alu instid0(VALU_DEP_2) | instskip(SKIP_1) | instid1(SALU_CYCLE_1)
	v_cmp_ne_u32_e32 vcc_lo, 0x7c000000, v2
                                        ; implicit-def: $vgpr2
	s_and_saveexec_b32 s40, vcc_lo
	s_xor_b32 s40, exec_lo, s40
	s_cbranch_execz .LBB4_1553
; %bb.1550:                             ;   in Loop: Header=BB4_129 Depth=2
	v_bfe_u32 v2, v16, 26, 5
	s_mov_b32 s41, exec_lo
	s_delay_alu instid0(VALU_DEP_1)
	v_cmpx_eq_u32_e32 0, v2
; %bb.1551:                             ;   in Loop: Header=BB4_129 Depth=2
	v_clz_i32_u32_e32 v2, v20
	s_delay_alu instid0(VALU_DEP_1) | instskip(NEXT) | instid1(VALU_DEP_1)
	v_min_u32_e32 v2, 32, v2
	v_subrev_nc_u32_e32 v20, 29, v2
	s_delay_alu instid0(VALU_DEP_1) | instskip(NEXT) | instid1(VALU_DEP_1)
	v_lshlrev_b64_e32 v[20:21], v20, v[14:15]
	v_dual_sub_nc_u32 v2, 30, v2 :: v_dual_bitop2_b32 v20, 3, v20 bitop3:0x40
; %bb.1552:                             ;   in Loop: Header=BB4_129 Depth=2
	s_or_b32 exec_lo, exec_lo, s41
	v_and_b32_e32 v14, 0x80000000, v16
	s_delay_alu instid0(VALU_DEP_1) | instskip(NEXT) | instid1(VALU_DEP_1)
	v_lshl_add_u32 v2, v2, 23, v14
	v_lshl_or_b32 v2, v20, 21, v2
                                        ; implicit-def: $vgpr20
	s_delay_alu instid0(VALU_DEP_1)
	v_add_nc_u32_e32 v2, 0x38000000, v2
.LBB4_1553:                             ;   in Loop: Header=BB4_129 Depth=2
	s_and_not1_saveexec_b32 s40, s40
; %bb.1554:                             ;   in Loop: Header=BB4_129 Depth=2
	v_cmp_lt_i32_e32 vcc_lo, -1, v16
	v_cndmask_b32_e32 v2, 0xff800000, v126, vcc_lo
	v_cmp_eq_u32_e32 vcc_lo, 0, v20
	s_delay_alu instid0(VALU_DEP_2)
	v_cndmask_b32_e32 v2, 0x7f800001, v2, vcc_lo
; %bb.1555:                             ;   in Loop: Header=BB4_129 Depth=2
	s_or_b32 exec_lo, exec_lo, s40
.LBB4_1556:                             ;   in Loop: Header=BB4_129 Depth=2
	s_delay_alu instid0(SALU_CYCLE_1)
	s_or_b32 exec_lo, exec_lo, s29
.LBB4_1557:                             ;   in Loop: Header=BB4_129 Depth=2
	s_delay_alu instid0(SALU_CYCLE_1) | instskip(NEXT) | instid1(VALU_DEP_1)
	s_or_b32 exec_lo, exec_lo, s10
	v_add_f32_e32 v14, v15, v2
	v_mov_b32_e32 v21, v39
                                        ; implicit-def: $vgpr73
	s_mov_b32 s10, exec_lo
	s_delay_alu instid0(VALU_DEP_2) | instskip(SKIP_2) | instid1(VALU_DEP_3)
	v_and_b32_e32 v20, 0x7f800000, v14
	v_and_b32_e32 v38, 0x7fffff, v14
	v_lshrrev_b32_e32 v2, 24, v14
	v_cmpx_ne_u64_e32 0x7f800000, v[20:21]
	s_xor_b32 s29, exec_lo, s10
	s_cbranch_execz .LBB4_1571
; %bb.1558:                             ;   in Loop: Header=BB4_129 Depth=2
	v_and_b32_e32 v20, 0x7fffffff, v14
	v_mov_b32_e32 v21, v39
	v_and_b32_e32 v2, 0x80, v2
                                        ; implicit-def: $vgpr73
	s_mov_b32 s10, exec_lo
	s_delay_alu instid0(VALU_DEP_2)
	v_cmpx_gt_u64_e32 0x47600001, v[20:21]
	s_xor_b32 s40, exec_lo, s10
	s_cbranch_execz .LBB4_1568
; %bb.1559:                             ;   in Loop: Header=BB4_129 Depth=2
	v_mov_b32_e32 v73, 0
	s_mov_b32 s41, exec_lo
	v_cmpx_ne_u32_e32 0, v14
	s_cbranch_execz .LBB4_1567
; %bb.1560:                             ;   in Loop: Header=BB4_129 Depth=2
	v_bfe_u32 v20, v14, 23, 8
	v_or_b32_e32 v24, 0x800000, v38
	s_delay_alu instid0(VALU_DEP_2) | instskip(SKIP_1) | instid1(VALU_DEP_2)
	v_dual_mov_b32 v25, v39 :: v_dual_sub_nc_u32 v14, 0x71, v20
	v_cmp_gt_u32_e32 vcc_lo, 0x72, v20
	v_cndmask_b32_e32 v14, 0, v14, vcc_lo
	v_cmp_eq_u32_e32 vcc_lo, 0, v20
	s_delay_alu instid0(VALU_DEP_2) | instskip(NEXT) | instid1(VALU_DEP_1)
	v_cndmask_b32_e64 v21, v14, 0x70, vcc_lo
	v_dual_cndmask_b32 v24, v24, v38, vcc_lo :: v_dual_add_nc_u32 v14, 21, v21
	v_add_nc_u32_e32 v31, 20, v21
	s_delay_alu instid0(VALU_DEP_2) | instskip(NEXT) | instid1(VALU_DEP_2)
	v_lshlrev_b64_e64 v[14:15], v14, -1
	v_lshlrev_b64_e64 v[100:101], v31, 1
	s_delay_alu instid0(VALU_DEP_2) | instskip(NEXT) | instid1(VALU_DEP_3)
	v_bfi_b32 v75, v15, 0, 0
	v_bfi_b32 v74, v14, 0, v24
	v_lshrrev_b64 v[14:15], v21, v[24:25]
	s_delay_alu instid0(VALU_DEP_2) | instskip(NEXT) | instid1(VALU_DEP_2)
	v_cmp_eq_u64_e64 s10, v[74:75], v[100:101]
	v_mov_b64_e32 v[100:101], v[14:15]
	s_and_saveexec_b32 s42, s10
; %bb.1561:                             ;   in Loop: Header=BB4_129 Depth=2
	v_bfe_u32 v24, v14, 21, 1
	v_mov_b32_e32 v25, v39
	s_delay_alu instid0(VALU_DEP_1) | instskip(NEXT) | instid1(VALU_DEP_1)
	v_add_nc_u64_e32 v[24:25], v[14:15], v[24:25]
	v_add_nc_u64_e32 v[100:101], -1, v[24:25]
; %bb.1562:                             ;   in Loop: Header=BB4_129 Depth=2
	s_or_b32 exec_lo, exec_lo, s42
	v_add_nc_u32_e32 v15, 0xffffff81, v20
	v_lshrrev_b32_e32 v20, 23, v14
	s_mov_b32 s10, exec_lo
	s_delay_alu instid0(VALU_DEP_2) | instskip(NEXT) | instid1(VALU_DEP_1)
	v_cndmask_b32_e64 v15, v15, 0xffffff82, vcc_lo
	v_add3_u32 v21, v21, v15, v20
	v_and_b32_e32 v15, 0x1fffff, v100
                                        ; implicit-def: $vgpr20
	s_delay_alu instid0(VALU_DEP_1) | instskip(NEXT) | instid1(VALU_DEP_1)
	v_dual_add_nc_u32 v100, 14, v21 :: v_dual_add_nc_u32 v38, v15, v14
                                        ; implicit-def: $vgpr14_vgpr15
	v_cmpx_ne_u32_e32 0, v100
	s_xor_b32 s10, exec_lo, s10
; %bb.1563:                             ;   in Loop: Header=BB4_129 Depth=2
	s_delay_alu instid0(VALU_DEP_2) | instskip(SKIP_1) | instid1(VALU_DEP_1)
	v_cmp_lt_u64_e32 vcc_lo, 0xffffff, v[38:39]
	v_add_nc_u32_e32 v14, 15, v21
	v_cndmask_b32_e32 v20, v100, v14, vcc_lo
	v_cndmask_b32_e64 v14, 0, 1, vcc_lo
	s_delay_alu instid0(VALU_DEP_1)
	v_lshrrev_b64 v[14:15], v14, v[38:39]
; %bb.1564:                             ;   in Loop: Header=BB4_129 Depth=2
	s_and_not1_saveexec_b32 s10, s10
; %bb.1565:                             ;   in Loop: Header=BB4_129 Depth=2
	v_mov_b64_e32 v[14:15], v[38:39]
	v_bfe_u32 v20, v38, 23, 1
; %bb.1566:                             ;   in Loop: Header=BB4_129 Depth=2
	s_or_b32 exec_lo, exec_lo, s10
	s_delay_alu instid0(VALU_DEP_2) | instskip(NEXT) | instid1(VALU_DEP_2)
	v_lshrrev_b64 v[14:15], 21, v[14:15]
	v_cmp_gt_i32_e32 vcc_lo, 32, v20
	v_min_i32_e32 v21, 31, v20
	v_cmp_eq_u32_e64 s10, 0, v20
	s_delay_alu instid0(VALU_DEP_2) | instskip(SKIP_1) | instid1(VALU_DEP_2)
	v_dual_cndmask_b32 v15, 0, v15, vcc_lo :: v_dual_lshlrev_b32 v21, 2, v21
	v_cndmask_b32_e32 v14, 3, v14, vcc_lo
	v_and_b32_e32 v21, 0xfc, v21
	s_delay_alu instid0(VALU_DEP_2) | instskip(NEXT) | instid1(VALU_DEP_2)
	v_cmp_eq_u64_e32 vcc_lo, 0, v[14:15]
	v_and_or_b32 v14, v14, 3, v21
	s_and_b32 s10, s10, vcc_lo
	s_delay_alu instid0(VALU_DEP_1) | instid1(SALU_CYCLE_1)
	v_cndmask_b32_e64 v14, v14, 0, s10
	s_delay_alu instid0(VALU_DEP_1)
	v_or_b32_e32 v73, v14, v2
.LBB4_1567:                             ;   in Loop: Header=BB4_129 Depth=2
	s_or_b32 exec_lo, exec_lo, s41
                                        ; implicit-def: $vgpr2
.LBB4_1568:                             ;   in Loop: Header=BB4_129 Depth=2
	s_and_not1_saveexec_b32 s10, s40
; %bb.1569:                             ;   in Loop: Header=BB4_129 Depth=2
	v_or_b32_e32 v73, 0x7b, v2
; %bb.1570:                             ;   in Loop: Header=BB4_129 Depth=2
	s_or_b32 exec_lo, exec_lo, s10
                                        ; implicit-def: $vgpr14
                                        ; implicit-def: $vgpr2
.LBB4_1571:                             ;   in Loop: Header=BB4_129 Depth=2
	s_and_not1_saveexec_b32 s10, s29
	s_cbranch_execz .LBB4_1577
; %bb.1572:                             ;   in Loop: Header=BB4_129 Depth=2
	s_mov_b32 s29, exec_lo
                                        ; implicit-def: $vgpr73
	v_cmpx_ne_u64_e32 0, v[38:39]
	s_xor_b32 s29, exec_lo, s29
; %bb.1573:                             ;   in Loop: Header=BB4_129 Depth=2
	v_or_b32_e32 v73, 0x7f, v2
                                        ; implicit-def: $vgpr14
; %bb.1574:                             ;   in Loop: Header=BB4_129 Depth=2
	s_and_not1_saveexec_b32 s29, s29
; %bb.1575:                             ;   in Loop: Header=BB4_129 Depth=2
	v_cmp_lt_i32_e32 vcc_lo, -1, v14
	v_cndmask_b32_e32 v73, 0xfc, v122, vcc_lo
; %bb.1576:                             ;   in Loop: Header=BB4_129 Depth=2
	s_or_b32 exec_lo, exec_lo, s29
.LBB4_1577:                             ;   in Loop: Header=BB4_129 Depth=2
	s_delay_alu instid0(SALU_CYCLE_1) | instskip(SKIP_4) | instid1(VALU_DEP_2)
	s_or_b32 exec_lo, exec_lo, s10
	v_dual_lshlrev_b32 v14, 24, v72 :: v_dual_lshlrev_b32 v20, 16, v62
	v_lshl_or_b32 v2, v59, 8, v46
	v_mov_b32_e32 v15, 0
	s_mov_b32 s10, exec_lo
	v_or3_b32 v38, v20, v14, v2
	v_mov_b32_e32 v14, 0
	v_cmpx_ne_u32_e32 0, v46
	s_cbranch_execz .LBB4_1587
; %bb.1578:                             ;   in Loop: Header=BB4_129 Depth=2
	v_bfrev_b32_e32 v14, 1
	s_mov_b32 s29, exec_lo
	v_cmpx_ne_u32_e32 0x80, v46
	s_cbranch_execz .LBB4_1586
; %bb.1579:                             ;   in Loop: Header=BB4_129 Depth=2
	v_and_b32_e32 v14, 0x7c, v46
	v_and_b32_e32 v20, 3, v46
	s_delay_alu instid0(VALU_DEP_2) | instskip(SKIP_1) | instid1(SALU_CYCLE_1)
	v_cmp_ne_u32_e32 vcc_lo, 0x7c, v14
                                        ; implicit-def: $vgpr14
	s_and_saveexec_b32 s40, vcc_lo
	s_xor_b32 s40, exec_lo, s40
	s_cbranch_execz .LBB4_1583
; %bb.1580:                             ;   in Loop: Header=BB4_129 Depth=2
	v_bfe_u32 v14, v46, 2, 5
	s_mov_b32 s41, exec_lo
	s_delay_alu instid0(VALU_DEP_1)
	v_cmpx_eq_u32_e32 0, v14
; %bb.1581:                             ;   in Loop: Header=BB4_129 Depth=2
	v_clz_i32_u32_e32 v14, v20
	s_delay_alu instid0(VALU_DEP_1) | instskip(NEXT) | instid1(VALU_DEP_1)
	v_min_u32_e32 v14, 32, v14
	v_subrev_nc_u32_e32 v20, 29, v14
	s_delay_alu instid0(VALU_DEP_1) | instskip(NEXT) | instid1(VALU_DEP_1)
	v_lshlrev_b64_e32 v[20:21], v20, v[38:39]
	v_dual_sub_nc_u32 v14, 30, v14 :: v_dual_bitop2_b32 v20, 3, v20 bitop3:0x40
; %bb.1582:                             ;   in Loop: Header=BB4_129 Depth=2
	s_or_b32 exec_lo, exec_lo, s41
	v_lshlrev_b32_e32 v21, 24, v46
                                        ; implicit-def: $vgpr46
	s_delay_alu instid0(VALU_DEP_1) | instskip(NEXT) | instid1(VALU_DEP_1)
	v_and_b32_e32 v21, 0x80000000, v21
	v_lshl_add_u32 v14, v14, 23, v21
	s_delay_alu instid0(VALU_DEP_1) | instskip(NEXT) | instid1(VALU_DEP_1)
	v_lshl_or_b32 v14, v20, 21, v14
                                        ; implicit-def: $vgpr20
	v_add_nc_u32_e32 v14, 0x38000000, v14
.LBB4_1583:                             ;   in Loop: Header=BB4_129 Depth=2
	s_and_not1_saveexec_b32 s40, s40
; %bb.1584:                             ;   in Loop: Header=BB4_129 Depth=2
	v_and_b32_e32 v14, 0x80, v46
	s_delay_alu instid0(VALU_DEP_1) | instskip(SKIP_2) | instid1(VALU_DEP_2)
	v_cmp_eq_u32_e32 vcc_lo, 0, v14
	v_cndmask_b32_e32 v14, 0xff800000, v126, vcc_lo
	v_cmp_eq_u32_e32 vcc_lo, 0, v20
	v_cndmask_b32_e32 v14, 0x7f800001, v14, vcc_lo
; %bb.1585:                             ;   in Loop: Header=BB4_129 Depth=2
	s_or_b32 exec_lo, exec_lo, s40
.LBB4_1586:                             ;   in Loop: Header=BB4_129 Depth=2
	s_delay_alu instid0(SALU_CYCLE_1)
	s_or_b32 exec_lo, exec_lo, s29
.LBB4_1587:                             ;   in Loop: Header=BB4_129 Depth=2
	s_delay_alu instid0(SALU_CYCLE_1) | instskip(SKIP_2) | instid1(VALU_DEP_1)
	s_or_b32 exec_lo, exec_lo, s10
	v_and_b32_e32 v20, 0xff, v17
	s_mov_b32 s10, exec_lo
	v_cmpx_ne_u16_e32 0, v20
	s_cbranch_execz .LBB4_1597
; %bb.1588:                             ;   in Loop: Header=BB4_129 Depth=2
	v_bfrev_b32_e32 v15, 1
	s_mov_b32 s29, exec_lo
	v_cmpx_ne_u16_e32 0x80, v20
	s_cbranch_execz .LBB4_1596
; %bb.1589:                             ;   in Loop: Header=BB4_129 Depth=2
	v_and_b32_e32 v15, 0x7c, v17
	v_and_b32_e32 v20, 3, v17
	s_delay_alu instid0(VALU_DEP_2) | instskip(SKIP_1) | instid1(SALU_CYCLE_1)
	v_cmp_ne_u32_e32 vcc_lo, 0x7c, v15
                                        ; implicit-def: $vgpr15
	s_and_saveexec_b32 s40, vcc_lo
	s_xor_b32 s40, exec_lo, s40
	s_cbranch_execz .LBB4_1593
; %bb.1590:                             ;   in Loop: Header=BB4_129 Depth=2
	v_bfe_u32 v15, v17, 2, 5
	s_mov_b32 s41, exec_lo
	s_delay_alu instid0(VALU_DEP_1)
	v_cmpx_eq_u32_e32 0, v15
; %bb.1591:                             ;   in Loop: Header=BB4_129 Depth=2
	v_clz_i32_u32_e32 v15, v20
	v_dual_mov_b32 v20, v17 :: v_dual_mov_b32 v21, v39
	s_delay_alu instid0(VALU_DEP_2) | instskip(NEXT) | instid1(VALU_DEP_1)
	v_min_u32_e32 v15, 32, v15
	v_subrev_nc_u32_e32 v24, 29, v15
	s_delay_alu instid0(VALU_DEP_1) | instskip(NEXT) | instid1(VALU_DEP_1)
	v_lshlrev_b64_e32 v[20:21], v24, v[20:21]
	v_dual_sub_nc_u32 v15, 30, v15 :: v_dual_bitop2_b32 v20, 3, v20 bitop3:0x40
; %bb.1592:                             ;   in Loop: Header=BB4_129 Depth=2
	s_or_b32 exec_lo, exec_lo, s41
	v_lshlrev_b32_e32 v21, 24, v17
	s_delay_alu instid0(VALU_DEP_1) | instskip(NEXT) | instid1(VALU_DEP_1)
	v_and_b32_e32 v21, 0x80000000, v21
	v_lshl_add_u32 v15, v15, 23, v21
	s_delay_alu instid0(VALU_DEP_1) | instskip(NEXT) | instid1(VALU_DEP_1)
	v_lshl_or_b32 v15, v20, 21, v15
                                        ; implicit-def: $vgpr20
	v_add_nc_u32_e32 v15, 0x38000000, v15
.LBB4_1593:                             ;   in Loop: Header=BB4_129 Depth=2
	s_and_not1_saveexec_b32 s40, s40
; %bb.1594:                             ;   in Loop: Header=BB4_129 Depth=2
	v_bfe_i32 v15, v17, 0, 8
	s_delay_alu instid0(VALU_DEP_1) | instskip(SKIP_2) | instid1(VALU_DEP_2)
	v_cmp_lt_i16_e32 vcc_lo, -1, v15
	v_cndmask_b32_e32 v15, 0xff800000, v126, vcc_lo
	v_cmp_eq_u32_e32 vcc_lo, 0, v20
	v_cndmask_b32_e32 v15, 0x7f800001, v15, vcc_lo
; %bb.1595:                             ;   in Loop: Header=BB4_129 Depth=2
	s_or_b32 exec_lo, exec_lo, s40
.LBB4_1596:                             ;   in Loop: Header=BB4_129 Depth=2
	s_delay_alu instid0(SALU_CYCLE_1)
	s_or_b32 exec_lo, exec_lo, s29
.LBB4_1597:                             ;   in Loop: Header=BB4_129 Depth=2
	s_delay_alu instid0(SALU_CYCLE_1) | instskip(NEXT) | instid1(VALU_DEP_1)
	s_or_b32 exec_lo, exec_lo, s10
	v_dual_add_f32 v100, v14, v15 :: v_dual_mov_b32 v21, v39
	v_mov_b32_e32 v15, v39
                                        ; implicit-def: $vgpr46
	s_delay_alu instid0(VALU_DEP_2) | instskip(SKIP_1) | instid1(VALU_DEP_2)
	v_and_b32_e32 v20, 0x7f800000, v100
	v_and_b32_e32 v14, 0x7fffff, v100
	v_cmp_ne_u64_e32 vcc_lo, 0x7f800000, v[20:21]
	v_lshrrev_b32_e32 v20, 24, v100
	s_and_saveexec_b32 s10, vcc_lo
	s_delay_alu instid0(SALU_CYCLE_1)
	s_xor_b32 s29, exec_lo, s10
	s_cbranch_execz .LBB4_1611
; %bb.1598:                             ;   in Loop: Header=BB4_129 Depth=2
	v_and_b32_e32 v24, 0x7fffffff, v100
	v_mov_b32_e32 v25, v39
	v_and_b32_e32 v59, 0x80, v20
                                        ; implicit-def: $vgpr46
	s_mov_b32 s10, exec_lo
	s_delay_alu instid0(VALU_DEP_2)
	v_cmpx_gt_u64_e32 0x47600001, v[24:25]
	s_xor_b32 s40, exec_lo, s10
	s_cbranch_execz .LBB4_1608
; %bb.1599:                             ;   in Loop: Header=BB4_129 Depth=2
	v_mov_b32_e32 v46, 0
	s_mov_b32 s41, exec_lo
	v_cmpx_ne_u32_e32 0, v100
	s_cbranch_execz .LBB4_1607
; %bb.1600:                             ;   in Loop: Header=BB4_129 Depth=2
	v_bfe_u32 v20, v100, 23, 8
	v_or_b32_e32 v31, 0x800000, v14
	s_delay_alu instid0(VALU_DEP_2) | instskip(SKIP_1) | instid1(VALU_DEP_2)
	v_sub_nc_u32_e32 v21, 0x71, v20
	v_cmp_gt_u32_e32 vcc_lo, 0x72, v20
	v_cndmask_b32_e32 v21, 0, v21, vcc_lo
	v_cmp_eq_u32_e32 vcc_lo, 0, v20
	s_delay_alu instid0(VALU_DEP_2) | instskip(NEXT) | instid1(VALU_DEP_1)
	v_cndmask_b32_e64 v21, v21, 0x70, vcc_lo
	v_dual_cndmask_b32 v14, v31, v14, vcc_lo :: v_dual_add_nc_u32 v24, 21, v21
	v_add_nc_u32_e32 v100, 20, v21
	s_delay_alu instid0(VALU_DEP_2) | instskip(NEXT) | instid1(VALU_DEP_2)
	v_lshlrev_b64_e64 v[24:25], v24, -1
	v_lshlrev_b64_e64 v[100:101], v100, 1
	s_delay_alu instid0(VALU_DEP_2) | instskip(SKIP_1) | instid1(VALU_DEP_4)
	v_bfi_b32 v24, v24, 0, v14
	v_lshrrev_b64 v[14:15], v21, v[14:15]
	v_bfi_b32 v25, v25, 0, 0
	s_delay_alu instid0(VALU_DEP_1) | instskip(NEXT) | instid1(VALU_DEP_3)
	v_cmp_eq_u64_e64 s10, v[24:25], v[100:101]
	v_mov_b64_e32 v[100:101], v[14:15]
	s_and_saveexec_b32 s42, s10
; %bb.1601:                             ;   in Loop: Header=BB4_129 Depth=2
	v_bfe_u32 v24, v14, 21, 1
	v_mov_b32_e32 v25, v39
	s_delay_alu instid0(VALU_DEP_1) | instskip(NEXT) | instid1(VALU_DEP_1)
	v_add_nc_u64_e32 v[24:25], v[14:15], v[24:25]
	v_add_nc_u64_e32 v[100:101], -1, v[24:25]
; %bb.1602:                             ;   in Loop: Header=BB4_129 Depth=2
	s_or_b32 exec_lo, exec_lo, s42
	v_add_nc_u32_e32 v15, 0xffffff81, v20
	v_lshrrev_b32_e32 v20, 23, v14
	s_mov_b32 s10, exec_lo
	s_delay_alu instid0(VALU_DEP_2) | instskip(NEXT) | instid1(VALU_DEP_1)
	v_cndmask_b32_e64 v15, v15, 0xffffff82, vcc_lo
	v_add3_u32 v21, v21, v15, v20
	v_and_b32_e32 v15, 0x1fffff, v100
                                        ; implicit-def: $vgpr20
	s_delay_alu instid0(VALU_DEP_1) | instskip(SKIP_1) | instid1(VALU_DEP_2)
	v_dual_add_nc_u32 v100, 14, v21 :: v_dual_add_nc_u32 v14, v15, v14
	v_mov_b32_e32 v15, v39
	v_cmpx_ne_u32_e32 0, v100
	s_xor_b32 s10, exec_lo, s10
; %bb.1603:                             ;   in Loop: Header=BB4_129 Depth=2
	s_delay_alu instid0(VALU_DEP_2) | instskip(SKIP_2) | instid1(VALU_DEP_2)
	v_cmp_lt_u64_e32 vcc_lo, 0xffffff, v[14:15]
	v_add_nc_u32_e32 v20, 15, v21
	v_cndmask_b32_e64 v21, 0, 1, vcc_lo
	v_cndmask_b32_e32 v20, v100, v20, vcc_lo
	s_delay_alu instid0(VALU_DEP_2)
	v_lshrrev_b64 v[14:15], v21, v[14:15]
; %bb.1604:                             ;   in Loop: Header=BB4_129 Depth=2
	s_and_not1_saveexec_b32 s10, s10
; %bb.1605:                             ;   in Loop: Header=BB4_129 Depth=2
	s_delay_alu instid0(VALU_DEP_1)
	v_bfe_u32 v20, v14, 23, 1
; %bb.1606:                             ;   in Loop: Header=BB4_129 Depth=2
	s_or_b32 exec_lo, exec_lo, s10
	s_delay_alu instid0(VALU_DEP_2) | instskip(NEXT) | instid1(VALU_DEP_2)
	v_lshrrev_b64 v[14:15], 21, v[14:15]
	v_cmp_gt_i32_e32 vcc_lo, 32, v20
	v_min_i32_e32 v21, 31, v20
	v_cmp_eq_u32_e64 s10, 0, v20
	s_delay_alu instid0(VALU_DEP_2) | instskip(SKIP_1) | instid1(VALU_DEP_2)
	v_dual_cndmask_b32 v15, 0, v15, vcc_lo :: v_dual_lshlrev_b32 v21, 2, v21
	v_cndmask_b32_e32 v14, 3, v14, vcc_lo
	v_and_b32_e32 v21, 0xfc, v21
	s_delay_alu instid0(VALU_DEP_2) | instskip(NEXT) | instid1(VALU_DEP_2)
	v_cmp_eq_u64_e32 vcc_lo, 0, v[14:15]
	v_and_or_b32 v14, v14, 3, v21
	s_and_b32 s10, s10, vcc_lo
	s_delay_alu instid0(VALU_DEP_1) | instid1(SALU_CYCLE_1)
	v_cndmask_b32_e64 v14, v14, 0, s10
	s_delay_alu instid0(VALU_DEP_1)
	v_or_b32_e32 v46, v14, v59
.LBB4_1607:                             ;   in Loop: Header=BB4_129 Depth=2
	s_or_b32 exec_lo, exec_lo, s41
                                        ; implicit-def: $vgpr59
.LBB4_1608:                             ;   in Loop: Header=BB4_129 Depth=2
	s_and_not1_saveexec_b32 s10, s40
; %bb.1609:                             ;   in Loop: Header=BB4_129 Depth=2
	v_or_b32_e32 v46, 0x7b, v59
; %bb.1610:                             ;   in Loop: Header=BB4_129 Depth=2
	s_or_b32 exec_lo, exec_lo, s10
                                        ; implicit-def: $vgpr100
                                        ; implicit-def: $vgpr14_vgpr15
                                        ; implicit-def: $vgpr20
.LBB4_1611:                             ;   in Loop: Header=BB4_129 Depth=2
	s_and_not1_saveexec_b32 s10, s29
	s_cbranch_execz .LBB4_1617
; %bb.1612:                             ;   in Loop: Header=BB4_129 Depth=2
	s_mov_b32 s29, exec_lo
                                        ; implicit-def: $vgpr46
	v_cmpx_ne_u64_e32 0, v[14:15]
	s_xor_b32 s29, exec_lo, s29
; %bb.1613:                             ;   in Loop: Header=BB4_129 Depth=2
	v_or_b32_e32 v46, 0x7f, v20
                                        ; implicit-def: $vgpr100
; %bb.1614:                             ;   in Loop: Header=BB4_129 Depth=2
	s_and_not1_saveexec_b32 s29, s29
; %bb.1615:                             ;   in Loop: Header=BB4_129 Depth=2
	v_cmp_lt_i32_e32 vcc_lo, -1, v100
	v_cndmask_b32_e32 v46, 0xfc, v122, vcc_lo
; %bb.1616:                             ;   in Loop: Header=BB4_129 Depth=2
	s_or_b32 exec_lo, exec_lo, s29
.LBB4_1617:                             ;   in Loop: Header=BB4_129 Depth=2
	s_delay_alu instid0(SALU_CYCLE_1) | instskip(SKIP_3) | instid1(VALU_DEP_2)
	s_or_b32 exec_lo, exec_lo, s10
	v_lshrrev_b16 v14, 8, v2
	v_dual_mov_b32 v100, 0 :: v_dual_mov_b32 v101, 0
	s_mov_b32 s10, exec_lo
	v_cmpx_ne_u16_e32 0, v14
	s_cbranch_execz .LBB4_1627
; %bb.1618:                             ;   in Loop: Header=BB4_129 Depth=2
	v_bfrev_b32_e32 v101, 1
	s_mov_b32 s29, exec_lo
	v_cmpx_ne_u16_e32 0x80, v14
	s_cbranch_execz .LBB4_1626
; %bb.1619:                             ;   in Loop: Header=BB4_129 Depth=2
	v_and_b32_e32 v20, 0xffff, v14
	s_mov_b32 s40, exec_lo
                                        ; implicit-def: $vgpr101
	s_delay_alu instid0(VALU_DEP_1) | instskip(SKIP_1) | instid1(VALU_DEP_2)
	v_and_b32_e32 v21, 0x7c, v20
	v_and_b32_e32 v15, 3, v20
	v_cmpx_ne_u32_e32 0x7c, v21
	s_xor_b32 s40, exec_lo, s40
	s_cbranch_execz .LBB4_1623
; %bb.1620:                             ;   in Loop: Header=BB4_129 Depth=2
	v_bfe_u32 v20, v20, 2, 5
	s_mov_b32 s41, exec_lo
	s_delay_alu instid0(VALU_DEP_1)
	v_cmpx_eq_u32_e32 0, v20
	s_cbranch_execz .LBB4_1622
; %bb.1621:                             ;   in Loop: Header=BB4_129 Depth=2
	v_clz_i32_u32_e32 v15, v15
	s_delay_alu instid0(VALU_DEP_1) | instskip(SKIP_1) | instid1(VALU_DEP_2)
	v_min_u32_e32 v20, 32, v15
	v_mov_b32_e32 v15, v39
	v_subrev_nc_u32_e32 v21, 29, v20
	v_sub_nc_u32_e32 v20, 30, v20
	s_delay_alu instid0(VALU_DEP_2) | instskip(NEXT) | instid1(VALU_DEP_1)
	v_lshlrev_b64_e32 v[14:15], v21, v[14:15]
	v_and_b32_e32 v15, 3, v14
.LBB4_1622:                             ;   in Loop: Header=BB4_129 Depth=2
	s_or_b32 exec_lo, exec_lo, s41
	v_lshlrev_b32_e32 v2, 16, v2
	s_delay_alu instid0(VALU_DEP_1) | instskip(NEXT) | instid1(VALU_DEP_1)
	v_and_b32_e32 v2, 0x80000000, v2
	v_lshl_add_u32 v2, v20, 23, v2
	s_delay_alu instid0(VALU_DEP_1) | instskip(NEXT) | instid1(VALU_DEP_1)
	v_lshl_or_b32 v2, v15, 21, v2
                                        ; implicit-def: $vgpr15
	v_add_nc_u32_e32 v101, 0x38000000, v2
                                        ; implicit-def: $vgpr2
.LBB4_1623:                             ;   in Loop: Header=BB4_129 Depth=2
	s_and_not1_saveexec_b32 s40, s40
; %bb.1624:                             ;   in Loop: Header=BB4_129 Depth=2
	v_cmp_lt_i16_e32 vcc_lo, -1, v2
	v_cndmask_b32_e32 v2, 0xff800000, v126, vcc_lo
	v_cmp_eq_u32_e32 vcc_lo, 0, v15
	s_delay_alu instid0(VALU_DEP_2)
	v_cndmask_b32_e32 v101, 0x7f800001, v2, vcc_lo
; %bb.1625:                             ;   in Loop: Header=BB4_129 Depth=2
	s_or_b32 exec_lo, exec_lo, s40
.LBB4_1626:                             ;   in Loop: Header=BB4_129 Depth=2
	s_delay_alu instid0(SALU_CYCLE_1)
	s_or_b32 exec_lo, exec_lo, s29
.LBB4_1627:                             ;   in Loop: Header=BB4_129 Depth=2
	s_delay_alu instid0(SALU_CYCLE_1) | instskip(SKIP_2) | instid1(VALU_DEP_1)
	s_or_b32 exec_lo, exec_lo, s10
	v_lshrrev_b16 v14, 8, v17
	s_mov_b32 s10, exec_lo
	v_cmpx_ne_u16_e32 0, v14
	s_cbranch_execz .LBB4_1637
; %bb.1628:                             ;   in Loop: Header=BB4_129 Depth=2
	v_bfrev_b32_e32 v100, 1
	s_mov_b32 s29, exec_lo
	v_cmpx_ne_u16_e32 0x80, v14
	s_cbranch_execz .LBB4_1636
; %bb.1629:                             ;   in Loop: Header=BB4_129 Depth=2
	v_and_b32_e32 v15, 0xffff, v14
	s_mov_b32 s40, exec_lo
                                        ; implicit-def: $vgpr100
	s_delay_alu instid0(VALU_DEP_1) | instskip(SKIP_1) | instid1(VALU_DEP_2)
	v_and_b32_e32 v20, 0x7c, v15
	v_and_b32_e32 v2, 3, v15
	v_cmpx_ne_u32_e32 0x7c, v20
	s_xor_b32 s40, exec_lo, s40
	s_cbranch_execz .LBB4_1633
; %bb.1630:                             ;   in Loop: Header=BB4_129 Depth=2
	v_bfe_u32 v15, v15, 2, 5
	s_mov_b32 s41, exec_lo
	s_delay_alu instid0(VALU_DEP_1)
	v_cmpx_eq_u32_e32 0, v15
	s_cbranch_execz .LBB4_1632
; %bb.1631:                             ;   in Loop: Header=BB4_129 Depth=2
	v_clz_i32_u32_e32 v2, v2
	v_mov_b32_e32 v15, v39
	s_delay_alu instid0(VALU_DEP_2) | instskip(NEXT) | instid1(VALU_DEP_1)
	v_min_u32_e32 v2, 32, v2
	v_subrev_nc_u32_e32 v20, 29, v2
	s_delay_alu instid0(VALU_DEP_1) | instskip(SKIP_1) | instid1(VALU_DEP_2)
	v_lshlrev_b64_e32 v[14:15], v20, v[14:15]
	v_sub_nc_u32_e32 v15, 30, v2
	v_and_b32_e32 v2, 3, v14
.LBB4_1632:                             ;   in Loop: Header=BB4_129 Depth=2
	s_or_b32 exec_lo, exec_lo, s41
	v_lshlrev_b32_e32 v14, 16, v17
	s_delay_alu instid0(VALU_DEP_1) | instskip(NEXT) | instid1(VALU_DEP_1)
	v_and_b32_e32 v14, 0x80000000, v14
	v_lshl_add_u32 v14, v15, 23, v14
	s_delay_alu instid0(VALU_DEP_1) | instskip(NEXT) | instid1(VALU_DEP_1)
	v_lshl_or_b32 v2, v2, 21, v14
	v_add_nc_u32_e32 v100, 0x38000000, v2
                                        ; implicit-def: $vgpr2
.LBB4_1633:                             ;   in Loop: Header=BB4_129 Depth=2
	s_and_not1_saveexec_b32 s40, s40
; %bb.1634:                             ;   in Loop: Header=BB4_129 Depth=2
	v_cmp_lt_i16_e32 vcc_lo, -1, v17
	v_cndmask_b32_e32 v14, 0xff800000, v126, vcc_lo
	v_cmp_eq_u32_e32 vcc_lo, 0, v2
	s_delay_alu instid0(VALU_DEP_2)
	v_cndmask_b32_e32 v100, 0x7f800001, v14, vcc_lo
; %bb.1635:                             ;   in Loop: Header=BB4_129 Depth=2
	s_or_b32 exec_lo, exec_lo, s40
.LBB4_1636:                             ;   in Loop: Header=BB4_129 Depth=2
	s_delay_alu instid0(SALU_CYCLE_1)
	s_or_b32 exec_lo, exec_lo, s29
.LBB4_1637:                             ;   in Loop: Header=BB4_129 Depth=2
	s_delay_alu instid0(SALU_CYCLE_1) | instskip(NEXT) | instid1(VALU_DEP_1)
	s_or_b32 exec_lo, exec_lo, s10
	v_dual_add_f32 v100, v101, v100 :: v_dual_mov_b32 v21, v39
	v_mov_b32_e32 v15, v39
                                        ; implicit-def: $vgpr59
	s_mov_b32 s10, exec_lo
	s_delay_alu instid0(VALU_DEP_2) | instskip(SKIP_2) | instid1(VALU_DEP_3)
	v_and_b32_e32 v20, 0x7f800000, v100
	v_and_b32_e32 v14, 0x7fffff, v100
	v_lshrrev_b32_e32 v2, 24, v100
	v_cmpx_ne_u64_e32 0x7f800000, v[20:21]
	s_xor_b32 s29, exec_lo, s10
	s_cbranch_execz .LBB4_1651
; %bb.1638:                             ;   in Loop: Header=BB4_129 Depth=2
	v_and_b32_e32 v20, 0x7fffffff, v100
	v_mov_b32_e32 v21, v39
	v_and_b32_e32 v2, 0x80, v2
                                        ; implicit-def: $vgpr59
	s_mov_b32 s10, exec_lo
	s_delay_alu instid0(VALU_DEP_2)
	v_cmpx_gt_u64_e32 0x47600001, v[20:21]
	s_xor_b32 s40, exec_lo, s10
	s_cbranch_execz .LBB4_1648
; %bb.1639:                             ;   in Loop: Header=BB4_129 Depth=2
	v_mov_b32_e32 v59, 0
	s_mov_b32 s41, exec_lo
	v_cmpx_ne_u32_e32 0, v100
	s_cbranch_execz .LBB4_1647
; %bb.1640:                             ;   in Loop: Header=BB4_129 Depth=2
	v_bfe_u32 v20, v100, 23, 8
	v_or_b32_e32 v31, 0x800000, v14
	s_delay_alu instid0(VALU_DEP_2) | instskip(SKIP_1) | instid1(VALU_DEP_2)
	v_sub_nc_u32_e32 v21, 0x71, v20
	v_cmp_gt_u32_e32 vcc_lo, 0x72, v20
	v_cndmask_b32_e32 v21, 0, v21, vcc_lo
	v_cmp_eq_u32_e32 vcc_lo, 0, v20
	s_delay_alu instid0(VALU_DEP_2) | instskip(NEXT) | instid1(VALU_DEP_1)
	v_cndmask_b32_e64 v21, v21, 0x70, vcc_lo
	v_dual_cndmask_b32 v14, v31, v14, vcc_lo :: v_dual_add_nc_u32 v24, 21, v21
	v_add_nc_u32_e32 v100, 20, v21
	s_delay_alu instid0(VALU_DEP_2) | instskip(NEXT) | instid1(VALU_DEP_2)
	v_lshlrev_b64_e64 v[24:25], v24, -1
	v_lshlrev_b64_e64 v[100:101], v100, 1
	s_delay_alu instid0(VALU_DEP_2) | instskip(SKIP_1) | instid1(VALU_DEP_4)
	v_bfi_b32 v24, v24, 0, v14
	v_lshrrev_b64 v[14:15], v21, v[14:15]
	v_bfi_b32 v25, v25, 0, 0
	s_delay_alu instid0(VALU_DEP_1) | instskip(NEXT) | instid1(VALU_DEP_3)
	v_cmp_eq_u64_e64 s10, v[24:25], v[100:101]
	v_mov_b64_e32 v[100:101], v[14:15]
	s_and_saveexec_b32 s42, s10
; %bb.1641:                             ;   in Loop: Header=BB4_129 Depth=2
	v_bfe_u32 v24, v14, 21, 1
	v_mov_b32_e32 v25, v39
	s_delay_alu instid0(VALU_DEP_1) | instskip(NEXT) | instid1(VALU_DEP_1)
	v_add_nc_u64_e32 v[24:25], v[14:15], v[24:25]
	v_add_nc_u64_e32 v[100:101], -1, v[24:25]
; %bb.1642:                             ;   in Loop: Header=BB4_129 Depth=2
	s_or_b32 exec_lo, exec_lo, s42
	v_add_nc_u32_e32 v15, 0xffffff81, v20
	v_lshrrev_b32_e32 v20, 23, v14
	s_mov_b32 s10, exec_lo
	s_delay_alu instid0(VALU_DEP_2) | instskip(NEXT) | instid1(VALU_DEP_1)
	v_cndmask_b32_e64 v15, v15, 0xffffff82, vcc_lo
	v_add3_u32 v21, v21, v15, v20
	v_and_b32_e32 v15, 0x1fffff, v100
                                        ; implicit-def: $vgpr20
	s_delay_alu instid0(VALU_DEP_1) | instskip(SKIP_1) | instid1(VALU_DEP_2)
	v_dual_add_nc_u32 v100, 14, v21 :: v_dual_add_nc_u32 v14, v15, v14
	v_mov_b32_e32 v15, v39
	v_cmpx_ne_u32_e32 0, v100
	s_xor_b32 s10, exec_lo, s10
; %bb.1643:                             ;   in Loop: Header=BB4_129 Depth=2
	s_delay_alu instid0(VALU_DEP_2) | instskip(SKIP_2) | instid1(VALU_DEP_2)
	v_cmp_lt_u64_e32 vcc_lo, 0xffffff, v[14:15]
	v_add_nc_u32_e32 v20, 15, v21
	v_cndmask_b32_e64 v21, 0, 1, vcc_lo
	v_cndmask_b32_e32 v20, v100, v20, vcc_lo
	s_delay_alu instid0(VALU_DEP_2)
	v_lshrrev_b64 v[14:15], v21, v[14:15]
; %bb.1644:                             ;   in Loop: Header=BB4_129 Depth=2
	s_and_not1_saveexec_b32 s10, s10
; %bb.1645:                             ;   in Loop: Header=BB4_129 Depth=2
	s_delay_alu instid0(VALU_DEP_1)
	v_bfe_u32 v20, v14, 23, 1
; %bb.1646:                             ;   in Loop: Header=BB4_129 Depth=2
	s_or_b32 exec_lo, exec_lo, s10
	s_delay_alu instid0(VALU_DEP_2) | instskip(NEXT) | instid1(VALU_DEP_2)
	v_lshrrev_b64 v[14:15], 21, v[14:15]
	v_cmp_gt_i32_e32 vcc_lo, 32, v20
	v_min_i32_e32 v21, 31, v20
	v_cmp_eq_u32_e64 s10, 0, v20
	s_delay_alu instid0(VALU_DEP_2) | instskip(SKIP_1) | instid1(VALU_DEP_2)
	v_dual_cndmask_b32 v15, 0, v15, vcc_lo :: v_dual_lshlrev_b32 v21, 2, v21
	v_cndmask_b32_e32 v14, 3, v14, vcc_lo
	v_and_b32_e32 v21, 0xfc, v21
	s_delay_alu instid0(VALU_DEP_2) | instskip(NEXT) | instid1(VALU_DEP_2)
	v_cmp_eq_u64_e32 vcc_lo, 0, v[14:15]
	v_and_or_b32 v14, v14, 3, v21
	s_and_b32 s10, s10, vcc_lo
	s_delay_alu instid0(VALU_DEP_1) | instid1(SALU_CYCLE_1)
	v_cndmask_b32_e64 v14, v14, 0, s10
	s_delay_alu instid0(VALU_DEP_1)
	v_or_b32_e32 v59, v14, v2
.LBB4_1647:                             ;   in Loop: Header=BB4_129 Depth=2
	s_or_b32 exec_lo, exec_lo, s41
                                        ; implicit-def: $vgpr2
.LBB4_1648:                             ;   in Loop: Header=BB4_129 Depth=2
	s_and_not1_saveexec_b32 s10, s40
; %bb.1649:                             ;   in Loop: Header=BB4_129 Depth=2
	v_or_b32_e32 v59, 0x7b, v2
; %bb.1650:                             ;   in Loop: Header=BB4_129 Depth=2
	s_or_b32 exec_lo, exec_lo, s10
                                        ; implicit-def: $vgpr100
                                        ; implicit-def: $vgpr14_vgpr15
                                        ; implicit-def: $vgpr2
.LBB4_1651:                             ;   in Loop: Header=BB4_129 Depth=2
	s_and_not1_saveexec_b32 s10, s29
	s_cbranch_execz .LBB4_1657
; %bb.1652:                             ;   in Loop: Header=BB4_129 Depth=2
	s_mov_b32 s29, exec_lo
                                        ; implicit-def: $vgpr59
	v_cmpx_ne_u64_e32 0, v[14:15]
	s_xor_b32 s29, exec_lo, s29
; %bb.1653:                             ;   in Loop: Header=BB4_129 Depth=2
	v_or_b32_e32 v59, 0x7f, v2
                                        ; implicit-def: $vgpr100
; %bb.1654:                             ;   in Loop: Header=BB4_129 Depth=2
	s_and_not1_saveexec_b32 s29, s29
; %bb.1655:                             ;   in Loop: Header=BB4_129 Depth=2
	v_cmp_lt_i32_e32 vcc_lo, -1, v100
	v_cndmask_b32_e32 v59, 0xfc, v122, vcc_lo
; %bb.1656:                             ;   in Loop: Header=BB4_129 Depth=2
	s_or_b32 exec_lo, exec_lo, s29
.LBB4_1657:                             ;   in Loop: Header=BB4_129 Depth=2
	s_delay_alu instid0(SALU_CYCLE_1) | instskip(SKIP_3) | instid1(VALU_DEP_2)
	s_or_b32 exec_lo, exec_lo, s10
	v_dual_lshrrev_b32 v14, 16, v38 :: v_dual_mov_b32 v2, 0
	v_mov_b32_e32 v15, 0
	s_mov_b32 s10, exec_lo
	v_and_b32_e32 v20, 0xff, v14
	s_delay_alu instid0(VALU_DEP_1)
	v_cmpx_ne_u16_e32 0, v20
	s_cbranch_execz .LBB4_1667
; %bb.1658:                             ;   in Loop: Header=BB4_129 Depth=2
	v_bfrev_b32_e32 v15, 1
	s_mov_b32 s29, exec_lo
	v_cmpx_ne_u16_e32 0x80, v20
	s_cbranch_execz .LBB4_1666
; %bb.1659:                             ;   in Loop: Header=BB4_129 Depth=2
	v_and_b32_e32 v15, 0x7c0000, v38
	v_bfe_u32 v20, v38, 16, 2
	s_delay_alu instid0(VALU_DEP_2) | instskip(SKIP_1) | instid1(SALU_CYCLE_1)
	v_cmp_ne_u32_e32 vcc_lo, 0x7c0000, v15
                                        ; implicit-def: $vgpr15
	s_and_saveexec_b32 s40, vcc_lo
	s_xor_b32 s40, exec_lo, s40
	s_cbranch_execz .LBB4_1663
; %bb.1660:                             ;   in Loop: Header=BB4_129 Depth=2
	v_bfe_u32 v15, v38, 18, 5
	s_mov_b32 s41, exec_lo
	s_delay_alu instid0(VALU_DEP_1)
	v_cmpx_eq_u32_e32 0, v15
; %bb.1661:                             ;   in Loop: Header=BB4_129 Depth=2
	v_clz_i32_u32_e32 v15, v20
	s_delay_alu instid0(VALU_DEP_1) | instskip(NEXT) | instid1(VALU_DEP_1)
	v_min_u32_e32 v15, 32, v15
	v_subrev_nc_u32_e32 v20, 29, v15
	s_delay_alu instid0(VALU_DEP_1) | instskip(NEXT) | instid1(VALU_DEP_1)
	v_lshlrev_b64_e32 v[20:21], v20, v[14:15]
	v_dual_sub_nc_u32 v15, 30, v15 :: v_dual_bitop2_b32 v20, 3, v20 bitop3:0x40
; %bb.1662:                             ;   in Loop: Header=BB4_129 Depth=2
	s_or_b32 exec_lo, exec_lo, s41
	v_lshlrev_b32_e32 v14, 24, v14
	s_delay_alu instid0(VALU_DEP_1) | instskip(NEXT) | instid1(VALU_DEP_1)
	v_and_b32_e32 v14, 0x80000000, v14
	v_lshl_add_u32 v14, v15, 23, v14
	s_delay_alu instid0(VALU_DEP_1) | instskip(NEXT) | instid1(VALU_DEP_1)
	v_lshl_or_b32 v14, v20, 21, v14
                                        ; implicit-def: $vgpr20
	v_add_nc_u32_e32 v15, 0x38000000, v14
                                        ; implicit-def: $vgpr14
.LBB4_1663:                             ;   in Loop: Header=BB4_129 Depth=2
	s_and_not1_saveexec_b32 s40, s40
; %bb.1664:                             ;   in Loop: Header=BB4_129 Depth=2
	v_bfe_i32 v14, v14, 0, 8
	s_delay_alu instid0(VALU_DEP_1) | instskip(SKIP_2) | instid1(VALU_DEP_2)
	v_cmp_lt_i16_e32 vcc_lo, -1, v14
	v_cndmask_b32_e32 v14, 0xff800000, v126, vcc_lo
	v_cmp_eq_u32_e32 vcc_lo, 0, v20
	v_cndmask_b32_e32 v15, 0x7f800001, v14, vcc_lo
; %bb.1665:                             ;   in Loop: Header=BB4_129 Depth=2
	s_or_b32 exec_lo, exec_lo, s40
.LBB4_1666:                             ;   in Loop: Header=BB4_129 Depth=2
	s_delay_alu instid0(SALU_CYCLE_1)
	s_or_b32 exec_lo, exec_lo, s29
.LBB4_1667:                             ;   in Loop: Header=BB4_129 Depth=2
	s_delay_alu instid0(SALU_CYCLE_1) | instskip(SKIP_2) | instid1(VALU_DEP_1)
	s_or_b32 exec_lo, exec_lo, s10
	v_lshrrev_b32_e32 v14, 16, v17
	s_mov_b32 s10, exec_lo
	v_and_b32_e32 v20, 0xff, v14
	s_delay_alu instid0(VALU_DEP_1)
	v_cmpx_ne_u16_e32 0, v20
	s_cbranch_execz .LBB4_1677
; %bb.1668:                             ;   in Loop: Header=BB4_129 Depth=2
	v_bfrev_b32_e32 v2, 1
	s_mov_b32 s29, exec_lo
	v_cmpx_ne_u16_e32 0x80, v20
	s_cbranch_execz .LBB4_1676
; %bb.1669:                             ;   in Loop: Header=BB4_129 Depth=2
	v_and_b32_e32 v2, 0x7c0000, v17
	v_bfe_u32 v20, v17, 16, 2
	s_delay_alu instid0(VALU_DEP_2) | instskip(SKIP_1) | instid1(SALU_CYCLE_1)
	v_cmp_ne_u32_e32 vcc_lo, 0x7c0000, v2
                                        ; implicit-def: $vgpr2
	s_and_saveexec_b32 s40, vcc_lo
	s_xor_b32 s40, exec_lo, s40
	s_cbranch_execz .LBB4_1673
; %bb.1670:                             ;   in Loop: Header=BB4_129 Depth=2
	v_bfe_u32 v2, v17, 18, 5
	s_mov_b32 s41, exec_lo
	s_delay_alu instid0(VALU_DEP_1)
	v_cmpx_eq_u32_e32 0, v2
; %bb.1671:                             ;   in Loop: Header=BB4_129 Depth=2
	v_clz_i32_u32_e32 v2, v20
	s_delay_alu instid0(VALU_DEP_1) | instskip(NEXT) | instid1(VALU_DEP_1)
	v_min_u32_e32 v2, 32, v2
	v_subrev_nc_u32_e32 v20, 29, v2
	s_delay_alu instid0(VALU_DEP_1) | instskip(NEXT) | instid1(VALU_DEP_1)
	v_lshlrev_b64_e32 v[20:21], v20, v[14:15]
	v_dual_sub_nc_u32 v2, 30, v2 :: v_dual_bitop2_b32 v20, 3, v20 bitop3:0x40
; %bb.1672:                             ;   in Loop: Header=BB4_129 Depth=2
	s_or_b32 exec_lo, exec_lo, s41
	v_lshlrev_b32_e32 v14, 24, v14
	s_delay_alu instid0(VALU_DEP_1) | instskip(NEXT) | instid1(VALU_DEP_1)
	v_and_b32_e32 v14, 0x80000000, v14
	v_lshl_add_u32 v2, v2, 23, v14
                                        ; implicit-def: $vgpr14
	s_delay_alu instid0(VALU_DEP_1) | instskip(NEXT) | instid1(VALU_DEP_1)
	v_lshl_or_b32 v2, v20, 21, v2
                                        ; implicit-def: $vgpr20
	v_add_nc_u32_e32 v2, 0x38000000, v2
.LBB4_1673:                             ;   in Loop: Header=BB4_129 Depth=2
	s_and_not1_saveexec_b32 s40, s40
; %bb.1674:                             ;   in Loop: Header=BB4_129 Depth=2
	v_bfe_i32 v2, v14, 0, 8
	s_delay_alu instid0(VALU_DEP_1) | instskip(SKIP_2) | instid1(VALU_DEP_2)
	v_cmp_lt_i16_e32 vcc_lo, -1, v2
	v_cndmask_b32_e32 v2, 0xff800000, v126, vcc_lo
	v_cmp_eq_u32_e32 vcc_lo, 0, v20
	v_cndmask_b32_e32 v2, 0x7f800001, v2, vcc_lo
; %bb.1675:                             ;   in Loop: Header=BB4_129 Depth=2
	s_or_b32 exec_lo, exec_lo, s40
.LBB4_1676:                             ;   in Loop: Header=BB4_129 Depth=2
	s_delay_alu instid0(SALU_CYCLE_1)
	s_or_b32 exec_lo, exec_lo, s29
.LBB4_1677:                             ;   in Loop: Header=BB4_129 Depth=2
	s_delay_alu instid0(SALU_CYCLE_1) | instskip(NEXT) | instid1(VALU_DEP_1)
	s_or_b32 exec_lo, exec_lo, s10
	v_add_f32_e32 v101, v15, v2
	v_dual_mov_b32 v21, v39 :: v_dual_mov_b32 v15, v39
                                        ; implicit-def: $vgpr100
	s_mov_b32 s10, exec_lo
	s_delay_alu instid0(VALU_DEP_2) | instskip(SKIP_2) | instid1(VALU_DEP_3)
	v_and_b32_e32 v20, 0x7f800000, v101
	v_and_b32_e32 v14, 0x7fffff, v101
	v_lshrrev_b32_e32 v2, 24, v101
	v_cmpx_ne_u64_e32 0x7f800000, v[20:21]
	s_xor_b32 s29, exec_lo, s10
	s_cbranch_execz .LBB4_1691
; %bb.1678:                             ;   in Loop: Header=BB4_129 Depth=2
	v_and_b32_e32 v20, 0x7fffffff, v101
	v_mov_b32_e32 v21, v39
	v_and_b32_e32 v2, 0x80, v2
                                        ; implicit-def: $vgpr100
	s_mov_b32 s10, exec_lo
	s_delay_alu instid0(VALU_DEP_2)
	v_cmpx_gt_u64_e32 0x47600001, v[20:21]
	s_xor_b32 s40, exec_lo, s10
	s_cbranch_execz .LBB4_1688
; %bb.1679:                             ;   in Loop: Header=BB4_129 Depth=2
	v_mov_b32_e32 v100, 0
	s_mov_b32 s41, exec_lo
	v_cmpx_ne_u32_e32 0, v101
	s_cbranch_execz .LBB4_1687
; %bb.1680:                             ;   in Loop: Header=BB4_129 Depth=2
	v_bfe_u32 v20, v101, 23, 8
	v_or_b32_e32 v31, 0x800000, v14
	s_delay_alu instid0(VALU_DEP_2) | instskip(SKIP_1) | instid1(VALU_DEP_2)
	v_sub_nc_u32_e32 v21, 0x71, v20
	v_cmp_gt_u32_e32 vcc_lo, 0x72, v20
	v_cndmask_b32_e32 v21, 0, v21, vcc_lo
	v_cmp_eq_u32_e32 vcc_lo, 0, v20
	s_delay_alu instid0(VALU_DEP_2) | instskip(NEXT) | instid1(VALU_DEP_1)
	v_cndmask_b32_e64 v21, v21, 0x70, vcc_lo
	v_dual_cndmask_b32 v14, v31, v14, vcc_lo :: v_dual_add_nc_u32 v24, 21, v21
	v_add_nc_u32_e32 v100, 20, v21
	s_delay_alu instid0(VALU_DEP_2) | instskip(NEXT) | instid1(VALU_DEP_2)
	v_lshlrev_b64_e64 v[24:25], v24, -1
	v_lshlrev_b64_e64 v[100:101], v100, 1
	s_delay_alu instid0(VALU_DEP_2) | instskip(SKIP_1) | instid1(VALU_DEP_4)
	v_bfi_b32 v24, v24, 0, v14
	v_lshrrev_b64 v[14:15], v21, v[14:15]
	v_bfi_b32 v25, v25, 0, 0
	s_delay_alu instid0(VALU_DEP_1) | instskip(NEXT) | instid1(VALU_DEP_3)
	v_cmp_eq_u64_e64 s10, v[24:25], v[100:101]
	v_mov_b64_e32 v[100:101], v[14:15]
	s_and_saveexec_b32 s42, s10
; %bb.1681:                             ;   in Loop: Header=BB4_129 Depth=2
	v_bfe_u32 v24, v14, 21, 1
	v_mov_b32_e32 v25, v39
	s_delay_alu instid0(VALU_DEP_1) | instskip(NEXT) | instid1(VALU_DEP_1)
	v_add_nc_u64_e32 v[24:25], v[14:15], v[24:25]
	v_add_nc_u64_e32 v[100:101], -1, v[24:25]
; %bb.1682:                             ;   in Loop: Header=BB4_129 Depth=2
	s_or_b32 exec_lo, exec_lo, s42
	v_add_nc_u32_e32 v15, 0xffffff81, v20
	v_lshrrev_b32_e32 v20, 23, v14
	s_mov_b32 s10, exec_lo
	s_delay_alu instid0(VALU_DEP_2) | instskip(NEXT) | instid1(VALU_DEP_1)
	v_cndmask_b32_e64 v15, v15, 0xffffff82, vcc_lo
	v_add3_u32 v21, v21, v15, v20
	v_and_b32_e32 v15, 0x1fffff, v100
                                        ; implicit-def: $vgpr20
	s_delay_alu instid0(VALU_DEP_1) | instskip(SKIP_1) | instid1(VALU_DEP_2)
	v_dual_add_nc_u32 v100, 14, v21 :: v_dual_add_nc_u32 v14, v15, v14
	v_mov_b32_e32 v15, v39
	v_cmpx_ne_u32_e32 0, v100
	s_xor_b32 s10, exec_lo, s10
; %bb.1683:                             ;   in Loop: Header=BB4_129 Depth=2
	s_delay_alu instid0(VALU_DEP_2) | instskip(SKIP_2) | instid1(VALU_DEP_2)
	v_cmp_lt_u64_e32 vcc_lo, 0xffffff, v[14:15]
	v_add_nc_u32_e32 v20, 15, v21
	v_cndmask_b32_e64 v21, 0, 1, vcc_lo
	v_cndmask_b32_e32 v20, v100, v20, vcc_lo
	s_delay_alu instid0(VALU_DEP_2)
	v_lshrrev_b64 v[14:15], v21, v[14:15]
; %bb.1684:                             ;   in Loop: Header=BB4_129 Depth=2
	s_and_not1_saveexec_b32 s10, s10
; %bb.1685:                             ;   in Loop: Header=BB4_129 Depth=2
	s_delay_alu instid0(VALU_DEP_1)
	v_bfe_u32 v20, v14, 23, 1
; %bb.1686:                             ;   in Loop: Header=BB4_129 Depth=2
	s_or_b32 exec_lo, exec_lo, s10
	s_delay_alu instid0(VALU_DEP_2) | instskip(NEXT) | instid1(VALU_DEP_2)
	v_lshrrev_b64 v[14:15], 21, v[14:15]
	v_cmp_gt_i32_e32 vcc_lo, 32, v20
	v_min_i32_e32 v21, 31, v20
	v_cmp_eq_u32_e64 s10, 0, v20
	s_delay_alu instid0(VALU_DEP_2) | instskip(SKIP_1) | instid1(VALU_DEP_2)
	v_dual_cndmask_b32 v15, 0, v15, vcc_lo :: v_dual_lshlrev_b32 v21, 2, v21
	v_cndmask_b32_e32 v14, 3, v14, vcc_lo
	v_and_b32_e32 v21, 0xfc, v21
	s_delay_alu instid0(VALU_DEP_2) | instskip(NEXT) | instid1(VALU_DEP_2)
	v_cmp_eq_u64_e32 vcc_lo, 0, v[14:15]
	v_and_or_b32 v14, v14, 3, v21
	s_and_b32 s10, s10, vcc_lo
	s_delay_alu instid0(VALU_DEP_1) | instid1(SALU_CYCLE_1)
	v_cndmask_b32_e64 v14, v14, 0, s10
	s_delay_alu instid0(VALU_DEP_1)
	v_or_b32_e32 v100, v14, v2
.LBB4_1687:                             ;   in Loop: Header=BB4_129 Depth=2
	s_or_b32 exec_lo, exec_lo, s41
                                        ; implicit-def: $vgpr2
.LBB4_1688:                             ;   in Loop: Header=BB4_129 Depth=2
	s_and_not1_saveexec_b32 s10, s40
; %bb.1689:                             ;   in Loop: Header=BB4_129 Depth=2
	v_or_b32_e32 v100, 0x7b, v2
; %bb.1690:                             ;   in Loop: Header=BB4_129 Depth=2
	s_or_b32 exec_lo, exec_lo, s10
                                        ; implicit-def: $vgpr101
                                        ; implicit-def: $vgpr14_vgpr15
                                        ; implicit-def: $vgpr2
.LBB4_1691:                             ;   in Loop: Header=BB4_129 Depth=2
	s_and_not1_saveexec_b32 s10, s29
	s_cbranch_execz .LBB4_1697
; %bb.1692:                             ;   in Loop: Header=BB4_129 Depth=2
	s_mov_b32 s29, exec_lo
                                        ; implicit-def: $vgpr100
	v_cmpx_ne_u64_e32 0, v[14:15]
	s_xor_b32 s29, exec_lo, s29
; %bb.1693:                             ;   in Loop: Header=BB4_129 Depth=2
	v_or_b32_e32 v100, 0x7f, v2
                                        ; implicit-def: $vgpr101
; %bb.1694:                             ;   in Loop: Header=BB4_129 Depth=2
	s_and_not1_saveexec_b32 s29, s29
; %bb.1695:                             ;   in Loop: Header=BB4_129 Depth=2
	v_cmp_lt_i32_e32 vcc_lo, -1, v101
	v_cndmask_b32_e32 v100, 0xfc, v122, vcc_lo
; %bb.1696:                             ;   in Loop: Header=BB4_129 Depth=2
	s_or_b32 exec_lo, exec_lo, s29
.LBB4_1697:                             ;   in Loop: Header=BB4_129 Depth=2
	s_delay_alu instid0(SALU_CYCLE_1)
	s_or_b32 exec_lo, exec_lo, s10
	v_dual_mov_b32 v2, 0 :: v_dual_mov_b32 v15, 0
	s_mov_b32 s10, exec_lo
	v_cmpx_lt_u32_e32 0xffffff, v38
	s_cbranch_execz .LBB4_1707
; %bb.1698:                             ;   in Loop: Header=BB4_129 Depth=2
	v_lshrrev_b32_e32 v14, 24, v38
	v_bfrev_b32_e32 v15, 1
	s_mov_b32 s29, exec_lo
	s_delay_alu instid0(VALU_DEP_2)
	v_cmpx_ne_u32_e32 0x80, v14
	s_cbranch_execz .LBB4_1706
; %bb.1699:                             ;   in Loop: Header=BB4_129 Depth=2
	v_and_b32_e32 v15, 0x7c000000, v38
	v_bfe_u32 v20, v38, 24, 2
	s_delay_alu instid0(VALU_DEP_2) | instskip(SKIP_1) | instid1(SALU_CYCLE_1)
	v_cmp_ne_u32_e32 vcc_lo, 0x7c000000, v15
                                        ; implicit-def: $vgpr15
	s_and_saveexec_b32 s40, vcc_lo
	s_xor_b32 s40, exec_lo, s40
	s_cbranch_execz .LBB4_1703
; %bb.1700:                             ;   in Loop: Header=BB4_129 Depth=2
	v_bfe_u32 v15, v38, 26, 5
	s_mov_b32 s41, exec_lo
	s_delay_alu instid0(VALU_DEP_1)
	v_cmpx_eq_u32_e32 0, v15
; %bb.1701:                             ;   in Loop: Header=BB4_129 Depth=2
	v_clz_i32_u32_e32 v15, v20
	s_delay_alu instid0(VALU_DEP_1) | instskip(NEXT) | instid1(VALU_DEP_1)
	v_min_u32_e32 v20, 32, v15
	v_subrev_nc_u32_e32 v15, 29, v20
	s_delay_alu instid0(VALU_DEP_1) | instskip(NEXT) | instid1(VALU_DEP_1)
	v_lshlrev_b64_e32 v[14:15], v15, v[14:15]
	v_dual_sub_nc_u32 v15, 30, v20 :: v_dual_bitop2_b32 v20, 3, v14 bitop3:0x40
; %bb.1702:                             ;   in Loop: Header=BB4_129 Depth=2
	s_or_b32 exec_lo, exec_lo, s41
	v_and_b32_e32 v14, 0x80000000, v38
	s_delay_alu instid0(VALU_DEP_1) | instskip(NEXT) | instid1(VALU_DEP_1)
	v_lshl_add_u32 v14, v15, 23, v14
	v_lshl_or_b32 v14, v20, 21, v14
                                        ; implicit-def: $vgpr20
	s_delay_alu instid0(VALU_DEP_1)
	v_add_nc_u32_e32 v15, 0x38000000, v14
.LBB4_1703:                             ;   in Loop: Header=BB4_129 Depth=2
	s_and_not1_saveexec_b32 s40, s40
; %bb.1704:                             ;   in Loop: Header=BB4_129 Depth=2
	v_cmp_lt_i32_e32 vcc_lo, -1, v38
	v_cndmask_b32_e32 v14, 0xff800000, v126, vcc_lo
	v_cmp_eq_u32_e32 vcc_lo, 0, v20
	s_delay_alu instid0(VALU_DEP_2)
	v_cndmask_b32_e32 v15, 0x7f800001, v14, vcc_lo
; %bb.1705:                             ;   in Loop: Header=BB4_129 Depth=2
	s_or_b32 exec_lo, exec_lo, s40
.LBB4_1706:                             ;   in Loop: Header=BB4_129 Depth=2
	s_delay_alu instid0(SALU_CYCLE_1)
	s_or_b32 exec_lo, exec_lo, s29
.LBB4_1707:                             ;   in Loop: Header=BB4_129 Depth=2
	s_delay_alu instid0(SALU_CYCLE_1) | instskip(NEXT) | instid1(SALU_CYCLE_1)
	s_or_b32 exec_lo, exec_lo, s10
	s_mov_b32 s10, exec_lo
	v_cmpx_lt_u64_e64 s[12:13], v[16:17]
	s_cbranch_execz .LBB4_1717
; %bb.1708:                             ;   in Loop: Header=BB4_129 Depth=2
	v_lshrrev_b32_e32 v14, 24, v17
	v_bfrev_b32_e32 v2, 1
	s_mov_b32 s29, exec_lo
	s_delay_alu instid0(VALU_DEP_2)
	v_cmpx_ne_u32_e32 0x80, v14
	s_cbranch_execz .LBB4_1716
; %bb.1709:                             ;   in Loop: Header=BB4_129 Depth=2
	v_and_b32_e32 v2, 0x7c000000, v17
	v_bfe_u32 v20, v17, 24, 2
	s_delay_alu instid0(VALU_DEP_2) | instskip(SKIP_1) | instid1(SALU_CYCLE_1)
	v_cmp_ne_u32_e32 vcc_lo, 0x7c000000, v2
                                        ; implicit-def: $vgpr2
	s_and_saveexec_b32 s40, vcc_lo
	s_xor_b32 s40, exec_lo, s40
	s_cbranch_execz .LBB4_1713
; %bb.1710:                             ;   in Loop: Header=BB4_129 Depth=2
	v_bfe_u32 v2, v17, 26, 5
	s_mov_b32 s41, exec_lo
	s_delay_alu instid0(VALU_DEP_1)
	v_cmpx_eq_u32_e32 0, v2
; %bb.1711:                             ;   in Loop: Header=BB4_129 Depth=2
	v_clz_i32_u32_e32 v2, v20
	s_delay_alu instid0(VALU_DEP_1) | instskip(NEXT) | instid1(VALU_DEP_1)
	v_min_u32_e32 v2, 32, v2
	v_subrev_nc_u32_e32 v16, 29, v2
	s_delay_alu instid0(VALU_DEP_1) | instskip(NEXT) | instid1(VALU_DEP_1)
	v_lshlrev_b64_e32 v[20:21], v16, v[14:15]
	v_dual_sub_nc_u32 v2, 30, v2 :: v_dual_bitop2_b32 v20, 3, v20 bitop3:0x40
; %bb.1712:                             ;   in Loop: Header=BB4_129 Depth=2
	s_or_b32 exec_lo, exec_lo, s41
	v_and_b32_e32 v14, 0x80000000, v17
                                        ; implicit-def: $vgpr16_vgpr17
	s_delay_alu instid0(VALU_DEP_1) | instskip(NEXT) | instid1(VALU_DEP_1)
	v_lshl_add_u32 v2, v2, 23, v14
	v_lshl_or_b32 v2, v20, 21, v2
                                        ; implicit-def: $vgpr20
	s_delay_alu instid0(VALU_DEP_1)
	v_add_nc_u32_e32 v2, 0x38000000, v2
.LBB4_1713:                             ;   in Loop: Header=BB4_129 Depth=2
	s_and_not1_saveexec_b32 s40, s40
; %bb.1714:                             ;   in Loop: Header=BB4_129 Depth=2
	v_cmp_lt_i64_e32 vcc_lo, -1, v[16:17]
	v_cndmask_b32_e32 v2, 0xff800000, v126, vcc_lo
	v_cmp_eq_u32_e32 vcc_lo, 0, v20
	s_delay_alu instid0(VALU_DEP_2)
	v_cndmask_b32_e32 v2, 0x7f800001, v2, vcc_lo
; %bb.1715:                             ;   in Loop: Header=BB4_129 Depth=2
	s_or_b32 exec_lo, exec_lo, s40
.LBB4_1716:                             ;   in Loop: Header=BB4_129 Depth=2
	s_delay_alu instid0(SALU_CYCLE_1)
	s_or_b32 exec_lo, exec_lo, s29
.LBB4_1717:                             ;   in Loop: Header=BB4_129 Depth=2
	s_delay_alu instid0(SALU_CYCLE_1) | instskip(NEXT) | instid1(VALU_DEP_1)
	s_or_b32 exec_lo, exec_lo, s10
	v_add_f32_e32 v14, v15, v2
	v_mov_b32_e32 v17, v39
                                        ; implicit-def: $vgpr101
	s_mov_b32 s10, exec_lo
	s_delay_alu instid0(VALU_DEP_2) | instskip(SKIP_2) | instid1(VALU_DEP_3)
	v_and_b32_e32 v16, 0x7f800000, v14
	v_and_b32_e32 v38, 0x7fffff, v14
	v_lshrrev_b32_e32 v2, 24, v14
	v_cmpx_ne_u64_e32 0x7f800000, v[16:17]
	s_xor_b32 s29, exec_lo, s10
	s_cbranch_execz .LBB4_1731
; %bb.1718:                             ;   in Loop: Header=BB4_129 Depth=2
	v_and_b32_e32 v16, 0x7fffffff, v14
	v_mov_b32_e32 v17, v39
	v_and_b32_e32 v2, 0x80, v2
                                        ; implicit-def: $vgpr101
	s_mov_b32 s10, exec_lo
	s_delay_alu instid0(VALU_DEP_2)
	v_cmpx_gt_u64_e32 0x47600001, v[16:17]
	s_xor_b32 s40, exec_lo, s10
	s_cbranch_execz .LBB4_1728
; %bb.1719:                             ;   in Loop: Header=BB4_129 Depth=2
	v_mov_b32_e32 v101, 0
	s_mov_b32 s41, exec_lo
	v_cmpx_ne_u32_e32 0, v14
	s_cbranch_execz .LBB4_1727
; %bb.1720:                             ;   in Loop: Header=BB4_129 Depth=2
	v_bfe_u32 v20, v14, 23, 8
	v_or_b32_e32 v16, 0x800000, v38
	s_mov_b32 s42, exec_lo
	s_delay_alu instid0(VALU_DEP_2) | instskip(SKIP_1) | instid1(VALU_DEP_2)
	v_dual_mov_b32 v17, v39 :: v_dual_sub_nc_u32 v14, 0x71, v20
	v_cmp_gt_u32_e32 vcc_lo, 0x72, v20
	v_cndmask_b32_e32 v14, 0, v14, vcc_lo
	v_cmp_eq_u32_e32 vcc_lo, 0, v20
	s_delay_alu instid0(VALU_DEP_2) | instskip(NEXT) | instid1(VALU_DEP_1)
	v_cndmask_b32_e64 v21, v14, 0x70, vcc_lo
	v_dual_cndmask_b32 v16, v16, v38, vcc_lo :: v_dual_add_nc_u32 v14, 21, v21
	v_add_nc_u32_e32 v24, 20, v21
	s_delay_alu instid0(VALU_DEP_2) | instskip(NEXT) | instid1(VALU_DEP_2)
	v_lshlrev_b64_e64 v[14:15], v14, -1
	v_lshlrev_b64_e64 v[24:25], v24, 1
	s_delay_alu instid0(VALU_DEP_2) | instskip(NEXT) | instid1(VALU_DEP_3)
	v_bfi_b32 v75, v15, 0, 0
	v_bfi_b32 v74, v14, 0, v16
	v_lshrrev_b64 v[14:15], v21, v[16:17]
	s_delay_alu instid0(VALU_DEP_1) | instskip(NEXT) | instid1(VALU_DEP_3)
	v_mov_b64_e32 v[16:17], v[14:15]
	v_cmpx_eq_u64_e64 v[74:75], v[24:25]
; %bb.1721:                             ;   in Loop: Header=BB4_129 Depth=2
	v_bfe_u32 v16, v14, 21, 1
	v_mov_b32_e32 v17, v39
	s_delay_alu instid0(VALU_DEP_1) | instskip(NEXT) | instid1(VALU_DEP_1)
	v_add_nc_u64_e32 v[16:17], v[14:15], v[16:17]
	v_add_nc_u64_e32 v[16:17], -1, v[16:17]
; %bb.1722:                             ;   in Loop: Header=BB4_129 Depth=2
	s_or_b32 exec_lo, exec_lo, s42
	v_add_nc_u32_e32 v15, 0xffffff81, v20
	v_lshrrev_b32_e32 v17, 23, v14
	s_mov_b32 s10, exec_lo
	s_delay_alu instid0(VALU_DEP_2) | instskip(NEXT) | instid1(VALU_DEP_1)
	v_cndmask_b32_e64 v15, v15, 0xffffff82, vcc_lo
	v_add3_u32 v17, v21, v15, v17
	v_and_b32_e32 v15, 0x1fffff, v16
                                        ; implicit-def: $vgpr16
	s_delay_alu instid0(VALU_DEP_1) | instskip(NEXT) | instid1(VALU_DEP_1)
	v_dual_add_nc_u32 v20, 14, v17 :: v_dual_add_nc_u32 v38, v15, v14
                                        ; implicit-def: $vgpr14_vgpr15
	v_cmpx_ne_u32_e32 0, v20
	s_xor_b32 s10, exec_lo, s10
; %bb.1723:                             ;   in Loop: Header=BB4_129 Depth=2
	s_delay_alu instid0(VALU_DEP_2) | instskip(SKIP_1) | instid1(VALU_DEP_1)
	v_cmp_lt_u64_e32 vcc_lo, 0xffffff, v[38:39]
	v_add_nc_u32_e32 v14, 15, v17
	v_cndmask_b32_e32 v16, v20, v14, vcc_lo
	v_cndmask_b32_e64 v14, 0, 1, vcc_lo
	s_delay_alu instid0(VALU_DEP_1)
	v_lshrrev_b64 v[14:15], v14, v[38:39]
; %bb.1724:                             ;   in Loop: Header=BB4_129 Depth=2
	s_and_not1_saveexec_b32 s10, s10
; %bb.1725:                             ;   in Loop: Header=BB4_129 Depth=2
	v_mov_b64_e32 v[14:15], v[38:39]
	v_bfe_u32 v16, v38, 23, 1
; %bb.1726:                             ;   in Loop: Header=BB4_129 Depth=2
	s_or_b32 exec_lo, exec_lo, s10
	s_delay_alu instid0(VALU_DEP_2) | instskip(NEXT) | instid1(VALU_DEP_2)
	v_lshrrev_b64 v[14:15], 21, v[14:15]
	v_cmp_gt_i32_e32 vcc_lo, 32, v16
	v_min_i32_e32 v17, 31, v16
	v_cmp_eq_u32_e64 s10, 0, v16
	s_delay_alu instid0(VALU_DEP_2) | instskip(SKIP_1) | instid1(VALU_DEP_2)
	v_dual_cndmask_b32 v15, 0, v15, vcc_lo :: v_dual_lshlrev_b32 v17, 2, v17
	v_cndmask_b32_e32 v14, 3, v14, vcc_lo
	v_and_b32_e32 v17, 0xfc, v17
	s_delay_alu instid0(VALU_DEP_2) | instskip(NEXT) | instid1(VALU_DEP_2)
	v_cmp_eq_u64_e32 vcc_lo, 0, v[14:15]
	v_and_or_b32 v14, v14, 3, v17
	s_and_b32 s10, s10, vcc_lo
	s_delay_alu instid0(VALU_DEP_1) | instid1(SALU_CYCLE_1)
	v_cndmask_b32_e64 v14, v14, 0, s10
	s_delay_alu instid0(VALU_DEP_1)
	v_or_b32_e32 v101, v14, v2
.LBB4_1727:                             ;   in Loop: Header=BB4_129 Depth=2
	s_or_b32 exec_lo, exec_lo, s41
                                        ; implicit-def: $vgpr2
.LBB4_1728:                             ;   in Loop: Header=BB4_129 Depth=2
	s_and_not1_saveexec_b32 s10, s40
; %bb.1729:                             ;   in Loop: Header=BB4_129 Depth=2
	v_or_b32_e32 v101, 0x7b, v2
; %bb.1730:                             ;   in Loop: Header=BB4_129 Depth=2
	s_or_b32 exec_lo, exec_lo, s10
                                        ; implicit-def: $vgpr14
                                        ; implicit-def: $vgpr2
.LBB4_1731:                             ;   in Loop: Header=BB4_129 Depth=2
	s_and_not1_saveexec_b32 s10, s29
	s_cbranch_execz .LBB4_1737
; %bb.1732:                             ;   in Loop: Header=BB4_129 Depth=2
	s_mov_b32 s29, exec_lo
                                        ; implicit-def: $vgpr101
	v_cmpx_ne_u64_e32 0, v[38:39]
	s_xor_b32 s29, exec_lo, s29
; %bb.1733:                             ;   in Loop: Header=BB4_129 Depth=2
	v_or_b32_e32 v101, 0x7f, v2
                                        ; implicit-def: $vgpr14
; %bb.1734:                             ;   in Loop: Header=BB4_129 Depth=2
	s_and_not1_saveexec_b32 s29, s29
; %bb.1735:                             ;   in Loop: Header=BB4_129 Depth=2
	v_cmp_lt_i32_e32 vcc_lo, -1, v14
	v_cndmask_b32_e32 v101, 0xfc, v122, vcc_lo
; %bb.1736:                             ;   in Loop: Header=BB4_129 Depth=2
	s_or_b32 exec_lo, exec_lo, s29
.LBB4_1737:                             ;   in Loop: Header=BB4_129 Depth=2
	s_delay_alu instid0(SALU_CYCLE_1) | instskip(SKIP_4) | instid1(VALU_DEP_1)
	s_or_b32 exec_lo, exec_lo, s10
	v_lshl_or_b32 v2, v47, 8, v41
	v_dual_mov_b32 v14, 0 :: v_dual_lshlrev_b32 v15, 16, v57
	v_lshlrev_b32_e32 v16, 24, v61
	s_mov_b32 s10, exec_lo
	v_or3_b32 v38, v15, v16, v2
	v_mov_b32_e32 v15, 0
	v_cmpx_ne_u32_e32 0, v41
	s_cbranch_execz .LBB4_1747
; %bb.1738:                             ;   in Loop: Header=BB4_129 Depth=2
	v_bfrev_b32_e32 v15, 1
	s_mov_b32 s29, exec_lo
	v_cmpx_ne_u32_e32 0x80, v41
	s_cbranch_execz .LBB4_1746
; %bb.1739:                             ;   in Loop: Header=BB4_129 Depth=2
	v_and_b32_e32 v15, 0x7c, v41
	v_and_b32_e32 v16, 3, v41
	s_delay_alu instid0(VALU_DEP_2) | instskip(SKIP_1) | instid1(SALU_CYCLE_1)
	v_cmp_ne_u32_e32 vcc_lo, 0x7c, v15
                                        ; implicit-def: $vgpr15
	s_and_saveexec_b32 s40, vcc_lo
	s_xor_b32 s40, exec_lo, s40
	s_cbranch_execz .LBB4_1743
; %bb.1740:                             ;   in Loop: Header=BB4_129 Depth=2
	v_bfe_u32 v15, v41, 2, 5
	s_mov_b32 s41, exec_lo
	s_delay_alu instid0(VALU_DEP_1)
	v_cmpx_eq_u32_e32 0, v15
; %bb.1741:                             ;   in Loop: Header=BB4_129 Depth=2
	v_clz_i32_u32_e32 v15, v16
	s_delay_alu instid0(VALU_DEP_1) | instskip(NEXT) | instid1(VALU_DEP_1)
	v_min_u32_e32 v15, 32, v15
	v_subrev_nc_u32_e32 v16, 29, v15
	s_delay_alu instid0(VALU_DEP_1) | instskip(NEXT) | instid1(VALU_DEP_1)
	v_lshlrev_b64_e32 v[16:17], v16, v[38:39]
	v_dual_sub_nc_u32 v15, 30, v15 :: v_dual_bitop2_b32 v16, 3, v16 bitop3:0x40
; %bb.1742:                             ;   in Loop: Header=BB4_129 Depth=2
	s_or_b32 exec_lo, exec_lo, s41
	v_lshlrev_b32_e32 v17, 24, v41
                                        ; implicit-def: $vgpr41
	s_delay_alu instid0(VALU_DEP_1) | instskip(NEXT) | instid1(VALU_DEP_1)
	v_and_b32_e32 v17, 0x80000000, v17
	v_lshl_add_u32 v15, v15, 23, v17
	s_delay_alu instid0(VALU_DEP_1) | instskip(NEXT) | instid1(VALU_DEP_1)
	v_lshl_or_b32 v15, v16, 21, v15
                                        ; implicit-def: $vgpr16
	v_add_nc_u32_e32 v15, 0x38000000, v15
.LBB4_1743:                             ;   in Loop: Header=BB4_129 Depth=2
	s_and_not1_saveexec_b32 s40, s40
; %bb.1744:                             ;   in Loop: Header=BB4_129 Depth=2
	v_and_b32_e32 v15, 0x80, v41
	s_delay_alu instid0(VALU_DEP_1) | instskip(SKIP_2) | instid1(VALU_DEP_2)
	v_cmp_eq_u32_e32 vcc_lo, 0, v15
	v_cndmask_b32_e32 v15, 0xff800000, v126, vcc_lo
	v_cmp_eq_u32_e32 vcc_lo, 0, v16
	v_cndmask_b32_e32 v15, 0x7f800001, v15, vcc_lo
; %bb.1745:                             ;   in Loop: Header=BB4_129 Depth=2
	s_or_b32 exec_lo, exec_lo, s40
.LBB4_1746:                             ;   in Loop: Header=BB4_129 Depth=2
	s_delay_alu instid0(SALU_CYCLE_1)
	s_or_b32 exec_lo, exec_lo, s29
.LBB4_1747:                             ;   in Loop: Header=BB4_129 Depth=2
	s_delay_alu instid0(SALU_CYCLE_1) | instskip(SKIP_3) | instid1(VALU_DEP_1)
	s_or_b32 exec_lo, exec_lo, s10
	s_wait_loadcnt 0x0
	v_and_b32_e32 v16, 0xff, v10
	s_mov_b32 s10, exec_lo
	v_cmpx_ne_u16_e32 0, v16
	s_cbranch_execz .LBB4_1757
; %bb.1748:                             ;   in Loop: Header=BB4_129 Depth=2
	v_bfe_i32 v17, v10, 0, 8
	v_bfrev_b32_e32 v14, 1
	s_mov_b32 s29, exec_lo
	s_delay_alu instid0(VALU_DEP_2)
	v_cmpx_ne_u16_e32 0xff80, v17
	s_cbranch_execz .LBB4_1756
; %bb.1749:                             ;   in Loop: Header=BB4_129 Depth=2
	v_and_b32_e32 v14, 0x7c, v10
	v_and_b32_e32 v16, 3, v10
	s_delay_alu instid0(VALU_DEP_2) | instskip(SKIP_1) | instid1(SALU_CYCLE_1)
	v_cmp_ne_u32_e32 vcc_lo, 0x7c, v14
                                        ; implicit-def: $vgpr14
	s_and_saveexec_b32 s40, vcc_lo
	s_xor_b32 s40, exec_lo, s40
	s_cbranch_execz .LBB4_1753
; %bb.1750:                             ;   in Loop: Header=BB4_129 Depth=2
	v_bfe_u32 v14, v10, 2, 5
	s_mov_b32 s41, exec_lo
	s_delay_alu instid0(VALU_DEP_1)
	v_cmpx_eq_u32_e32 0, v14
; %bb.1751:                             ;   in Loop: Header=BB4_129 Depth=2
	v_clz_i32_u32_e32 v14, v16
	s_delay_alu instid0(VALU_DEP_1) | instskip(NEXT) | instid1(VALU_DEP_1)
	v_min_u32_e32 v14, 32, v14
	v_subrev_nc_u32_e32 v16, 29, v14
	s_delay_alu instid0(VALU_DEP_1) | instskip(NEXT) | instid1(VALU_DEP_1)
	v_lshlrev_b64_e32 v[16:17], v16, v[10:11]
	v_dual_sub_nc_u32 v14, 30, v14 :: v_dual_bitop2_b32 v16, 3, v16 bitop3:0x40
; %bb.1752:                             ;   in Loop: Header=BB4_129 Depth=2
	s_or_b32 exec_lo, exec_lo, s41
	v_lshlrev_b32_e32 v17, 24, v10
	s_delay_alu instid0(VALU_DEP_1) | instskip(NEXT) | instid1(VALU_DEP_1)
	v_and_b32_e32 v17, 0x80000000, v17
	v_lshl_add_u32 v14, v14, 23, v17
                                        ; implicit-def: $vgpr17
	s_delay_alu instid0(VALU_DEP_1) | instskip(NEXT) | instid1(VALU_DEP_1)
	v_lshl_or_b32 v14, v16, 21, v14
                                        ; implicit-def: $vgpr16
	v_add_nc_u32_e32 v14, 0x38000000, v14
.LBB4_1753:                             ;   in Loop: Header=BB4_129 Depth=2
	s_and_not1_saveexec_b32 s40, s40
; %bb.1754:                             ;   in Loop: Header=BB4_129 Depth=2
	v_cmp_lt_i16_e32 vcc_lo, -1, v17
	v_cndmask_b32_e32 v14, 0xff800000, v126, vcc_lo
	v_cmp_eq_u32_e32 vcc_lo, 0, v16
	s_delay_alu instid0(VALU_DEP_2)
	v_cndmask_b32_e32 v14, 0x7f800001, v14, vcc_lo
; %bb.1755:                             ;   in Loop: Header=BB4_129 Depth=2
	s_or_b32 exec_lo, exec_lo, s40
.LBB4_1756:                             ;   in Loop: Header=BB4_129 Depth=2
	s_delay_alu instid0(SALU_CYCLE_1)
	s_or_b32 exec_lo, exec_lo, s29
.LBB4_1757:                             ;   in Loop: Header=BB4_129 Depth=2
	s_delay_alu instid0(SALU_CYCLE_1) | instskip(NEXT) | instid1(VALU_DEP_1)
	s_or_b32 exec_lo, exec_lo, s10
	v_add_f32_e32 v16, v15, v14
	v_dual_mov_b32 v21, v39 :: v_dual_mov_b32 v15, v39
                                        ; implicit-def: $vgpr41
	s_mov_b32 s10, exec_lo
	s_delay_alu instid0(VALU_DEP_2) | instskip(SKIP_2) | instid1(VALU_DEP_3)
	v_and_b32_e32 v20, 0x7f800000, v16
	v_and_b32_e32 v14, 0x7fffff, v16
	v_lshrrev_b32_e32 v17, 24, v16
	v_cmpx_ne_u64_e32 0x7f800000, v[20:21]
	s_xor_b32 s29, exec_lo, s10
	s_cbranch_execz .LBB4_1771
; %bb.1758:                             ;   in Loop: Header=BB4_129 Depth=2
	v_and_b32_e32 v20, 0x7fffffff, v16
	v_mov_b32_e32 v21, v39
	v_and_b32_e32 v47, 0x80, v17
                                        ; implicit-def: $vgpr41
	s_mov_b32 s10, exec_lo
	s_delay_alu instid0(VALU_DEP_2)
	v_cmpx_gt_u64_e32 0x47600001, v[20:21]
	s_xor_b32 s40, exec_lo, s10
	s_cbranch_execz .LBB4_1768
; %bb.1759:                             ;   in Loop: Header=BB4_129 Depth=2
	v_mov_b32_e32 v41, 0
	s_mov_b32 s41, exec_lo
	v_cmpx_ne_u32_e32 0, v16
	s_cbranch_execz .LBB4_1767
; %bb.1760:                             ;   in Loop: Header=BB4_129 Depth=2
	v_bfe_u32 v20, v16, 23, 8
	v_or_b32_e32 v24, 0x800000, v14
	s_delay_alu instid0(VALU_DEP_2) | instskip(SKIP_1) | instid1(VALU_DEP_2)
	v_sub_nc_u32_e32 v16, 0x71, v20
	v_cmp_gt_u32_e32 vcc_lo, 0x72, v20
	v_cndmask_b32_e32 v16, 0, v16, vcc_lo
	v_cmp_eq_u32_e32 vcc_lo, 0, v20
	s_delay_alu instid0(VALU_DEP_2) | instskip(NEXT) | instid1(VALU_DEP_1)
	v_cndmask_b32_e64 v21, v16, 0x70, vcc_lo
	v_dual_cndmask_b32 v14, v24, v14, vcc_lo :: v_dual_add_nc_u32 v16, 21, v21
	v_add_nc_u32_e32 v25, 20, v21
	s_delay_alu instid0(VALU_DEP_2) | instskip(NEXT) | instid1(VALU_DEP_2)
	v_lshlrev_b64_e64 v[16:17], v16, -1
	v_lshlrev_b64_e64 v[24:25], v25, 1
	s_delay_alu instid0(VALU_DEP_2) | instskip(SKIP_1) | instid1(VALU_DEP_4)
	v_bfi_b32 v16, v16, 0, v14
	v_lshrrev_b64 v[14:15], v21, v[14:15]
	v_bfi_b32 v17, v17, 0, 0
	s_delay_alu instid0(VALU_DEP_1) | instskip(NEXT) | instid1(VALU_DEP_3)
	v_cmp_eq_u64_e64 s10, v[16:17], v[24:25]
	v_mov_b64_e32 v[16:17], v[14:15]
	s_and_saveexec_b32 s42, s10
; %bb.1761:                             ;   in Loop: Header=BB4_129 Depth=2
	v_bfe_u32 v16, v14, 21, 1
	v_mov_b32_e32 v17, v39
	s_delay_alu instid0(VALU_DEP_1) | instskip(NEXT) | instid1(VALU_DEP_1)
	v_add_nc_u64_e32 v[16:17], v[14:15], v[16:17]
	v_add_nc_u64_e32 v[16:17], -1, v[16:17]
; %bb.1762:                             ;   in Loop: Header=BB4_129 Depth=2
	s_or_b32 exec_lo, exec_lo, s42
	v_add_nc_u32_e32 v15, 0xffffff81, v20
	v_lshrrev_b32_e32 v17, 23, v14
	s_mov_b32 s10, exec_lo
	s_delay_alu instid0(VALU_DEP_2) | instskip(NEXT) | instid1(VALU_DEP_1)
	v_cndmask_b32_e64 v15, v15, 0xffffff82, vcc_lo
	v_add3_u32 v17, v21, v15, v17
	v_and_b32_e32 v15, 0x1fffff, v16
                                        ; implicit-def: $vgpr16
	s_delay_alu instid0(VALU_DEP_1) | instskip(SKIP_1) | instid1(VALU_DEP_2)
	v_dual_add_nc_u32 v20, 14, v17 :: v_dual_add_nc_u32 v14, v15, v14
	v_mov_b32_e32 v15, v39
	v_cmpx_ne_u32_e32 0, v20
	s_xor_b32 s10, exec_lo, s10
; %bb.1763:                             ;   in Loop: Header=BB4_129 Depth=2
	s_delay_alu instid0(VALU_DEP_2) | instskip(SKIP_2) | instid1(VALU_DEP_2)
	v_cmp_lt_u64_e32 vcc_lo, 0xffffff, v[14:15]
	v_add_nc_u32_e32 v16, 15, v17
	v_cndmask_b32_e64 v17, 0, 1, vcc_lo
	v_cndmask_b32_e32 v16, v20, v16, vcc_lo
	s_delay_alu instid0(VALU_DEP_2)
	v_lshrrev_b64 v[14:15], v17, v[14:15]
; %bb.1764:                             ;   in Loop: Header=BB4_129 Depth=2
	s_and_not1_saveexec_b32 s10, s10
; %bb.1765:                             ;   in Loop: Header=BB4_129 Depth=2
	s_delay_alu instid0(VALU_DEP_1)
	v_bfe_u32 v16, v14, 23, 1
; %bb.1766:                             ;   in Loop: Header=BB4_129 Depth=2
	s_or_b32 exec_lo, exec_lo, s10
	s_delay_alu instid0(VALU_DEP_2) | instskip(NEXT) | instid1(VALU_DEP_2)
	v_lshrrev_b64 v[14:15], 21, v[14:15]
	v_cmp_gt_i32_e32 vcc_lo, 32, v16
	v_min_i32_e32 v17, 31, v16
	v_cmp_eq_u32_e64 s10, 0, v16
	s_delay_alu instid0(VALU_DEP_2) | instskip(SKIP_1) | instid1(VALU_DEP_2)
	v_dual_cndmask_b32 v15, 0, v15, vcc_lo :: v_dual_lshlrev_b32 v17, 2, v17
	v_cndmask_b32_e32 v14, 3, v14, vcc_lo
	v_and_b32_e32 v17, 0xfc, v17
	s_delay_alu instid0(VALU_DEP_2) | instskip(NEXT) | instid1(VALU_DEP_2)
	v_cmp_eq_u64_e32 vcc_lo, 0, v[14:15]
	v_and_or_b32 v14, v14, 3, v17
	s_and_b32 s10, s10, vcc_lo
	s_delay_alu instid0(VALU_DEP_1) | instid1(SALU_CYCLE_1)
	v_cndmask_b32_e64 v14, v14, 0, s10
	s_delay_alu instid0(VALU_DEP_1)
	v_or_b32_e32 v41, v14, v47
.LBB4_1767:                             ;   in Loop: Header=BB4_129 Depth=2
	s_or_b32 exec_lo, exec_lo, s41
                                        ; implicit-def: $vgpr47
.LBB4_1768:                             ;   in Loop: Header=BB4_129 Depth=2
	s_and_not1_saveexec_b32 s10, s40
; %bb.1769:                             ;   in Loop: Header=BB4_129 Depth=2
	v_or_b32_e32 v41, 0x7b, v47
; %bb.1770:                             ;   in Loop: Header=BB4_129 Depth=2
	s_or_b32 exec_lo, exec_lo, s10
                                        ; implicit-def: $vgpr16
                                        ; implicit-def: $vgpr14_vgpr15
                                        ; implicit-def: $vgpr17
.LBB4_1771:                             ;   in Loop: Header=BB4_129 Depth=2
	s_and_not1_saveexec_b32 s10, s29
	s_cbranch_execz .LBB4_1777
; %bb.1772:                             ;   in Loop: Header=BB4_129 Depth=2
	s_mov_b32 s29, exec_lo
                                        ; implicit-def: $vgpr41
	v_cmpx_ne_u64_e32 0, v[14:15]
	s_xor_b32 s29, exec_lo, s29
; %bb.1773:                             ;   in Loop: Header=BB4_129 Depth=2
	v_or_b32_e32 v41, 0x7f, v17
                                        ; implicit-def: $vgpr16
; %bb.1774:                             ;   in Loop: Header=BB4_129 Depth=2
	s_and_not1_saveexec_b32 s29, s29
; %bb.1775:                             ;   in Loop: Header=BB4_129 Depth=2
	v_cmp_lt_i32_e32 vcc_lo, -1, v16
	v_cndmask_b32_e32 v41, 0xfc, v122, vcc_lo
; %bb.1776:                             ;   in Loop: Header=BB4_129 Depth=2
	s_or_b32 exec_lo, exec_lo, s29
.LBB4_1777:                             ;   in Loop: Header=BB4_129 Depth=2
	s_delay_alu instid0(SALU_CYCLE_1) | instskip(SKIP_3) | instid1(VALU_DEP_2)
	s_or_b32 exec_lo, exec_lo, s10
	v_lshrrev_b16 v14, 8, v2
	v_dual_mov_b32 v16, 0 :: v_dual_mov_b32 v17, 0
	s_mov_b32 s10, exec_lo
	v_cmpx_ne_u16_e32 0, v14
	s_cbranch_execz .LBB4_1787
; %bb.1778:                             ;   in Loop: Header=BB4_129 Depth=2
	v_bfrev_b32_e32 v17, 1
	s_mov_b32 s29, exec_lo
	v_cmpx_ne_u16_e32 0x80, v14
	s_cbranch_execz .LBB4_1786
; %bb.1779:                             ;   in Loop: Header=BB4_129 Depth=2
	v_and_b32_e32 v20, 0xffff, v14
	s_delay_alu instid0(VALU_DEP_1) | instskip(SKIP_1) | instid1(VALU_DEP_2)
	v_and_b32_e32 v17, 0x7c, v20
	v_and_b32_e32 v15, 3, v20
	v_cmp_ne_u32_e32 vcc_lo, 0x7c, v17
                                        ; implicit-def: $vgpr17
	s_and_saveexec_b32 s40, vcc_lo
	s_delay_alu instid0(SALU_CYCLE_1)
	s_xor_b32 s40, exec_lo, s40
	s_cbranch_execz .LBB4_1783
; %bb.1780:                             ;   in Loop: Header=BB4_129 Depth=2
	v_bfe_u32 v17, v20, 2, 5
	s_mov_b32 s41, exec_lo
	s_delay_alu instid0(VALU_DEP_1)
	v_cmpx_eq_u32_e32 0, v17
	s_cbranch_execz .LBB4_1782
; %bb.1781:                             ;   in Loop: Header=BB4_129 Depth=2
	v_clz_i32_u32_e32 v15, v15
	s_delay_alu instid0(VALU_DEP_1) | instskip(SKIP_1) | instid1(VALU_DEP_2)
	v_min_u32_e32 v17, 32, v15
	v_mov_b32_e32 v15, v39
	v_subrev_nc_u32_e32 v20, 29, v17
	v_sub_nc_u32_e32 v17, 30, v17
	s_delay_alu instid0(VALU_DEP_2) | instskip(NEXT) | instid1(VALU_DEP_1)
	v_lshlrev_b64_e32 v[14:15], v20, v[14:15]
	v_and_b32_e32 v15, 3, v14
.LBB4_1782:                             ;   in Loop: Header=BB4_129 Depth=2
	s_or_b32 exec_lo, exec_lo, s41
	v_lshlrev_b32_e32 v2, 16, v2
	s_delay_alu instid0(VALU_DEP_1) | instskip(NEXT) | instid1(VALU_DEP_1)
	v_and_b32_e32 v2, 0x80000000, v2
	v_lshl_add_u32 v2, v17, 23, v2
	s_delay_alu instid0(VALU_DEP_1) | instskip(NEXT) | instid1(VALU_DEP_1)
	v_lshl_or_b32 v2, v15, 21, v2
                                        ; implicit-def: $vgpr15
	v_add_nc_u32_e32 v17, 0x38000000, v2
                                        ; implicit-def: $vgpr2
.LBB4_1783:                             ;   in Loop: Header=BB4_129 Depth=2
	s_and_not1_saveexec_b32 s40, s40
; %bb.1784:                             ;   in Loop: Header=BB4_129 Depth=2
	v_cmp_lt_i16_e32 vcc_lo, -1, v2
	v_cndmask_b32_e32 v2, 0xff800000, v126, vcc_lo
	v_cmp_eq_u32_e32 vcc_lo, 0, v15
	s_delay_alu instid0(VALU_DEP_2)
	v_cndmask_b32_e32 v17, 0x7f800001, v2, vcc_lo
; %bb.1785:                             ;   in Loop: Header=BB4_129 Depth=2
	s_or_b32 exec_lo, exec_lo, s40
.LBB4_1786:                             ;   in Loop: Header=BB4_129 Depth=2
	s_delay_alu instid0(SALU_CYCLE_1)
	s_or_b32 exec_lo, exec_lo, s29
.LBB4_1787:                             ;   in Loop: Header=BB4_129 Depth=2
	s_delay_alu instid0(SALU_CYCLE_1) | instskip(SKIP_2) | instid1(VALU_DEP_1)
	s_or_b32 exec_lo, exec_lo, s10
	v_lshrrev_b16 v14, 8, v10
	s_mov_b32 s10, exec_lo
	v_cmpx_ne_u16_e32 0, v14
	s_cbranch_execz .LBB4_1797
; %bb.1788:                             ;   in Loop: Header=BB4_129 Depth=2
	v_bfrev_b32_e32 v16, 1
	s_mov_b32 s29, exec_lo
	v_cmpx_ne_u16_e32 0x80, v14
	s_cbranch_execz .LBB4_1796
; %bb.1789:                             ;   in Loop: Header=BB4_129 Depth=2
	v_and_b32_e32 v15, 0xffff, v14
	s_delay_alu instid0(VALU_DEP_1) | instskip(SKIP_1) | instid1(VALU_DEP_2)
	v_and_b32_e32 v16, 0x7c, v15
	v_and_b32_e32 v2, 3, v15
	v_cmp_ne_u32_e32 vcc_lo, 0x7c, v16
                                        ; implicit-def: $vgpr16
	s_and_saveexec_b32 s40, vcc_lo
	s_delay_alu instid0(SALU_CYCLE_1)
	s_xor_b32 s40, exec_lo, s40
	s_cbranch_execz .LBB4_1793
; %bb.1790:                             ;   in Loop: Header=BB4_129 Depth=2
	v_bfe_u32 v15, v15, 2, 5
	s_mov_b32 s41, exec_lo
	s_delay_alu instid0(VALU_DEP_1)
	v_cmpx_eq_u32_e32 0, v15
	s_cbranch_execz .LBB4_1792
; %bb.1791:                             ;   in Loop: Header=BB4_129 Depth=2
	v_clz_i32_u32_e32 v2, v2
	v_mov_b32_e32 v15, v39
	s_delay_alu instid0(VALU_DEP_2) | instskip(NEXT) | instid1(VALU_DEP_1)
	v_min_u32_e32 v2, 32, v2
	v_subrev_nc_u32_e32 v16, 29, v2
	s_delay_alu instid0(VALU_DEP_1) | instskip(SKIP_1) | instid1(VALU_DEP_2)
	v_lshlrev_b64_e32 v[14:15], v16, v[14:15]
	v_sub_nc_u32_e32 v15, 30, v2
	v_and_b32_e32 v2, 3, v14
.LBB4_1792:                             ;   in Loop: Header=BB4_129 Depth=2
	s_or_b32 exec_lo, exec_lo, s41
	v_lshlrev_b32_e32 v14, 16, v10
	s_delay_alu instid0(VALU_DEP_1) | instskip(NEXT) | instid1(VALU_DEP_1)
	v_and_b32_e32 v14, 0x80000000, v14
	v_lshl_add_u32 v14, v15, 23, v14
	s_delay_alu instid0(VALU_DEP_1) | instskip(NEXT) | instid1(VALU_DEP_1)
	v_lshl_or_b32 v2, v2, 21, v14
	v_add_nc_u32_e32 v16, 0x38000000, v2
                                        ; implicit-def: $vgpr2
.LBB4_1793:                             ;   in Loop: Header=BB4_129 Depth=2
	s_and_not1_saveexec_b32 s40, s40
; %bb.1794:                             ;   in Loop: Header=BB4_129 Depth=2
	v_cmp_lt_i16_e32 vcc_lo, -1, v10
	v_cndmask_b32_e32 v14, 0xff800000, v126, vcc_lo
	v_cmp_eq_u32_e32 vcc_lo, 0, v2
	s_delay_alu instid0(VALU_DEP_2)
	v_cndmask_b32_e32 v16, 0x7f800001, v14, vcc_lo
; %bb.1795:                             ;   in Loop: Header=BB4_129 Depth=2
	s_or_b32 exec_lo, exec_lo, s40
.LBB4_1796:                             ;   in Loop: Header=BB4_129 Depth=2
	s_delay_alu instid0(SALU_CYCLE_1)
	s_or_b32 exec_lo, exec_lo, s29
.LBB4_1797:                             ;   in Loop: Header=BB4_129 Depth=2
	s_delay_alu instid0(SALU_CYCLE_1) | instskip(NEXT) | instid1(VALU_DEP_1)
	s_or_b32 exec_lo, exec_lo, s10
	v_dual_add_f32 v16, v17, v16 :: v_dual_mov_b32 v21, v39
	v_mov_b32_e32 v15, v39
                                        ; implicit-def: $vgpr47
	s_mov_b32 s10, exec_lo
	s_delay_alu instid0(VALU_DEP_2) | instskip(SKIP_2) | instid1(VALU_DEP_3)
	v_and_b32_e32 v20, 0x7f800000, v16
	v_and_b32_e32 v14, 0x7fffff, v16
	v_lshrrev_b32_e32 v2, 24, v16
	v_cmpx_ne_u64_e32 0x7f800000, v[20:21]
	s_xor_b32 s29, exec_lo, s10
	s_cbranch_execz .LBB4_1811
; %bb.1798:                             ;   in Loop: Header=BB4_129 Depth=2
	v_and_b32_e32 v20, 0x7fffffff, v16
	v_mov_b32_e32 v21, v39
	v_and_b32_e32 v2, 0x80, v2
                                        ; implicit-def: $vgpr47
	s_mov_b32 s10, exec_lo
	s_delay_alu instid0(VALU_DEP_2)
	v_cmpx_gt_u64_e32 0x47600001, v[20:21]
	s_xor_b32 s40, exec_lo, s10
	s_cbranch_execz .LBB4_1808
; %bb.1799:                             ;   in Loop: Header=BB4_129 Depth=2
	v_mov_b32_e32 v47, 0
	s_mov_b32 s41, exec_lo
	v_cmpx_ne_u32_e32 0, v16
	s_cbranch_execz .LBB4_1807
; %bb.1800:                             ;   in Loop: Header=BB4_129 Depth=2
	v_bfe_u32 v20, v16, 23, 8
	v_or_b32_e32 v24, 0x800000, v14
	s_delay_alu instid0(VALU_DEP_2) | instskip(SKIP_1) | instid1(VALU_DEP_2)
	v_sub_nc_u32_e32 v16, 0x71, v20
	v_cmp_gt_u32_e32 vcc_lo, 0x72, v20
	v_cndmask_b32_e32 v16, 0, v16, vcc_lo
	v_cmp_eq_u32_e32 vcc_lo, 0, v20
	s_delay_alu instid0(VALU_DEP_2) | instskip(NEXT) | instid1(VALU_DEP_1)
	v_cndmask_b32_e64 v21, v16, 0x70, vcc_lo
	v_dual_cndmask_b32 v14, v24, v14, vcc_lo :: v_dual_add_nc_u32 v16, 21, v21
	v_add_nc_u32_e32 v25, 20, v21
	s_delay_alu instid0(VALU_DEP_2) | instskip(NEXT) | instid1(VALU_DEP_2)
	v_lshlrev_b64_e64 v[16:17], v16, -1
	v_lshlrev_b64_e64 v[24:25], v25, 1
	s_delay_alu instid0(VALU_DEP_2) | instskip(SKIP_1) | instid1(VALU_DEP_4)
	v_bfi_b32 v16, v16, 0, v14
	v_lshrrev_b64 v[14:15], v21, v[14:15]
	v_bfi_b32 v17, v17, 0, 0
	s_delay_alu instid0(VALU_DEP_1) | instskip(NEXT) | instid1(VALU_DEP_3)
	v_cmp_eq_u64_e64 s10, v[16:17], v[24:25]
	v_mov_b64_e32 v[16:17], v[14:15]
	s_and_saveexec_b32 s42, s10
; %bb.1801:                             ;   in Loop: Header=BB4_129 Depth=2
	v_bfe_u32 v16, v14, 21, 1
	v_mov_b32_e32 v17, v39
	s_delay_alu instid0(VALU_DEP_1) | instskip(NEXT) | instid1(VALU_DEP_1)
	v_add_nc_u64_e32 v[16:17], v[14:15], v[16:17]
	v_add_nc_u64_e32 v[16:17], -1, v[16:17]
; %bb.1802:                             ;   in Loop: Header=BB4_129 Depth=2
	s_or_b32 exec_lo, exec_lo, s42
	v_add_nc_u32_e32 v15, 0xffffff81, v20
	v_lshrrev_b32_e32 v17, 23, v14
	s_mov_b32 s10, exec_lo
	s_delay_alu instid0(VALU_DEP_2) | instskip(NEXT) | instid1(VALU_DEP_1)
	v_cndmask_b32_e64 v15, v15, 0xffffff82, vcc_lo
	v_add3_u32 v17, v21, v15, v17
	v_and_b32_e32 v15, 0x1fffff, v16
                                        ; implicit-def: $vgpr16
	s_delay_alu instid0(VALU_DEP_1) | instskip(SKIP_1) | instid1(VALU_DEP_2)
	v_dual_add_nc_u32 v20, 14, v17 :: v_dual_add_nc_u32 v14, v15, v14
	v_mov_b32_e32 v15, v39
	v_cmpx_ne_u32_e32 0, v20
	s_xor_b32 s10, exec_lo, s10
; %bb.1803:                             ;   in Loop: Header=BB4_129 Depth=2
	s_delay_alu instid0(VALU_DEP_2) | instskip(SKIP_2) | instid1(VALU_DEP_2)
	v_cmp_lt_u64_e32 vcc_lo, 0xffffff, v[14:15]
	v_add_nc_u32_e32 v16, 15, v17
	v_cndmask_b32_e64 v17, 0, 1, vcc_lo
	v_cndmask_b32_e32 v16, v20, v16, vcc_lo
	s_delay_alu instid0(VALU_DEP_2)
	v_lshrrev_b64 v[14:15], v17, v[14:15]
; %bb.1804:                             ;   in Loop: Header=BB4_129 Depth=2
	s_and_not1_saveexec_b32 s10, s10
; %bb.1805:                             ;   in Loop: Header=BB4_129 Depth=2
	s_delay_alu instid0(VALU_DEP_1)
	v_bfe_u32 v16, v14, 23, 1
; %bb.1806:                             ;   in Loop: Header=BB4_129 Depth=2
	s_or_b32 exec_lo, exec_lo, s10
	s_delay_alu instid0(VALU_DEP_2) | instskip(NEXT) | instid1(VALU_DEP_2)
	v_lshrrev_b64 v[14:15], 21, v[14:15]
	v_cmp_gt_i32_e32 vcc_lo, 32, v16
	v_min_i32_e32 v17, 31, v16
	v_cmp_eq_u32_e64 s10, 0, v16
	s_delay_alu instid0(VALU_DEP_2) | instskip(SKIP_1) | instid1(VALU_DEP_2)
	v_dual_cndmask_b32 v15, 0, v15, vcc_lo :: v_dual_lshlrev_b32 v17, 2, v17
	v_cndmask_b32_e32 v14, 3, v14, vcc_lo
	v_and_b32_e32 v17, 0xfc, v17
	s_delay_alu instid0(VALU_DEP_2) | instskip(NEXT) | instid1(VALU_DEP_2)
	v_cmp_eq_u64_e32 vcc_lo, 0, v[14:15]
	v_and_or_b32 v14, v14, 3, v17
	s_and_b32 s10, s10, vcc_lo
	s_delay_alu instid0(VALU_DEP_1) | instid1(SALU_CYCLE_1)
	v_cndmask_b32_e64 v14, v14, 0, s10
	s_delay_alu instid0(VALU_DEP_1)
	v_or_b32_e32 v47, v14, v2
.LBB4_1807:                             ;   in Loop: Header=BB4_129 Depth=2
	s_or_b32 exec_lo, exec_lo, s41
                                        ; implicit-def: $vgpr2
.LBB4_1808:                             ;   in Loop: Header=BB4_129 Depth=2
	s_and_not1_saveexec_b32 s10, s40
; %bb.1809:                             ;   in Loop: Header=BB4_129 Depth=2
	v_or_b32_e32 v47, 0x7b, v2
; %bb.1810:                             ;   in Loop: Header=BB4_129 Depth=2
	s_or_b32 exec_lo, exec_lo, s10
                                        ; implicit-def: $vgpr16
                                        ; implicit-def: $vgpr14_vgpr15
                                        ; implicit-def: $vgpr2
.LBB4_1811:                             ;   in Loop: Header=BB4_129 Depth=2
	s_and_not1_saveexec_b32 s10, s29
	s_cbranch_execz .LBB4_1817
; %bb.1812:                             ;   in Loop: Header=BB4_129 Depth=2
	s_mov_b32 s29, exec_lo
                                        ; implicit-def: $vgpr47
	v_cmpx_ne_u64_e32 0, v[14:15]
	s_xor_b32 s29, exec_lo, s29
; %bb.1813:                             ;   in Loop: Header=BB4_129 Depth=2
	v_or_b32_e32 v47, 0x7f, v2
                                        ; implicit-def: $vgpr16
; %bb.1814:                             ;   in Loop: Header=BB4_129 Depth=2
	s_and_not1_saveexec_b32 s29, s29
; %bb.1815:                             ;   in Loop: Header=BB4_129 Depth=2
	v_cmp_lt_i32_e32 vcc_lo, -1, v16
	v_cndmask_b32_e32 v47, 0xfc, v122, vcc_lo
; %bb.1816:                             ;   in Loop: Header=BB4_129 Depth=2
	s_or_b32 exec_lo, exec_lo, s29
.LBB4_1817:                             ;   in Loop: Header=BB4_129 Depth=2
	s_delay_alu instid0(SALU_CYCLE_1) | instskip(SKIP_3) | instid1(VALU_DEP_2)
	s_or_b32 exec_lo, exec_lo, s10
	v_dual_lshrrev_b32 v14, 16, v38 :: v_dual_mov_b32 v2, 0
	v_mov_b32_e32 v15, 0
	s_mov_b32 s10, exec_lo
	v_and_b32_e32 v16, 0xff, v14
	s_delay_alu instid0(VALU_DEP_1)
	v_cmpx_ne_u16_e32 0, v16
	s_cbranch_execz .LBB4_1827
; %bb.1818:                             ;   in Loop: Header=BB4_129 Depth=2
	v_bfrev_b32_e32 v15, 1
	s_mov_b32 s29, exec_lo
	v_cmpx_ne_u16_e32 0x80, v16
	s_cbranch_execz .LBB4_1826
; %bb.1819:                             ;   in Loop: Header=BB4_129 Depth=2
	v_and_b32_e32 v15, 0x7c0000, v38
	v_bfe_u32 v16, v38, 16, 2
	s_delay_alu instid0(VALU_DEP_2) | instskip(SKIP_1) | instid1(SALU_CYCLE_1)
	v_cmp_ne_u32_e32 vcc_lo, 0x7c0000, v15
                                        ; implicit-def: $vgpr15
	s_and_saveexec_b32 s40, vcc_lo
	s_xor_b32 s40, exec_lo, s40
	s_cbranch_execz .LBB4_1823
; %bb.1820:                             ;   in Loop: Header=BB4_129 Depth=2
	v_bfe_u32 v15, v38, 18, 5
	s_mov_b32 s41, exec_lo
	s_delay_alu instid0(VALU_DEP_1)
	v_cmpx_eq_u32_e32 0, v15
; %bb.1821:                             ;   in Loop: Header=BB4_129 Depth=2
	v_clz_i32_u32_e32 v15, v16
	s_delay_alu instid0(VALU_DEP_1) | instskip(NEXT) | instid1(VALU_DEP_1)
	v_min_u32_e32 v15, 32, v15
	v_subrev_nc_u32_e32 v16, 29, v15
	s_delay_alu instid0(VALU_DEP_1) | instskip(NEXT) | instid1(VALU_DEP_1)
	v_lshlrev_b64_e32 v[16:17], v16, v[14:15]
	v_dual_sub_nc_u32 v15, 30, v15 :: v_dual_bitop2_b32 v16, 3, v16 bitop3:0x40
; %bb.1822:                             ;   in Loop: Header=BB4_129 Depth=2
	s_or_b32 exec_lo, exec_lo, s41
	v_lshlrev_b32_e32 v14, 24, v14
	s_delay_alu instid0(VALU_DEP_1) | instskip(NEXT) | instid1(VALU_DEP_1)
	v_and_b32_e32 v14, 0x80000000, v14
	v_lshl_add_u32 v14, v15, 23, v14
	s_delay_alu instid0(VALU_DEP_1) | instskip(NEXT) | instid1(VALU_DEP_1)
	v_lshl_or_b32 v14, v16, 21, v14
                                        ; implicit-def: $vgpr16
	v_add_nc_u32_e32 v15, 0x38000000, v14
                                        ; implicit-def: $vgpr14
.LBB4_1823:                             ;   in Loop: Header=BB4_129 Depth=2
	s_and_not1_saveexec_b32 s40, s40
; %bb.1824:                             ;   in Loop: Header=BB4_129 Depth=2
	v_bfe_i32 v14, v14, 0, 8
	s_delay_alu instid0(VALU_DEP_1) | instskip(SKIP_2) | instid1(VALU_DEP_2)
	v_cmp_lt_i16_e32 vcc_lo, -1, v14
	v_cndmask_b32_e32 v14, 0xff800000, v126, vcc_lo
	v_cmp_eq_u32_e32 vcc_lo, 0, v16
	v_cndmask_b32_e32 v15, 0x7f800001, v14, vcc_lo
; %bb.1825:                             ;   in Loop: Header=BB4_129 Depth=2
	s_or_b32 exec_lo, exec_lo, s40
.LBB4_1826:                             ;   in Loop: Header=BB4_129 Depth=2
	s_delay_alu instid0(SALU_CYCLE_1)
	s_or_b32 exec_lo, exec_lo, s29
.LBB4_1827:                             ;   in Loop: Header=BB4_129 Depth=2
	s_delay_alu instid0(SALU_CYCLE_1) | instskip(SKIP_2) | instid1(VALU_DEP_1)
	s_or_b32 exec_lo, exec_lo, s10
	v_lshrrev_b32_e32 v14, 16, v10
	s_mov_b32 s10, exec_lo
	v_and_b32_e32 v16, 0xff, v14
	s_delay_alu instid0(VALU_DEP_1)
	v_cmpx_ne_u16_e32 0, v16
	s_cbranch_execz .LBB4_1837
; %bb.1828:                             ;   in Loop: Header=BB4_129 Depth=2
	v_bfrev_b32_e32 v2, 1
	s_mov_b32 s29, exec_lo
	v_cmpx_ne_u16_e32 0x80, v16
	s_cbranch_execz .LBB4_1836
; %bb.1829:                             ;   in Loop: Header=BB4_129 Depth=2
	v_and_b32_e32 v2, 0x7c0000, v10
	v_bfe_u32 v16, v10, 16, 2
	s_delay_alu instid0(VALU_DEP_2) | instskip(SKIP_1) | instid1(SALU_CYCLE_1)
	v_cmp_ne_u32_e32 vcc_lo, 0x7c0000, v2
                                        ; implicit-def: $vgpr2
	s_and_saveexec_b32 s40, vcc_lo
	s_xor_b32 s40, exec_lo, s40
	s_cbranch_execz .LBB4_1833
; %bb.1830:                             ;   in Loop: Header=BB4_129 Depth=2
	v_bfe_u32 v2, v10, 18, 5
	s_mov_b32 s41, exec_lo
	s_delay_alu instid0(VALU_DEP_1)
	v_cmpx_eq_u32_e32 0, v2
; %bb.1831:                             ;   in Loop: Header=BB4_129 Depth=2
	v_clz_i32_u32_e32 v2, v16
	s_delay_alu instid0(VALU_DEP_1) | instskip(NEXT) | instid1(VALU_DEP_1)
	v_min_u32_e32 v2, 32, v2
	v_subrev_nc_u32_e32 v16, 29, v2
	s_delay_alu instid0(VALU_DEP_1) | instskip(NEXT) | instid1(VALU_DEP_1)
	v_lshlrev_b64_e32 v[16:17], v16, v[14:15]
	v_dual_sub_nc_u32 v2, 30, v2 :: v_dual_bitop2_b32 v16, 3, v16 bitop3:0x40
; %bb.1832:                             ;   in Loop: Header=BB4_129 Depth=2
	s_or_b32 exec_lo, exec_lo, s41
	v_lshlrev_b32_e32 v14, 24, v14
	s_delay_alu instid0(VALU_DEP_1) | instskip(NEXT) | instid1(VALU_DEP_1)
	v_and_b32_e32 v14, 0x80000000, v14
	v_lshl_add_u32 v2, v2, 23, v14
                                        ; implicit-def: $vgpr14
	s_delay_alu instid0(VALU_DEP_1) | instskip(NEXT) | instid1(VALU_DEP_1)
	v_lshl_or_b32 v2, v16, 21, v2
                                        ; implicit-def: $vgpr16
	v_add_nc_u32_e32 v2, 0x38000000, v2
.LBB4_1833:                             ;   in Loop: Header=BB4_129 Depth=2
	s_and_not1_saveexec_b32 s40, s40
; %bb.1834:                             ;   in Loop: Header=BB4_129 Depth=2
	v_bfe_i32 v2, v14, 0, 8
	s_delay_alu instid0(VALU_DEP_1) | instskip(SKIP_2) | instid1(VALU_DEP_2)
	v_cmp_lt_i16_e32 vcc_lo, -1, v2
	v_cndmask_b32_e32 v2, 0xff800000, v126, vcc_lo
	v_cmp_eq_u32_e32 vcc_lo, 0, v16
	v_cndmask_b32_e32 v2, 0x7f800001, v2, vcc_lo
; %bb.1835:                             ;   in Loop: Header=BB4_129 Depth=2
	s_or_b32 exec_lo, exec_lo, s40
.LBB4_1836:                             ;   in Loop: Header=BB4_129 Depth=2
	s_delay_alu instid0(SALU_CYCLE_1)
	s_or_b32 exec_lo, exec_lo, s29
.LBB4_1837:                             ;   in Loop: Header=BB4_129 Depth=2
	s_delay_alu instid0(SALU_CYCLE_1) | instskip(NEXT) | instid1(VALU_DEP_1)
	s_or_b32 exec_lo, exec_lo, s10
	v_add_f32_e32 v16, v15, v2
	v_dual_mov_b32 v21, v39 :: v_dual_mov_b32 v15, v39
                                        ; implicit-def: $vgpr57
	s_mov_b32 s10, exec_lo
	s_delay_alu instid0(VALU_DEP_2) | instskip(SKIP_2) | instid1(VALU_DEP_3)
	v_and_b32_e32 v20, 0x7f800000, v16
	v_and_b32_e32 v14, 0x7fffff, v16
	v_lshrrev_b32_e32 v2, 24, v16
	v_cmpx_ne_u64_e32 0x7f800000, v[20:21]
	s_xor_b32 s29, exec_lo, s10
	s_cbranch_execz .LBB4_1851
; %bb.1838:                             ;   in Loop: Header=BB4_129 Depth=2
	v_and_b32_e32 v20, 0x7fffffff, v16
	v_mov_b32_e32 v21, v39
	v_and_b32_e32 v2, 0x80, v2
                                        ; implicit-def: $vgpr57
	s_mov_b32 s10, exec_lo
	s_delay_alu instid0(VALU_DEP_2)
	v_cmpx_gt_u64_e32 0x47600001, v[20:21]
	s_xor_b32 s40, exec_lo, s10
	s_cbranch_execz .LBB4_1848
; %bb.1839:                             ;   in Loop: Header=BB4_129 Depth=2
	v_mov_b32_e32 v57, 0
	s_mov_b32 s41, exec_lo
	v_cmpx_ne_u32_e32 0, v16
	s_cbranch_execz .LBB4_1847
; %bb.1840:                             ;   in Loop: Header=BB4_129 Depth=2
	v_bfe_u32 v20, v16, 23, 8
	v_or_b32_e32 v24, 0x800000, v14
	s_delay_alu instid0(VALU_DEP_2) | instskip(SKIP_1) | instid1(VALU_DEP_2)
	v_sub_nc_u32_e32 v16, 0x71, v20
	v_cmp_gt_u32_e32 vcc_lo, 0x72, v20
	v_cndmask_b32_e32 v16, 0, v16, vcc_lo
	v_cmp_eq_u32_e32 vcc_lo, 0, v20
	s_delay_alu instid0(VALU_DEP_2) | instskip(NEXT) | instid1(VALU_DEP_1)
	v_cndmask_b32_e64 v21, v16, 0x70, vcc_lo
	v_dual_cndmask_b32 v14, v24, v14, vcc_lo :: v_dual_add_nc_u32 v16, 21, v21
	v_add_nc_u32_e32 v25, 20, v21
	s_delay_alu instid0(VALU_DEP_2) | instskip(NEXT) | instid1(VALU_DEP_2)
	v_lshlrev_b64_e64 v[16:17], v16, -1
	v_lshlrev_b64_e64 v[24:25], v25, 1
	s_delay_alu instid0(VALU_DEP_2) | instskip(SKIP_1) | instid1(VALU_DEP_4)
	v_bfi_b32 v16, v16, 0, v14
	v_lshrrev_b64 v[14:15], v21, v[14:15]
	v_bfi_b32 v17, v17, 0, 0
	s_delay_alu instid0(VALU_DEP_1) | instskip(NEXT) | instid1(VALU_DEP_3)
	v_cmp_eq_u64_e64 s10, v[16:17], v[24:25]
	v_mov_b64_e32 v[16:17], v[14:15]
	s_and_saveexec_b32 s42, s10
; %bb.1841:                             ;   in Loop: Header=BB4_129 Depth=2
	v_bfe_u32 v16, v14, 21, 1
	v_mov_b32_e32 v17, v39
	s_delay_alu instid0(VALU_DEP_1) | instskip(NEXT) | instid1(VALU_DEP_1)
	v_add_nc_u64_e32 v[16:17], v[14:15], v[16:17]
	v_add_nc_u64_e32 v[16:17], -1, v[16:17]
; %bb.1842:                             ;   in Loop: Header=BB4_129 Depth=2
	s_or_b32 exec_lo, exec_lo, s42
	v_add_nc_u32_e32 v15, 0xffffff81, v20
	v_lshrrev_b32_e32 v17, 23, v14
	s_mov_b32 s10, exec_lo
	s_delay_alu instid0(VALU_DEP_2) | instskip(NEXT) | instid1(VALU_DEP_1)
	v_cndmask_b32_e64 v15, v15, 0xffffff82, vcc_lo
	v_add3_u32 v17, v21, v15, v17
	v_and_b32_e32 v15, 0x1fffff, v16
                                        ; implicit-def: $vgpr16
	s_delay_alu instid0(VALU_DEP_1) | instskip(SKIP_1) | instid1(VALU_DEP_2)
	v_dual_add_nc_u32 v20, 14, v17 :: v_dual_add_nc_u32 v14, v15, v14
	v_mov_b32_e32 v15, v39
	v_cmpx_ne_u32_e32 0, v20
	s_xor_b32 s10, exec_lo, s10
; %bb.1843:                             ;   in Loop: Header=BB4_129 Depth=2
	s_delay_alu instid0(VALU_DEP_2) | instskip(SKIP_2) | instid1(VALU_DEP_2)
	v_cmp_lt_u64_e32 vcc_lo, 0xffffff, v[14:15]
	v_add_nc_u32_e32 v16, 15, v17
	v_cndmask_b32_e64 v17, 0, 1, vcc_lo
	v_cndmask_b32_e32 v16, v20, v16, vcc_lo
	s_delay_alu instid0(VALU_DEP_2)
	v_lshrrev_b64 v[14:15], v17, v[14:15]
; %bb.1844:                             ;   in Loop: Header=BB4_129 Depth=2
	s_and_not1_saveexec_b32 s10, s10
; %bb.1845:                             ;   in Loop: Header=BB4_129 Depth=2
	s_delay_alu instid0(VALU_DEP_1)
	v_bfe_u32 v16, v14, 23, 1
; %bb.1846:                             ;   in Loop: Header=BB4_129 Depth=2
	s_or_b32 exec_lo, exec_lo, s10
	s_delay_alu instid0(VALU_DEP_2) | instskip(NEXT) | instid1(VALU_DEP_2)
	v_lshrrev_b64 v[14:15], 21, v[14:15]
	v_cmp_gt_i32_e32 vcc_lo, 32, v16
	v_min_i32_e32 v17, 31, v16
	v_cmp_eq_u32_e64 s10, 0, v16
	s_delay_alu instid0(VALU_DEP_2) | instskip(SKIP_1) | instid1(VALU_DEP_2)
	v_dual_cndmask_b32 v15, 0, v15, vcc_lo :: v_dual_lshlrev_b32 v17, 2, v17
	v_cndmask_b32_e32 v14, 3, v14, vcc_lo
	v_and_b32_e32 v17, 0xfc, v17
	s_delay_alu instid0(VALU_DEP_2) | instskip(NEXT) | instid1(VALU_DEP_2)
	v_cmp_eq_u64_e32 vcc_lo, 0, v[14:15]
	v_and_or_b32 v14, v14, 3, v17
	s_and_b32 s10, s10, vcc_lo
	s_delay_alu instid0(VALU_DEP_1) | instid1(SALU_CYCLE_1)
	v_cndmask_b32_e64 v14, v14, 0, s10
	s_delay_alu instid0(VALU_DEP_1)
	v_or_b32_e32 v57, v14, v2
.LBB4_1847:                             ;   in Loop: Header=BB4_129 Depth=2
	s_or_b32 exec_lo, exec_lo, s41
                                        ; implicit-def: $vgpr2
.LBB4_1848:                             ;   in Loop: Header=BB4_129 Depth=2
	s_and_not1_saveexec_b32 s10, s40
; %bb.1849:                             ;   in Loop: Header=BB4_129 Depth=2
	v_or_b32_e32 v57, 0x7b, v2
; %bb.1850:                             ;   in Loop: Header=BB4_129 Depth=2
	s_or_b32 exec_lo, exec_lo, s10
                                        ; implicit-def: $vgpr16
                                        ; implicit-def: $vgpr14_vgpr15
                                        ; implicit-def: $vgpr2
.LBB4_1851:                             ;   in Loop: Header=BB4_129 Depth=2
	s_and_not1_saveexec_b32 s10, s29
	s_cbranch_execz .LBB4_1857
; %bb.1852:                             ;   in Loop: Header=BB4_129 Depth=2
	s_mov_b32 s29, exec_lo
                                        ; implicit-def: $vgpr57
	v_cmpx_ne_u64_e32 0, v[14:15]
	s_xor_b32 s29, exec_lo, s29
; %bb.1853:                             ;   in Loop: Header=BB4_129 Depth=2
	v_or_b32_e32 v57, 0x7f, v2
                                        ; implicit-def: $vgpr16
; %bb.1854:                             ;   in Loop: Header=BB4_129 Depth=2
	s_and_not1_saveexec_b32 s29, s29
; %bb.1855:                             ;   in Loop: Header=BB4_129 Depth=2
	v_cmp_lt_i32_e32 vcc_lo, -1, v16
	v_cndmask_b32_e32 v57, 0xfc, v122, vcc_lo
; %bb.1856:                             ;   in Loop: Header=BB4_129 Depth=2
	s_or_b32 exec_lo, exec_lo, s29
.LBB4_1857:                             ;   in Loop: Header=BB4_129 Depth=2
	s_delay_alu instid0(SALU_CYCLE_1)
	s_or_b32 exec_lo, exec_lo, s10
	v_dual_mov_b32 v2, 0 :: v_dual_mov_b32 v15, 0
	s_mov_b32 s10, exec_lo
	v_cmpx_lt_u32_e32 0xffffff, v38
	s_cbranch_execz .LBB4_1867
; %bb.1858:                             ;   in Loop: Header=BB4_129 Depth=2
	v_lshrrev_b32_e32 v14, 24, v38
	v_bfrev_b32_e32 v15, 1
	s_mov_b32 s29, exec_lo
	s_delay_alu instid0(VALU_DEP_2)
	v_cmpx_ne_u32_e32 0x80, v14
	s_cbranch_execz .LBB4_1866
; %bb.1859:                             ;   in Loop: Header=BB4_129 Depth=2
	v_and_b32_e32 v15, 0x7c000000, v38
	v_bfe_u32 v16, v38, 24, 2
	s_delay_alu instid0(VALU_DEP_2) | instskip(SKIP_1) | instid1(SALU_CYCLE_1)
	v_cmp_ne_u32_e32 vcc_lo, 0x7c000000, v15
                                        ; implicit-def: $vgpr15
	s_and_saveexec_b32 s40, vcc_lo
	s_xor_b32 s40, exec_lo, s40
	s_cbranch_execz .LBB4_1863
; %bb.1860:                             ;   in Loop: Header=BB4_129 Depth=2
	v_bfe_u32 v15, v38, 26, 5
	s_mov_b32 s41, exec_lo
	s_delay_alu instid0(VALU_DEP_1)
	v_cmpx_eq_u32_e32 0, v15
; %bb.1861:                             ;   in Loop: Header=BB4_129 Depth=2
	v_clz_i32_u32_e32 v15, v16
	s_delay_alu instid0(VALU_DEP_1) | instskip(NEXT) | instid1(VALU_DEP_1)
	v_min_u32_e32 v16, 32, v15
	v_subrev_nc_u32_e32 v15, 29, v16
	s_delay_alu instid0(VALU_DEP_1) | instskip(NEXT) | instid1(VALU_DEP_1)
	v_lshlrev_b64_e32 v[14:15], v15, v[14:15]
	v_dual_sub_nc_u32 v15, 30, v16 :: v_dual_bitop2_b32 v16, 3, v14 bitop3:0x40
; %bb.1862:                             ;   in Loop: Header=BB4_129 Depth=2
	s_or_b32 exec_lo, exec_lo, s41
	v_and_b32_e32 v14, 0x80000000, v38
	s_delay_alu instid0(VALU_DEP_1) | instskip(NEXT) | instid1(VALU_DEP_1)
	v_lshl_add_u32 v14, v15, 23, v14
	v_lshl_or_b32 v14, v16, 21, v14
                                        ; implicit-def: $vgpr16
	s_delay_alu instid0(VALU_DEP_1)
	v_add_nc_u32_e32 v15, 0x38000000, v14
.LBB4_1863:                             ;   in Loop: Header=BB4_129 Depth=2
	s_and_not1_saveexec_b32 s40, s40
; %bb.1864:                             ;   in Loop: Header=BB4_129 Depth=2
	v_cmp_lt_i32_e32 vcc_lo, -1, v38
	v_cndmask_b32_e32 v14, 0xff800000, v126, vcc_lo
	v_cmp_eq_u32_e32 vcc_lo, 0, v16
	s_delay_alu instid0(VALU_DEP_2)
	v_cndmask_b32_e32 v15, 0x7f800001, v14, vcc_lo
; %bb.1865:                             ;   in Loop: Header=BB4_129 Depth=2
	s_or_b32 exec_lo, exec_lo, s40
.LBB4_1866:                             ;   in Loop: Header=BB4_129 Depth=2
	s_delay_alu instid0(SALU_CYCLE_1)
	s_or_b32 exec_lo, exec_lo, s29
.LBB4_1867:                             ;   in Loop: Header=BB4_129 Depth=2
	s_delay_alu instid0(SALU_CYCLE_1) | instskip(NEXT) | instid1(SALU_CYCLE_1)
	s_or_b32 exec_lo, exec_lo, s10
	s_mov_b32 s10, exec_lo
	v_cmpx_lt_u32_e32 0xffffff, v10
	s_cbranch_execz .LBB4_1877
; %bb.1868:                             ;   in Loop: Header=BB4_129 Depth=2
	v_lshrrev_b32_e32 v14, 24, v10
	v_bfrev_b32_e32 v2, 1
	s_mov_b32 s29, exec_lo
	s_delay_alu instid0(VALU_DEP_2)
	v_cmpx_ne_u32_e32 0x80, v14
	s_cbranch_execz .LBB4_1876
; %bb.1869:                             ;   in Loop: Header=BB4_129 Depth=2
	v_and_b32_e32 v2, 0x7c000000, v10
	v_bfe_u32 v16, v10, 24, 2
	s_delay_alu instid0(VALU_DEP_2) | instskip(SKIP_1) | instid1(SALU_CYCLE_1)
	v_cmp_ne_u32_e32 vcc_lo, 0x7c000000, v2
                                        ; implicit-def: $vgpr2
	s_and_saveexec_b32 s40, vcc_lo
	s_xor_b32 s40, exec_lo, s40
	s_cbranch_execz .LBB4_1873
; %bb.1870:                             ;   in Loop: Header=BB4_129 Depth=2
	v_bfe_u32 v2, v10, 26, 5
	s_mov_b32 s41, exec_lo
	s_delay_alu instid0(VALU_DEP_1)
	v_cmpx_eq_u32_e32 0, v2
; %bb.1871:                             ;   in Loop: Header=BB4_129 Depth=2
	v_clz_i32_u32_e32 v2, v16
	s_delay_alu instid0(VALU_DEP_1) | instskip(NEXT) | instid1(VALU_DEP_1)
	v_min_u32_e32 v2, 32, v2
	v_subrev_nc_u32_e32 v16, 29, v2
	s_delay_alu instid0(VALU_DEP_1) | instskip(NEXT) | instid1(VALU_DEP_1)
	v_lshlrev_b64_e32 v[16:17], v16, v[14:15]
	v_dual_sub_nc_u32 v2, 30, v2 :: v_dual_bitop2_b32 v16, 3, v16 bitop3:0x40
; %bb.1872:                             ;   in Loop: Header=BB4_129 Depth=2
	s_or_b32 exec_lo, exec_lo, s41
	v_and_b32_e32 v14, 0x80000000, v10
	s_delay_alu instid0(VALU_DEP_1) | instskip(NEXT) | instid1(VALU_DEP_1)
	v_lshl_add_u32 v2, v2, 23, v14
	v_lshl_or_b32 v2, v16, 21, v2
                                        ; implicit-def: $vgpr16
	s_delay_alu instid0(VALU_DEP_1)
	v_add_nc_u32_e32 v2, 0x38000000, v2
.LBB4_1873:                             ;   in Loop: Header=BB4_129 Depth=2
	s_and_not1_saveexec_b32 s40, s40
; %bb.1874:                             ;   in Loop: Header=BB4_129 Depth=2
	v_cmp_lt_i32_e32 vcc_lo, -1, v10
	v_cndmask_b32_e32 v2, 0xff800000, v126, vcc_lo
	v_cmp_eq_u32_e32 vcc_lo, 0, v16
	s_delay_alu instid0(VALU_DEP_2)
	v_cndmask_b32_e32 v2, 0x7f800001, v2, vcc_lo
; %bb.1875:                             ;   in Loop: Header=BB4_129 Depth=2
	s_or_b32 exec_lo, exec_lo, s40
.LBB4_1876:                             ;   in Loop: Header=BB4_129 Depth=2
	s_delay_alu instid0(SALU_CYCLE_1)
	s_or_b32 exec_lo, exec_lo, s29
.LBB4_1877:                             ;   in Loop: Header=BB4_129 Depth=2
	s_delay_alu instid0(SALU_CYCLE_1) | instskip(NEXT) | instid1(VALU_DEP_1)
	s_or_b32 exec_lo, exec_lo, s10
	v_add_f32_e32 v14, v15, v2
	v_mov_b32_e32 v17, v39
                                        ; implicit-def: $vgpr61
	s_mov_b32 s10, exec_lo
	s_delay_alu instid0(VALU_DEP_2) | instskip(SKIP_2) | instid1(VALU_DEP_3)
	v_and_b32_e32 v16, 0x7f800000, v14
	v_and_b32_e32 v38, 0x7fffff, v14
	v_lshrrev_b32_e32 v2, 24, v14
	v_cmpx_ne_u64_e32 0x7f800000, v[16:17]
	s_xor_b32 s29, exec_lo, s10
	s_cbranch_execz .LBB4_1891
; %bb.1878:                             ;   in Loop: Header=BB4_129 Depth=2
	v_and_b32_e32 v16, 0x7fffffff, v14
	v_mov_b32_e32 v17, v39
	v_and_b32_e32 v2, 0x80, v2
                                        ; implicit-def: $vgpr61
	s_mov_b32 s10, exec_lo
	s_delay_alu instid0(VALU_DEP_2)
	v_cmpx_gt_u64_e32 0x47600001, v[16:17]
	s_xor_b32 s40, exec_lo, s10
	s_cbranch_execz .LBB4_1888
; %bb.1879:                             ;   in Loop: Header=BB4_129 Depth=2
	v_mov_b32_e32 v61, 0
	s_mov_b32 s41, exec_lo
	v_cmpx_ne_u32_e32 0, v14
	s_cbranch_execz .LBB4_1887
; %bb.1880:                             ;   in Loop: Header=BB4_129 Depth=2
	v_bfe_u32 v20, v14, 23, 8
	v_or_b32_e32 v16, 0x800000, v38
	s_mov_b32 s42, exec_lo
	s_delay_alu instid0(VALU_DEP_2) | instskip(SKIP_1) | instid1(VALU_DEP_2)
	v_dual_mov_b32 v17, v39 :: v_dual_sub_nc_u32 v14, 0x71, v20
	v_cmp_gt_u32_e32 vcc_lo, 0x72, v20
	v_cndmask_b32_e32 v14, 0, v14, vcc_lo
	v_cmp_eq_u32_e32 vcc_lo, 0, v20
	s_delay_alu instid0(VALU_DEP_2) | instskip(NEXT) | instid1(VALU_DEP_1)
	v_cndmask_b32_e64 v21, v14, 0x70, vcc_lo
	v_dual_cndmask_b32 v16, v16, v38, vcc_lo :: v_dual_add_nc_u32 v14, 21, v21
	v_add_nc_u32_e32 v24, 20, v21
	s_delay_alu instid0(VALU_DEP_2) | instskip(NEXT) | instid1(VALU_DEP_2)
	v_lshlrev_b64_e64 v[14:15], v14, -1
	v_lshlrev_b64_e64 v[24:25], v24, 1
	s_delay_alu instid0(VALU_DEP_2) | instskip(NEXT) | instid1(VALU_DEP_3)
	v_bfi_b32 v75, v15, 0, 0
	v_bfi_b32 v74, v14, 0, v16
	v_lshrrev_b64 v[14:15], v21, v[16:17]
	s_delay_alu instid0(VALU_DEP_1) | instskip(NEXT) | instid1(VALU_DEP_3)
	v_mov_b64_e32 v[16:17], v[14:15]
	v_cmpx_eq_u64_e64 v[74:75], v[24:25]
; %bb.1881:                             ;   in Loop: Header=BB4_129 Depth=2
	v_bfe_u32 v16, v14, 21, 1
	v_mov_b32_e32 v17, v39
	s_delay_alu instid0(VALU_DEP_1) | instskip(NEXT) | instid1(VALU_DEP_1)
	v_add_nc_u64_e32 v[16:17], v[14:15], v[16:17]
	v_add_nc_u64_e32 v[16:17], -1, v[16:17]
; %bb.1882:                             ;   in Loop: Header=BB4_129 Depth=2
	s_or_b32 exec_lo, exec_lo, s42
	v_add_nc_u32_e32 v15, 0xffffff81, v20
	v_lshrrev_b32_e32 v17, 23, v14
	s_mov_b32 s10, exec_lo
	s_delay_alu instid0(VALU_DEP_2) | instskip(NEXT) | instid1(VALU_DEP_1)
	v_cndmask_b32_e64 v15, v15, 0xffffff82, vcc_lo
	v_add3_u32 v17, v21, v15, v17
	v_and_b32_e32 v15, 0x1fffff, v16
                                        ; implicit-def: $vgpr16
	s_delay_alu instid0(VALU_DEP_1) | instskip(NEXT) | instid1(VALU_DEP_1)
	v_dual_add_nc_u32 v20, 14, v17 :: v_dual_add_nc_u32 v38, v15, v14
                                        ; implicit-def: $vgpr14_vgpr15
	v_cmpx_ne_u32_e32 0, v20
	s_xor_b32 s10, exec_lo, s10
; %bb.1883:                             ;   in Loop: Header=BB4_129 Depth=2
	s_delay_alu instid0(VALU_DEP_2) | instskip(SKIP_1) | instid1(VALU_DEP_1)
	v_cmp_lt_u64_e32 vcc_lo, 0xffffff, v[38:39]
	v_add_nc_u32_e32 v14, 15, v17
	v_cndmask_b32_e32 v16, v20, v14, vcc_lo
	v_cndmask_b32_e64 v14, 0, 1, vcc_lo
	s_delay_alu instid0(VALU_DEP_1)
	v_lshrrev_b64 v[14:15], v14, v[38:39]
; %bb.1884:                             ;   in Loop: Header=BB4_129 Depth=2
	s_and_not1_saveexec_b32 s10, s10
; %bb.1885:                             ;   in Loop: Header=BB4_129 Depth=2
	v_mov_b64_e32 v[14:15], v[38:39]
	v_bfe_u32 v16, v38, 23, 1
; %bb.1886:                             ;   in Loop: Header=BB4_129 Depth=2
	s_or_b32 exec_lo, exec_lo, s10
	s_delay_alu instid0(VALU_DEP_2) | instskip(NEXT) | instid1(VALU_DEP_2)
	v_lshrrev_b64 v[14:15], 21, v[14:15]
	v_cmp_gt_i32_e32 vcc_lo, 32, v16
	v_min_i32_e32 v17, 31, v16
	v_cmp_eq_u32_e64 s10, 0, v16
	s_delay_alu instid0(VALU_DEP_2) | instskip(SKIP_1) | instid1(VALU_DEP_2)
	v_dual_cndmask_b32 v15, 0, v15, vcc_lo :: v_dual_lshlrev_b32 v17, 2, v17
	v_cndmask_b32_e32 v14, 3, v14, vcc_lo
	v_and_b32_e32 v17, 0xfc, v17
	s_delay_alu instid0(VALU_DEP_2) | instskip(NEXT) | instid1(VALU_DEP_2)
	v_cmp_eq_u64_e32 vcc_lo, 0, v[14:15]
	v_and_or_b32 v14, v14, 3, v17
	s_and_b32 s10, s10, vcc_lo
	s_delay_alu instid0(VALU_DEP_1) | instid1(SALU_CYCLE_1)
	v_cndmask_b32_e64 v14, v14, 0, s10
	s_delay_alu instid0(VALU_DEP_1)
	v_or_b32_e32 v61, v14, v2
.LBB4_1887:                             ;   in Loop: Header=BB4_129 Depth=2
	s_or_b32 exec_lo, exec_lo, s41
                                        ; implicit-def: $vgpr2
.LBB4_1888:                             ;   in Loop: Header=BB4_129 Depth=2
	s_and_not1_saveexec_b32 s10, s40
; %bb.1889:                             ;   in Loop: Header=BB4_129 Depth=2
	v_or_b32_e32 v61, 0x7b, v2
; %bb.1890:                             ;   in Loop: Header=BB4_129 Depth=2
	s_or_b32 exec_lo, exec_lo, s10
                                        ; implicit-def: $vgpr14
                                        ; implicit-def: $vgpr2
.LBB4_1891:                             ;   in Loop: Header=BB4_129 Depth=2
	s_and_not1_saveexec_b32 s10, s29
	s_cbranch_execz .LBB4_1897
; %bb.1892:                             ;   in Loop: Header=BB4_129 Depth=2
	s_mov_b32 s29, exec_lo
                                        ; implicit-def: $vgpr61
	v_cmpx_ne_u64_e32 0, v[38:39]
	s_xor_b32 s29, exec_lo, s29
; %bb.1893:                             ;   in Loop: Header=BB4_129 Depth=2
	v_or_b32_e32 v61, 0x7f, v2
                                        ; implicit-def: $vgpr14
; %bb.1894:                             ;   in Loop: Header=BB4_129 Depth=2
	s_and_not1_saveexec_b32 s29, s29
; %bb.1895:                             ;   in Loop: Header=BB4_129 Depth=2
	v_cmp_lt_i32_e32 vcc_lo, -1, v14
	v_cndmask_b32_e32 v61, 0xfc, v122, vcc_lo
; %bb.1896:                             ;   in Loop: Header=BB4_129 Depth=2
	s_or_b32 exec_lo, exec_lo, s29
.LBB4_1897:                             ;   in Loop: Header=BB4_129 Depth=2
	s_delay_alu instid0(SALU_CYCLE_1) | instskip(SKIP_4) | instid1(VALU_DEP_1)
	s_or_b32 exec_lo, exec_lo, s10
	v_lshl_or_b32 v2, v42, 8, v116
	v_dual_mov_b32 v15, 0 :: v_dual_lshlrev_b32 v14, 16, v44
	v_lshlrev_b32_e32 v16, 24, v56
	s_mov_b32 s10, exec_lo
	v_or3_b32 v38, v14, v16, v2
	v_mov_b32_e32 v14, 0
	v_cmpx_ne_u32_e32 0, v116
	s_cbranch_execz .LBB4_1907
; %bb.1898:                             ;   in Loop: Header=BB4_129 Depth=2
	v_bfrev_b32_e32 v14, 1
	s_mov_b32 s29, exec_lo
	v_cmpx_ne_u32_e32 0x80, v116
	s_cbranch_execz .LBB4_1906
; %bb.1899:                             ;   in Loop: Header=BB4_129 Depth=2
	v_and_b32_e32 v14, 0x7c, v116
	v_and_b32_e32 v16, 3, v116
	s_delay_alu instid0(VALU_DEP_2) | instskip(SKIP_1) | instid1(SALU_CYCLE_1)
	v_cmp_ne_u32_e32 vcc_lo, 0x7c, v14
                                        ; implicit-def: $vgpr14
	s_and_saveexec_b32 s40, vcc_lo
	s_xor_b32 s40, exec_lo, s40
	s_cbranch_execz .LBB4_1903
; %bb.1900:                             ;   in Loop: Header=BB4_129 Depth=2
	v_bfe_u32 v14, v116, 2, 5
	s_mov_b32 s41, exec_lo
	s_delay_alu instid0(VALU_DEP_1)
	v_cmpx_eq_u32_e32 0, v14
; %bb.1901:                             ;   in Loop: Header=BB4_129 Depth=2
	v_clz_i32_u32_e32 v14, v16
	s_delay_alu instid0(VALU_DEP_1) | instskip(NEXT) | instid1(VALU_DEP_1)
	v_min_u32_e32 v14, 32, v14
	v_subrev_nc_u32_e32 v16, 29, v14
	s_delay_alu instid0(VALU_DEP_1) | instskip(NEXT) | instid1(VALU_DEP_1)
	v_lshlrev_b64_e32 v[16:17], v16, v[38:39]
	v_dual_sub_nc_u32 v14, 30, v14 :: v_dual_bitop2_b32 v16, 3, v16 bitop3:0x40
; %bb.1902:                             ;   in Loop: Header=BB4_129 Depth=2
	s_or_b32 exec_lo, exec_lo, s41
	v_lshlrev_b32_e32 v17, 24, v116
                                        ; implicit-def: $vgpr116
	s_delay_alu instid0(VALU_DEP_1) | instskip(NEXT) | instid1(VALU_DEP_1)
	v_and_b32_e32 v17, 0x80000000, v17
	v_lshl_add_u32 v14, v14, 23, v17
	s_delay_alu instid0(VALU_DEP_1) | instskip(NEXT) | instid1(VALU_DEP_1)
	v_lshl_or_b32 v14, v16, 21, v14
                                        ; implicit-def: $vgpr16
	v_add_nc_u32_e32 v14, 0x38000000, v14
.LBB4_1903:                             ;   in Loop: Header=BB4_129 Depth=2
	s_and_not1_saveexec_b32 s40, s40
; %bb.1904:                             ;   in Loop: Header=BB4_129 Depth=2
	v_and_b32_e32 v14, 0x80, v116
	s_delay_alu instid0(VALU_DEP_1) | instskip(SKIP_2) | instid1(VALU_DEP_2)
	v_cmp_eq_u32_e32 vcc_lo, 0, v14
	v_cndmask_b32_e32 v14, 0xff800000, v126, vcc_lo
	v_cmp_eq_u32_e32 vcc_lo, 0, v16
	v_cndmask_b32_e32 v14, 0x7f800001, v14, vcc_lo
; %bb.1905:                             ;   in Loop: Header=BB4_129 Depth=2
	s_or_b32 exec_lo, exec_lo, s40
.LBB4_1906:                             ;   in Loop: Header=BB4_129 Depth=2
	s_delay_alu instid0(SALU_CYCLE_1)
	s_or_b32 exec_lo, exec_lo, s29
.LBB4_1907:                             ;   in Loop: Header=BB4_129 Depth=2
	s_delay_alu instid0(SALU_CYCLE_1) | instskip(SKIP_2) | instid1(VALU_DEP_1)
	s_or_b32 exec_lo, exec_lo, s10
	v_and_b32_e32 v16, 0xff, v11
	s_mov_b32 s10, exec_lo
	v_cmpx_ne_u16_e32 0, v16
	s_cbranch_execz .LBB4_1917
; %bb.1908:                             ;   in Loop: Header=BB4_129 Depth=2
	v_bfrev_b32_e32 v15, 1
	s_mov_b32 s29, exec_lo
	v_cmpx_ne_u16_e32 0x80, v16
	s_cbranch_execz .LBB4_1916
; %bb.1909:                             ;   in Loop: Header=BB4_129 Depth=2
	v_and_b32_e32 v15, 0x7c, v11
	v_and_b32_e32 v16, 3, v11
	s_delay_alu instid0(VALU_DEP_2) | instskip(SKIP_1) | instid1(SALU_CYCLE_1)
	v_cmp_ne_u32_e32 vcc_lo, 0x7c, v15
                                        ; implicit-def: $vgpr15
	s_and_saveexec_b32 s40, vcc_lo
	s_xor_b32 s40, exec_lo, s40
	s_cbranch_execz .LBB4_1913
; %bb.1910:                             ;   in Loop: Header=BB4_129 Depth=2
	v_bfe_u32 v15, v11, 2, 5
	s_mov_b32 s41, exec_lo
	s_delay_alu instid0(VALU_DEP_1)
	v_cmpx_eq_u32_e32 0, v15
; %bb.1911:                             ;   in Loop: Header=BB4_129 Depth=2
	v_clz_i32_u32_e32 v15, v16
	v_dual_mov_b32 v16, v11 :: v_dual_mov_b32 v17, v39
	s_delay_alu instid0(VALU_DEP_2) | instskip(NEXT) | instid1(VALU_DEP_1)
	v_min_u32_e32 v15, 32, v15
	v_subrev_nc_u32_e32 v20, 29, v15
	s_delay_alu instid0(VALU_DEP_1) | instskip(NEXT) | instid1(VALU_DEP_1)
	v_lshlrev_b64_e32 v[16:17], v20, v[16:17]
	v_dual_sub_nc_u32 v15, 30, v15 :: v_dual_bitop2_b32 v16, 3, v16 bitop3:0x40
; %bb.1912:                             ;   in Loop: Header=BB4_129 Depth=2
	s_or_b32 exec_lo, exec_lo, s41
	v_lshlrev_b32_e32 v17, 24, v11
	s_delay_alu instid0(VALU_DEP_1) | instskip(NEXT) | instid1(VALU_DEP_1)
	v_and_b32_e32 v17, 0x80000000, v17
	v_lshl_add_u32 v15, v15, 23, v17
	s_delay_alu instid0(VALU_DEP_1) | instskip(NEXT) | instid1(VALU_DEP_1)
	v_lshl_or_b32 v15, v16, 21, v15
                                        ; implicit-def: $vgpr16
	v_add_nc_u32_e32 v15, 0x38000000, v15
.LBB4_1913:                             ;   in Loop: Header=BB4_129 Depth=2
	s_and_not1_saveexec_b32 s40, s40
; %bb.1914:                             ;   in Loop: Header=BB4_129 Depth=2
	v_bfe_i32 v15, v11, 0, 8
	s_delay_alu instid0(VALU_DEP_1) | instskip(SKIP_2) | instid1(VALU_DEP_2)
	v_cmp_lt_i16_e32 vcc_lo, -1, v15
	v_cndmask_b32_e32 v15, 0xff800000, v126, vcc_lo
	v_cmp_eq_u32_e32 vcc_lo, 0, v16
	v_cndmask_b32_e32 v15, 0x7f800001, v15, vcc_lo
; %bb.1915:                             ;   in Loop: Header=BB4_129 Depth=2
	s_or_b32 exec_lo, exec_lo, s40
.LBB4_1916:                             ;   in Loop: Header=BB4_129 Depth=2
	s_delay_alu instid0(SALU_CYCLE_1)
	s_or_b32 exec_lo, exec_lo, s29
.LBB4_1917:                             ;   in Loop: Header=BB4_129 Depth=2
	s_delay_alu instid0(SALU_CYCLE_1) | instskip(NEXT) | instid1(VALU_DEP_1)
	s_or_b32 exec_lo, exec_lo, s10
	v_dual_add_f32 v16, v14, v15 :: v_dual_mov_b32 v21, v39
	v_mov_b32_e32 v15, v39
                                        ; implicit-def: $vgpr116
	s_mov_b32 s10, exec_lo
	s_delay_alu instid0(VALU_DEP_2) | instskip(SKIP_2) | instid1(VALU_DEP_3)
	v_and_b32_e32 v20, 0x7f800000, v16
	v_and_b32_e32 v14, 0x7fffff, v16
	v_lshrrev_b32_e32 v17, 24, v16
	v_cmpx_ne_u64_e32 0x7f800000, v[20:21]
	s_xor_b32 s29, exec_lo, s10
	s_cbranch_execz .LBB4_1931
; %bb.1918:                             ;   in Loop: Header=BB4_129 Depth=2
	v_and_b32_e32 v20, 0x7fffffff, v16
	v_mov_b32_e32 v21, v39
	v_and_b32_e32 v42, 0x80, v17
                                        ; implicit-def: $vgpr116
	s_mov_b32 s10, exec_lo
	s_delay_alu instid0(VALU_DEP_2)
	v_cmpx_gt_u64_e32 0x47600001, v[20:21]
	s_xor_b32 s40, exec_lo, s10
	s_cbranch_execz .LBB4_1928
; %bb.1919:                             ;   in Loop: Header=BB4_129 Depth=2
	v_mov_b32_e32 v116, 0
	s_mov_b32 s41, exec_lo
	v_cmpx_ne_u32_e32 0, v16
	s_cbranch_execz .LBB4_1927
; %bb.1920:                             ;   in Loop: Header=BB4_129 Depth=2
	v_bfe_u32 v20, v16, 23, 8
	v_or_b32_e32 v24, 0x800000, v14
	s_delay_alu instid0(VALU_DEP_2) | instskip(SKIP_1) | instid1(VALU_DEP_2)
	v_sub_nc_u32_e32 v16, 0x71, v20
	v_cmp_gt_u32_e32 vcc_lo, 0x72, v20
	v_cndmask_b32_e32 v16, 0, v16, vcc_lo
	v_cmp_eq_u32_e32 vcc_lo, 0, v20
	s_delay_alu instid0(VALU_DEP_2) | instskip(NEXT) | instid1(VALU_DEP_1)
	v_cndmask_b32_e64 v21, v16, 0x70, vcc_lo
	v_dual_cndmask_b32 v14, v24, v14, vcc_lo :: v_dual_add_nc_u32 v16, 21, v21
	v_add_nc_u32_e32 v25, 20, v21
	s_delay_alu instid0(VALU_DEP_2) | instskip(NEXT) | instid1(VALU_DEP_2)
	v_lshlrev_b64_e64 v[16:17], v16, -1
	v_lshlrev_b64_e64 v[24:25], v25, 1
	s_delay_alu instid0(VALU_DEP_2) | instskip(SKIP_1) | instid1(VALU_DEP_4)
	v_bfi_b32 v16, v16, 0, v14
	v_lshrrev_b64 v[14:15], v21, v[14:15]
	v_bfi_b32 v17, v17, 0, 0
	s_delay_alu instid0(VALU_DEP_1) | instskip(NEXT) | instid1(VALU_DEP_3)
	v_cmp_eq_u64_e64 s10, v[16:17], v[24:25]
	v_mov_b64_e32 v[16:17], v[14:15]
	s_and_saveexec_b32 s42, s10
; %bb.1921:                             ;   in Loop: Header=BB4_129 Depth=2
	v_bfe_u32 v16, v14, 21, 1
	v_mov_b32_e32 v17, v39
	s_delay_alu instid0(VALU_DEP_1) | instskip(NEXT) | instid1(VALU_DEP_1)
	v_add_nc_u64_e32 v[16:17], v[14:15], v[16:17]
	v_add_nc_u64_e32 v[16:17], -1, v[16:17]
; %bb.1922:                             ;   in Loop: Header=BB4_129 Depth=2
	s_or_b32 exec_lo, exec_lo, s42
	v_add_nc_u32_e32 v15, 0xffffff81, v20
	v_lshrrev_b32_e32 v17, 23, v14
	s_mov_b32 s10, exec_lo
	s_delay_alu instid0(VALU_DEP_2) | instskip(NEXT) | instid1(VALU_DEP_1)
	v_cndmask_b32_e64 v15, v15, 0xffffff82, vcc_lo
	v_add3_u32 v17, v21, v15, v17
	v_and_b32_e32 v15, 0x1fffff, v16
                                        ; implicit-def: $vgpr16
	s_delay_alu instid0(VALU_DEP_1) | instskip(SKIP_1) | instid1(VALU_DEP_2)
	v_dual_add_nc_u32 v20, 14, v17 :: v_dual_add_nc_u32 v14, v15, v14
	v_mov_b32_e32 v15, v39
	v_cmpx_ne_u32_e32 0, v20
	s_xor_b32 s10, exec_lo, s10
; %bb.1923:                             ;   in Loop: Header=BB4_129 Depth=2
	s_delay_alu instid0(VALU_DEP_2) | instskip(SKIP_2) | instid1(VALU_DEP_2)
	v_cmp_lt_u64_e32 vcc_lo, 0xffffff, v[14:15]
	v_add_nc_u32_e32 v16, 15, v17
	v_cndmask_b32_e64 v17, 0, 1, vcc_lo
	v_cndmask_b32_e32 v16, v20, v16, vcc_lo
	s_delay_alu instid0(VALU_DEP_2)
	v_lshrrev_b64 v[14:15], v17, v[14:15]
; %bb.1924:                             ;   in Loop: Header=BB4_129 Depth=2
	s_and_not1_saveexec_b32 s10, s10
; %bb.1925:                             ;   in Loop: Header=BB4_129 Depth=2
	s_delay_alu instid0(VALU_DEP_1)
	v_bfe_u32 v16, v14, 23, 1
; %bb.1926:                             ;   in Loop: Header=BB4_129 Depth=2
	s_or_b32 exec_lo, exec_lo, s10
	s_delay_alu instid0(VALU_DEP_2) | instskip(NEXT) | instid1(VALU_DEP_2)
	v_lshrrev_b64 v[14:15], 21, v[14:15]
	v_cmp_gt_i32_e32 vcc_lo, 32, v16
	v_min_i32_e32 v17, 31, v16
	v_cmp_eq_u32_e64 s10, 0, v16
	s_delay_alu instid0(VALU_DEP_2) | instskip(SKIP_1) | instid1(VALU_DEP_2)
	v_dual_cndmask_b32 v15, 0, v15, vcc_lo :: v_dual_lshlrev_b32 v17, 2, v17
	v_cndmask_b32_e32 v14, 3, v14, vcc_lo
	v_and_b32_e32 v17, 0xfc, v17
	s_delay_alu instid0(VALU_DEP_2) | instskip(NEXT) | instid1(VALU_DEP_2)
	v_cmp_eq_u64_e32 vcc_lo, 0, v[14:15]
	v_and_or_b32 v14, v14, 3, v17
	s_and_b32 s10, s10, vcc_lo
	s_delay_alu instid0(VALU_DEP_1) | instid1(SALU_CYCLE_1)
	v_cndmask_b32_e64 v14, v14, 0, s10
	s_delay_alu instid0(VALU_DEP_1)
	v_or_b32_e32 v116, v14, v42
.LBB4_1927:                             ;   in Loop: Header=BB4_129 Depth=2
	s_or_b32 exec_lo, exec_lo, s41
                                        ; implicit-def: $vgpr42
.LBB4_1928:                             ;   in Loop: Header=BB4_129 Depth=2
	s_and_not1_saveexec_b32 s10, s40
; %bb.1929:                             ;   in Loop: Header=BB4_129 Depth=2
	v_or_b32_e32 v116, 0x7b, v42
; %bb.1930:                             ;   in Loop: Header=BB4_129 Depth=2
	s_or_b32 exec_lo, exec_lo, s10
                                        ; implicit-def: $vgpr16
                                        ; implicit-def: $vgpr14_vgpr15
                                        ; implicit-def: $vgpr17
.LBB4_1931:                             ;   in Loop: Header=BB4_129 Depth=2
	s_and_not1_saveexec_b32 s10, s29
	s_cbranch_execz .LBB4_1937
; %bb.1932:                             ;   in Loop: Header=BB4_129 Depth=2
	s_mov_b32 s29, exec_lo
                                        ; implicit-def: $vgpr116
	v_cmpx_ne_u64_e32 0, v[14:15]
	s_xor_b32 s29, exec_lo, s29
; %bb.1933:                             ;   in Loop: Header=BB4_129 Depth=2
	v_or_b32_e32 v116, 0x7f, v17
                                        ; implicit-def: $vgpr16
; %bb.1934:                             ;   in Loop: Header=BB4_129 Depth=2
	s_and_not1_saveexec_b32 s29, s29
; %bb.1935:                             ;   in Loop: Header=BB4_129 Depth=2
	v_cmp_lt_i32_e32 vcc_lo, -1, v16
	v_cndmask_b32_e32 v116, 0xfc, v122, vcc_lo
; %bb.1936:                             ;   in Loop: Header=BB4_129 Depth=2
	s_or_b32 exec_lo, exec_lo, s29
.LBB4_1937:                             ;   in Loop: Header=BB4_129 Depth=2
	s_delay_alu instid0(SALU_CYCLE_1) | instskip(SKIP_3) | instid1(VALU_DEP_2)
	s_or_b32 exec_lo, exec_lo, s10
	v_lshrrev_b16 v14, 8, v2
	v_dual_mov_b32 v16, 0 :: v_dual_mov_b32 v17, 0
	s_mov_b32 s10, exec_lo
	v_cmpx_ne_u16_e32 0, v14
	s_cbranch_execz .LBB4_1947
; %bb.1938:                             ;   in Loop: Header=BB4_129 Depth=2
	v_bfrev_b32_e32 v17, 1
	s_mov_b32 s29, exec_lo
	v_cmpx_ne_u16_e32 0x80, v14
	s_cbranch_execz .LBB4_1946
; %bb.1939:                             ;   in Loop: Header=BB4_129 Depth=2
	v_and_b32_e32 v20, 0xffff, v14
	s_delay_alu instid0(VALU_DEP_1) | instskip(SKIP_1) | instid1(VALU_DEP_2)
	v_and_b32_e32 v17, 0x7c, v20
	v_and_b32_e32 v15, 3, v20
	v_cmp_ne_u32_e32 vcc_lo, 0x7c, v17
                                        ; implicit-def: $vgpr17
	s_and_saveexec_b32 s40, vcc_lo
	s_delay_alu instid0(SALU_CYCLE_1)
	s_xor_b32 s40, exec_lo, s40
	s_cbranch_execz .LBB4_1943
; %bb.1940:                             ;   in Loop: Header=BB4_129 Depth=2
	v_bfe_u32 v17, v20, 2, 5
	s_mov_b32 s41, exec_lo
	s_delay_alu instid0(VALU_DEP_1)
	v_cmpx_eq_u32_e32 0, v17
	s_cbranch_execz .LBB4_1942
; %bb.1941:                             ;   in Loop: Header=BB4_129 Depth=2
	v_clz_i32_u32_e32 v15, v15
	s_delay_alu instid0(VALU_DEP_1) | instskip(SKIP_1) | instid1(VALU_DEP_2)
	v_min_u32_e32 v17, 32, v15
	v_mov_b32_e32 v15, v39
	v_subrev_nc_u32_e32 v20, 29, v17
	v_sub_nc_u32_e32 v17, 30, v17
	s_delay_alu instid0(VALU_DEP_2) | instskip(NEXT) | instid1(VALU_DEP_1)
	v_lshlrev_b64_e32 v[14:15], v20, v[14:15]
	v_and_b32_e32 v15, 3, v14
.LBB4_1942:                             ;   in Loop: Header=BB4_129 Depth=2
	s_or_b32 exec_lo, exec_lo, s41
	v_lshlrev_b32_e32 v2, 16, v2
	s_delay_alu instid0(VALU_DEP_1) | instskip(NEXT) | instid1(VALU_DEP_1)
	v_and_b32_e32 v2, 0x80000000, v2
	v_lshl_add_u32 v2, v17, 23, v2
	s_delay_alu instid0(VALU_DEP_1) | instskip(NEXT) | instid1(VALU_DEP_1)
	v_lshl_or_b32 v2, v15, 21, v2
                                        ; implicit-def: $vgpr15
	v_add_nc_u32_e32 v17, 0x38000000, v2
                                        ; implicit-def: $vgpr2
.LBB4_1943:                             ;   in Loop: Header=BB4_129 Depth=2
	s_and_not1_saveexec_b32 s40, s40
; %bb.1944:                             ;   in Loop: Header=BB4_129 Depth=2
	v_cmp_lt_i16_e32 vcc_lo, -1, v2
	v_cndmask_b32_e32 v2, 0xff800000, v126, vcc_lo
	v_cmp_eq_u32_e32 vcc_lo, 0, v15
	s_delay_alu instid0(VALU_DEP_2)
	v_cndmask_b32_e32 v17, 0x7f800001, v2, vcc_lo
; %bb.1945:                             ;   in Loop: Header=BB4_129 Depth=2
	s_or_b32 exec_lo, exec_lo, s40
.LBB4_1946:                             ;   in Loop: Header=BB4_129 Depth=2
	s_delay_alu instid0(SALU_CYCLE_1)
	s_or_b32 exec_lo, exec_lo, s29
.LBB4_1947:                             ;   in Loop: Header=BB4_129 Depth=2
	s_delay_alu instid0(SALU_CYCLE_1) | instskip(SKIP_2) | instid1(VALU_DEP_1)
	s_or_b32 exec_lo, exec_lo, s10
	v_lshrrev_b16 v14, 8, v11
	s_mov_b32 s10, exec_lo
	v_cmpx_ne_u16_e32 0, v14
	s_cbranch_execz .LBB4_1957
; %bb.1948:                             ;   in Loop: Header=BB4_129 Depth=2
	v_bfrev_b32_e32 v16, 1
	s_mov_b32 s29, exec_lo
	v_cmpx_ne_u16_e32 0x80, v14
	s_cbranch_execz .LBB4_1956
; %bb.1949:                             ;   in Loop: Header=BB4_129 Depth=2
	v_and_b32_e32 v15, 0xffff, v14
	s_delay_alu instid0(VALU_DEP_1) | instskip(SKIP_1) | instid1(VALU_DEP_2)
	v_and_b32_e32 v16, 0x7c, v15
	v_and_b32_e32 v2, 3, v15
	v_cmp_ne_u32_e32 vcc_lo, 0x7c, v16
                                        ; implicit-def: $vgpr16
	s_and_saveexec_b32 s40, vcc_lo
	s_delay_alu instid0(SALU_CYCLE_1)
	s_xor_b32 s40, exec_lo, s40
	s_cbranch_execz .LBB4_1953
; %bb.1950:                             ;   in Loop: Header=BB4_129 Depth=2
	v_bfe_u32 v15, v15, 2, 5
	s_mov_b32 s41, exec_lo
	s_delay_alu instid0(VALU_DEP_1)
	v_cmpx_eq_u32_e32 0, v15
	s_cbranch_execz .LBB4_1952
; %bb.1951:                             ;   in Loop: Header=BB4_129 Depth=2
	v_clz_i32_u32_e32 v2, v2
	v_mov_b32_e32 v15, v39
	s_delay_alu instid0(VALU_DEP_2) | instskip(NEXT) | instid1(VALU_DEP_1)
	v_min_u32_e32 v2, 32, v2
	v_subrev_nc_u32_e32 v16, 29, v2
	s_delay_alu instid0(VALU_DEP_1) | instskip(SKIP_1) | instid1(VALU_DEP_2)
	v_lshlrev_b64_e32 v[14:15], v16, v[14:15]
	v_sub_nc_u32_e32 v15, 30, v2
	v_and_b32_e32 v2, 3, v14
.LBB4_1952:                             ;   in Loop: Header=BB4_129 Depth=2
	s_or_b32 exec_lo, exec_lo, s41
	v_lshlrev_b32_e32 v14, 16, v11
	s_delay_alu instid0(VALU_DEP_1) | instskip(NEXT) | instid1(VALU_DEP_1)
	v_and_b32_e32 v14, 0x80000000, v14
	v_lshl_add_u32 v14, v15, 23, v14
	s_delay_alu instid0(VALU_DEP_1) | instskip(NEXT) | instid1(VALU_DEP_1)
	v_lshl_or_b32 v2, v2, 21, v14
	v_add_nc_u32_e32 v16, 0x38000000, v2
                                        ; implicit-def: $vgpr2
.LBB4_1953:                             ;   in Loop: Header=BB4_129 Depth=2
	s_and_not1_saveexec_b32 s40, s40
; %bb.1954:                             ;   in Loop: Header=BB4_129 Depth=2
	v_cmp_lt_i16_e32 vcc_lo, -1, v11
	v_cndmask_b32_e32 v14, 0xff800000, v126, vcc_lo
	v_cmp_eq_u32_e32 vcc_lo, 0, v2
	s_delay_alu instid0(VALU_DEP_2)
	v_cndmask_b32_e32 v16, 0x7f800001, v14, vcc_lo
; %bb.1955:                             ;   in Loop: Header=BB4_129 Depth=2
	s_or_b32 exec_lo, exec_lo, s40
.LBB4_1956:                             ;   in Loop: Header=BB4_129 Depth=2
	s_delay_alu instid0(SALU_CYCLE_1)
	s_or_b32 exec_lo, exec_lo, s29
.LBB4_1957:                             ;   in Loop: Header=BB4_129 Depth=2
	s_delay_alu instid0(SALU_CYCLE_1) | instskip(NEXT) | instid1(VALU_DEP_1)
	s_or_b32 exec_lo, exec_lo, s10
	v_dual_add_f32 v16, v17, v16 :: v_dual_mov_b32 v21, v39
	v_mov_b32_e32 v15, v39
                                        ; implicit-def: $vgpr42
	s_mov_b32 s10, exec_lo
	s_delay_alu instid0(VALU_DEP_2) | instskip(SKIP_2) | instid1(VALU_DEP_3)
	v_and_b32_e32 v20, 0x7f800000, v16
	v_and_b32_e32 v14, 0x7fffff, v16
	v_lshrrev_b32_e32 v2, 24, v16
	v_cmpx_ne_u64_e32 0x7f800000, v[20:21]
	s_xor_b32 s29, exec_lo, s10
	s_cbranch_execz .LBB4_1971
; %bb.1958:                             ;   in Loop: Header=BB4_129 Depth=2
	v_and_b32_e32 v20, 0x7fffffff, v16
	v_mov_b32_e32 v21, v39
	v_and_b32_e32 v2, 0x80, v2
                                        ; implicit-def: $vgpr42
	s_mov_b32 s10, exec_lo
	s_delay_alu instid0(VALU_DEP_2)
	v_cmpx_gt_u64_e32 0x47600001, v[20:21]
	s_xor_b32 s40, exec_lo, s10
	s_cbranch_execz .LBB4_1968
; %bb.1959:                             ;   in Loop: Header=BB4_129 Depth=2
	v_mov_b32_e32 v42, 0
	s_mov_b32 s41, exec_lo
	v_cmpx_ne_u32_e32 0, v16
	s_cbranch_execz .LBB4_1967
; %bb.1960:                             ;   in Loop: Header=BB4_129 Depth=2
	v_bfe_u32 v20, v16, 23, 8
	v_or_b32_e32 v24, 0x800000, v14
	s_delay_alu instid0(VALU_DEP_2) | instskip(SKIP_1) | instid1(VALU_DEP_2)
	v_sub_nc_u32_e32 v16, 0x71, v20
	v_cmp_gt_u32_e32 vcc_lo, 0x72, v20
	v_cndmask_b32_e32 v16, 0, v16, vcc_lo
	v_cmp_eq_u32_e32 vcc_lo, 0, v20
	s_delay_alu instid0(VALU_DEP_2) | instskip(NEXT) | instid1(VALU_DEP_1)
	v_cndmask_b32_e64 v21, v16, 0x70, vcc_lo
	v_dual_cndmask_b32 v14, v24, v14, vcc_lo :: v_dual_add_nc_u32 v16, 21, v21
	v_add_nc_u32_e32 v25, 20, v21
	s_delay_alu instid0(VALU_DEP_2) | instskip(NEXT) | instid1(VALU_DEP_2)
	v_lshlrev_b64_e64 v[16:17], v16, -1
	v_lshlrev_b64_e64 v[24:25], v25, 1
	s_delay_alu instid0(VALU_DEP_2) | instskip(SKIP_1) | instid1(VALU_DEP_4)
	v_bfi_b32 v16, v16, 0, v14
	v_lshrrev_b64 v[14:15], v21, v[14:15]
	v_bfi_b32 v17, v17, 0, 0
	s_delay_alu instid0(VALU_DEP_1) | instskip(NEXT) | instid1(VALU_DEP_3)
	v_cmp_eq_u64_e64 s10, v[16:17], v[24:25]
	v_mov_b64_e32 v[16:17], v[14:15]
	s_and_saveexec_b32 s42, s10
; %bb.1961:                             ;   in Loop: Header=BB4_129 Depth=2
	v_bfe_u32 v16, v14, 21, 1
	v_mov_b32_e32 v17, v39
	s_delay_alu instid0(VALU_DEP_1) | instskip(NEXT) | instid1(VALU_DEP_1)
	v_add_nc_u64_e32 v[16:17], v[14:15], v[16:17]
	v_add_nc_u64_e32 v[16:17], -1, v[16:17]
; %bb.1962:                             ;   in Loop: Header=BB4_129 Depth=2
	s_or_b32 exec_lo, exec_lo, s42
	v_add_nc_u32_e32 v15, 0xffffff81, v20
	v_lshrrev_b32_e32 v17, 23, v14
	s_mov_b32 s10, exec_lo
	s_delay_alu instid0(VALU_DEP_2) | instskip(NEXT) | instid1(VALU_DEP_1)
	v_cndmask_b32_e64 v15, v15, 0xffffff82, vcc_lo
	v_add3_u32 v17, v21, v15, v17
	v_and_b32_e32 v15, 0x1fffff, v16
                                        ; implicit-def: $vgpr16
	s_delay_alu instid0(VALU_DEP_1) | instskip(SKIP_1) | instid1(VALU_DEP_2)
	v_dual_add_nc_u32 v20, 14, v17 :: v_dual_add_nc_u32 v14, v15, v14
	v_mov_b32_e32 v15, v39
	v_cmpx_ne_u32_e32 0, v20
	s_xor_b32 s10, exec_lo, s10
; %bb.1963:                             ;   in Loop: Header=BB4_129 Depth=2
	s_delay_alu instid0(VALU_DEP_2) | instskip(SKIP_2) | instid1(VALU_DEP_2)
	v_cmp_lt_u64_e32 vcc_lo, 0xffffff, v[14:15]
	v_add_nc_u32_e32 v16, 15, v17
	v_cndmask_b32_e64 v17, 0, 1, vcc_lo
	v_cndmask_b32_e32 v16, v20, v16, vcc_lo
	s_delay_alu instid0(VALU_DEP_2)
	v_lshrrev_b64 v[14:15], v17, v[14:15]
; %bb.1964:                             ;   in Loop: Header=BB4_129 Depth=2
	s_and_not1_saveexec_b32 s10, s10
; %bb.1965:                             ;   in Loop: Header=BB4_129 Depth=2
	s_delay_alu instid0(VALU_DEP_1)
	v_bfe_u32 v16, v14, 23, 1
; %bb.1966:                             ;   in Loop: Header=BB4_129 Depth=2
	s_or_b32 exec_lo, exec_lo, s10
	s_delay_alu instid0(VALU_DEP_2) | instskip(NEXT) | instid1(VALU_DEP_2)
	v_lshrrev_b64 v[14:15], 21, v[14:15]
	v_cmp_gt_i32_e32 vcc_lo, 32, v16
	v_min_i32_e32 v17, 31, v16
	v_cmp_eq_u32_e64 s10, 0, v16
	s_delay_alu instid0(VALU_DEP_2) | instskip(SKIP_1) | instid1(VALU_DEP_2)
	v_dual_cndmask_b32 v15, 0, v15, vcc_lo :: v_dual_lshlrev_b32 v17, 2, v17
	v_cndmask_b32_e32 v14, 3, v14, vcc_lo
	v_and_b32_e32 v17, 0xfc, v17
	s_delay_alu instid0(VALU_DEP_2) | instskip(NEXT) | instid1(VALU_DEP_2)
	v_cmp_eq_u64_e32 vcc_lo, 0, v[14:15]
	v_and_or_b32 v14, v14, 3, v17
	s_and_b32 s10, s10, vcc_lo
	s_delay_alu instid0(VALU_DEP_1) | instid1(SALU_CYCLE_1)
	v_cndmask_b32_e64 v14, v14, 0, s10
	s_delay_alu instid0(VALU_DEP_1)
	v_or_b32_e32 v42, v14, v2
.LBB4_1967:                             ;   in Loop: Header=BB4_129 Depth=2
	s_or_b32 exec_lo, exec_lo, s41
                                        ; implicit-def: $vgpr2
.LBB4_1968:                             ;   in Loop: Header=BB4_129 Depth=2
	s_and_not1_saveexec_b32 s10, s40
; %bb.1969:                             ;   in Loop: Header=BB4_129 Depth=2
	v_or_b32_e32 v42, 0x7b, v2
; %bb.1970:                             ;   in Loop: Header=BB4_129 Depth=2
	s_or_b32 exec_lo, exec_lo, s10
                                        ; implicit-def: $vgpr16
                                        ; implicit-def: $vgpr14_vgpr15
                                        ; implicit-def: $vgpr2
.LBB4_1971:                             ;   in Loop: Header=BB4_129 Depth=2
	s_and_not1_saveexec_b32 s10, s29
	s_cbranch_execz .LBB4_1977
; %bb.1972:                             ;   in Loop: Header=BB4_129 Depth=2
	s_mov_b32 s29, exec_lo
                                        ; implicit-def: $vgpr42
	v_cmpx_ne_u64_e32 0, v[14:15]
	s_xor_b32 s29, exec_lo, s29
; %bb.1973:                             ;   in Loop: Header=BB4_129 Depth=2
	v_or_b32_e32 v42, 0x7f, v2
                                        ; implicit-def: $vgpr16
; %bb.1974:                             ;   in Loop: Header=BB4_129 Depth=2
	s_and_not1_saveexec_b32 s29, s29
; %bb.1975:                             ;   in Loop: Header=BB4_129 Depth=2
	v_cmp_lt_i32_e32 vcc_lo, -1, v16
	v_cndmask_b32_e32 v42, 0xfc, v122, vcc_lo
; %bb.1976:                             ;   in Loop: Header=BB4_129 Depth=2
	s_or_b32 exec_lo, exec_lo, s29
.LBB4_1977:                             ;   in Loop: Header=BB4_129 Depth=2
	s_delay_alu instid0(SALU_CYCLE_1) | instskip(SKIP_3) | instid1(VALU_DEP_2)
	s_or_b32 exec_lo, exec_lo, s10
	v_dual_lshrrev_b32 v14, 16, v38 :: v_dual_mov_b32 v2, 0
	v_mov_b32_e32 v15, 0
	s_mov_b32 s10, exec_lo
	v_and_b32_e32 v16, 0xff, v14
	s_delay_alu instid0(VALU_DEP_1)
	v_cmpx_ne_u16_e32 0, v16
	s_cbranch_execz .LBB4_1987
; %bb.1978:                             ;   in Loop: Header=BB4_129 Depth=2
	v_bfrev_b32_e32 v15, 1
	s_mov_b32 s29, exec_lo
	v_cmpx_ne_u16_e32 0x80, v16
	s_cbranch_execz .LBB4_1986
; %bb.1979:                             ;   in Loop: Header=BB4_129 Depth=2
	v_and_b32_e32 v15, 0x7c0000, v38
	v_bfe_u32 v16, v38, 16, 2
	s_delay_alu instid0(VALU_DEP_2) | instskip(SKIP_1) | instid1(SALU_CYCLE_1)
	v_cmp_ne_u32_e32 vcc_lo, 0x7c0000, v15
                                        ; implicit-def: $vgpr15
	s_and_saveexec_b32 s40, vcc_lo
	s_xor_b32 s40, exec_lo, s40
	s_cbranch_execz .LBB4_1983
; %bb.1980:                             ;   in Loop: Header=BB4_129 Depth=2
	v_bfe_u32 v15, v38, 18, 5
	s_mov_b32 s41, exec_lo
	s_delay_alu instid0(VALU_DEP_1)
	v_cmpx_eq_u32_e32 0, v15
; %bb.1981:                             ;   in Loop: Header=BB4_129 Depth=2
	v_clz_i32_u32_e32 v15, v16
	s_delay_alu instid0(VALU_DEP_1) | instskip(NEXT) | instid1(VALU_DEP_1)
	v_min_u32_e32 v15, 32, v15
	v_subrev_nc_u32_e32 v16, 29, v15
	s_delay_alu instid0(VALU_DEP_1) | instskip(NEXT) | instid1(VALU_DEP_1)
	v_lshlrev_b64_e32 v[16:17], v16, v[14:15]
	v_dual_sub_nc_u32 v15, 30, v15 :: v_dual_bitop2_b32 v16, 3, v16 bitop3:0x40
; %bb.1982:                             ;   in Loop: Header=BB4_129 Depth=2
	s_or_b32 exec_lo, exec_lo, s41
	v_lshlrev_b32_e32 v14, 24, v14
	s_delay_alu instid0(VALU_DEP_1) | instskip(NEXT) | instid1(VALU_DEP_1)
	v_and_b32_e32 v14, 0x80000000, v14
	v_lshl_add_u32 v14, v15, 23, v14
	s_delay_alu instid0(VALU_DEP_1) | instskip(NEXT) | instid1(VALU_DEP_1)
	v_lshl_or_b32 v14, v16, 21, v14
                                        ; implicit-def: $vgpr16
	v_add_nc_u32_e32 v15, 0x38000000, v14
                                        ; implicit-def: $vgpr14
.LBB4_1983:                             ;   in Loop: Header=BB4_129 Depth=2
	s_and_not1_saveexec_b32 s40, s40
; %bb.1984:                             ;   in Loop: Header=BB4_129 Depth=2
	v_bfe_i32 v14, v14, 0, 8
	s_delay_alu instid0(VALU_DEP_1) | instskip(SKIP_2) | instid1(VALU_DEP_2)
	v_cmp_lt_i16_e32 vcc_lo, -1, v14
	v_cndmask_b32_e32 v14, 0xff800000, v126, vcc_lo
	v_cmp_eq_u32_e32 vcc_lo, 0, v16
	v_cndmask_b32_e32 v15, 0x7f800001, v14, vcc_lo
; %bb.1985:                             ;   in Loop: Header=BB4_129 Depth=2
	s_or_b32 exec_lo, exec_lo, s40
.LBB4_1986:                             ;   in Loop: Header=BB4_129 Depth=2
	s_delay_alu instid0(SALU_CYCLE_1)
	s_or_b32 exec_lo, exec_lo, s29
.LBB4_1987:                             ;   in Loop: Header=BB4_129 Depth=2
	s_delay_alu instid0(SALU_CYCLE_1) | instskip(SKIP_2) | instid1(VALU_DEP_1)
	s_or_b32 exec_lo, exec_lo, s10
	v_lshrrev_b32_e32 v14, 16, v11
	s_mov_b32 s10, exec_lo
	v_and_b32_e32 v16, 0xff, v14
	s_delay_alu instid0(VALU_DEP_1)
	v_cmpx_ne_u16_e32 0, v16
	s_cbranch_execz .LBB4_1997
; %bb.1988:                             ;   in Loop: Header=BB4_129 Depth=2
	v_bfrev_b32_e32 v2, 1
	s_mov_b32 s29, exec_lo
	v_cmpx_ne_u16_e32 0x80, v16
	s_cbranch_execz .LBB4_1996
; %bb.1989:                             ;   in Loop: Header=BB4_129 Depth=2
	v_and_b32_e32 v2, 0x7c0000, v11
	v_bfe_u32 v16, v11, 16, 2
	s_delay_alu instid0(VALU_DEP_2) | instskip(SKIP_1) | instid1(SALU_CYCLE_1)
	v_cmp_ne_u32_e32 vcc_lo, 0x7c0000, v2
                                        ; implicit-def: $vgpr2
	s_and_saveexec_b32 s40, vcc_lo
	s_xor_b32 s40, exec_lo, s40
	s_cbranch_execz .LBB4_1993
; %bb.1990:                             ;   in Loop: Header=BB4_129 Depth=2
	v_bfe_u32 v2, v11, 18, 5
	s_mov_b32 s41, exec_lo
	s_delay_alu instid0(VALU_DEP_1)
	v_cmpx_eq_u32_e32 0, v2
; %bb.1991:                             ;   in Loop: Header=BB4_129 Depth=2
	v_clz_i32_u32_e32 v2, v16
	s_delay_alu instid0(VALU_DEP_1) | instskip(NEXT) | instid1(VALU_DEP_1)
	v_min_u32_e32 v2, 32, v2
	v_subrev_nc_u32_e32 v16, 29, v2
	s_delay_alu instid0(VALU_DEP_1) | instskip(NEXT) | instid1(VALU_DEP_1)
	v_lshlrev_b64_e32 v[16:17], v16, v[14:15]
	v_dual_sub_nc_u32 v2, 30, v2 :: v_dual_bitop2_b32 v16, 3, v16 bitop3:0x40
; %bb.1992:                             ;   in Loop: Header=BB4_129 Depth=2
	s_or_b32 exec_lo, exec_lo, s41
	v_lshlrev_b32_e32 v14, 24, v14
	s_delay_alu instid0(VALU_DEP_1) | instskip(NEXT) | instid1(VALU_DEP_1)
	v_and_b32_e32 v14, 0x80000000, v14
	v_lshl_add_u32 v2, v2, 23, v14
                                        ; implicit-def: $vgpr14
	s_delay_alu instid0(VALU_DEP_1) | instskip(NEXT) | instid1(VALU_DEP_1)
	v_lshl_or_b32 v2, v16, 21, v2
                                        ; implicit-def: $vgpr16
	v_add_nc_u32_e32 v2, 0x38000000, v2
.LBB4_1993:                             ;   in Loop: Header=BB4_129 Depth=2
	s_and_not1_saveexec_b32 s40, s40
; %bb.1994:                             ;   in Loop: Header=BB4_129 Depth=2
	v_bfe_i32 v2, v14, 0, 8
	s_delay_alu instid0(VALU_DEP_1) | instskip(SKIP_2) | instid1(VALU_DEP_2)
	v_cmp_lt_i16_e32 vcc_lo, -1, v2
	v_cndmask_b32_e32 v2, 0xff800000, v126, vcc_lo
	v_cmp_eq_u32_e32 vcc_lo, 0, v16
	v_cndmask_b32_e32 v2, 0x7f800001, v2, vcc_lo
; %bb.1995:                             ;   in Loop: Header=BB4_129 Depth=2
	s_or_b32 exec_lo, exec_lo, s40
.LBB4_1996:                             ;   in Loop: Header=BB4_129 Depth=2
	s_delay_alu instid0(SALU_CYCLE_1)
	s_or_b32 exec_lo, exec_lo, s29
.LBB4_1997:                             ;   in Loop: Header=BB4_129 Depth=2
	s_delay_alu instid0(SALU_CYCLE_1) | instskip(NEXT) | instid1(VALU_DEP_1)
	s_or_b32 exec_lo, exec_lo, s10
	v_add_f32_e32 v17, v15, v2
	v_dual_mov_b32 v21, v39 :: v_dual_mov_b32 v15, v39
                                        ; implicit-def: $vgpr16
	s_mov_b32 s10, exec_lo
	s_delay_alu instid0(VALU_DEP_2) | instskip(SKIP_2) | instid1(VALU_DEP_3)
	v_and_b32_e32 v20, 0x7f800000, v17
	v_and_b32_e32 v14, 0x7fffff, v17
	v_lshrrev_b32_e32 v2, 24, v17
	v_cmpx_ne_u64_e32 0x7f800000, v[20:21]
	s_xor_b32 s29, exec_lo, s10
	s_cbranch_execz .LBB4_2011
; %bb.1998:                             ;   in Loop: Header=BB4_129 Depth=2
	v_and_b32_e32 v20, 0x7fffffff, v17
	v_mov_b32_e32 v21, v39
	v_and_b32_e32 v2, 0x80, v2
                                        ; implicit-def: $vgpr16
	s_mov_b32 s10, exec_lo
	s_delay_alu instid0(VALU_DEP_2)
	v_cmpx_gt_u64_e32 0x47600001, v[20:21]
	s_xor_b32 s40, exec_lo, s10
	s_cbranch_execz .LBB4_2008
; %bb.1999:                             ;   in Loop: Header=BB4_129 Depth=2
	v_mov_b32_e32 v16, 0
	s_mov_b32 s41, exec_lo
	v_cmpx_ne_u32_e32 0, v17
	s_cbranch_execz .LBB4_2007
; %bb.2000:                             ;   in Loop: Header=BB4_129 Depth=2
	v_bfe_u32 v20, v17, 23, 8
	v_or_b32_e32 v24, 0x800000, v14
	s_delay_alu instid0(VALU_DEP_2) | instskip(SKIP_1) | instid1(VALU_DEP_2)
	v_sub_nc_u32_e32 v16, 0x71, v20
	v_cmp_gt_u32_e32 vcc_lo, 0x72, v20
	v_cndmask_b32_e32 v16, 0, v16, vcc_lo
	v_cmp_eq_u32_e32 vcc_lo, 0, v20
	s_delay_alu instid0(VALU_DEP_2) | instskip(NEXT) | instid1(VALU_DEP_1)
	v_cndmask_b32_e64 v21, v16, 0x70, vcc_lo
	v_dual_cndmask_b32 v14, v24, v14, vcc_lo :: v_dual_add_nc_u32 v16, 21, v21
	v_add_nc_u32_e32 v25, 20, v21
	s_delay_alu instid0(VALU_DEP_2) | instskip(NEXT) | instid1(VALU_DEP_2)
	v_lshlrev_b64_e64 v[16:17], v16, -1
	v_lshlrev_b64_e64 v[24:25], v25, 1
	s_delay_alu instid0(VALU_DEP_2) | instskip(SKIP_1) | instid1(VALU_DEP_4)
	v_bfi_b32 v16, v16, 0, v14
	v_lshrrev_b64 v[14:15], v21, v[14:15]
	v_bfi_b32 v17, v17, 0, 0
	s_delay_alu instid0(VALU_DEP_1) | instskip(NEXT) | instid1(VALU_DEP_3)
	v_cmp_eq_u64_e64 s10, v[16:17], v[24:25]
	v_mov_b64_e32 v[16:17], v[14:15]
	s_and_saveexec_b32 s42, s10
; %bb.2001:                             ;   in Loop: Header=BB4_129 Depth=2
	v_bfe_u32 v16, v14, 21, 1
	v_mov_b32_e32 v17, v39
	s_delay_alu instid0(VALU_DEP_1) | instskip(NEXT) | instid1(VALU_DEP_1)
	v_add_nc_u64_e32 v[16:17], v[14:15], v[16:17]
	v_add_nc_u64_e32 v[16:17], -1, v[16:17]
; %bb.2002:                             ;   in Loop: Header=BB4_129 Depth=2
	s_or_b32 exec_lo, exec_lo, s42
	v_add_nc_u32_e32 v15, 0xffffff81, v20
	v_lshrrev_b32_e32 v17, 23, v14
	s_mov_b32 s10, exec_lo
	s_delay_alu instid0(VALU_DEP_2) | instskip(NEXT) | instid1(VALU_DEP_1)
	v_cndmask_b32_e64 v15, v15, 0xffffff82, vcc_lo
	v_add3_u32 v17, v21, v15, v17
	v_and_b32_e32 v15, 0x1fffff, v16
                                        ; implicit-def: $vgpr16
	s_delay_alu instid0(VALU_DEP_1) | instskip(SKIP_1) | instid1(VALU_DEP_2)
	v_dual_add_nc_u32 v20, 14, v17 :: v_dual_add_nc_u32 v14, v15, v14
	v_mov_b32_e32 v15, v39
	v_cmpx_ne_u32_e32 0, v20
	s_xor_b32 s10, exec_lo, s10
; %bb.2003:                             ;   in Loop: Header=BB4_129 Depth=2
	s_delay_alu instid0(VALU_DEP_2) | instskip(SKIP_2) | instid1(VALU_DEP_2)
	v_cmp_lt_u64_e32 vcc_lo, 0xffffff, v[14:15]
	v_add_nc_u32_e32 v16, 15, v17
	v_cndmask_b32_e64 v17, 0, 1, vcc_lo
	v_cndmask_b32_e32 v16, v20, v16, vcc_lo
	s_delay_alu instid0(VALU_DEP_2)
	v_lshrrev_b64 v[14:15], v17, v[14:15]
; %bb.2004:                             ;   in Loop: Header=BB4_129 Depth=2
	s_and_not1_saveexec_b32 s10, s10
; %bb.2005:                             ;   in Loop: Header=BB4_129 Depth=2
	s_delay_alu instid0(VALU_DEP_1)
	v_bfe_u32 v16, v14, 23, 1
; %bb.2006:                             ;   in Loop: Header=BB4_129 Depth=2
	s_or_b32 exec_lo, exec_lo, s10
	s_delay_alu instid0(VALU_DEP_2) | instskip(NEXT) | instid1(VALU_DEP_2)
	v_lshrrev_b64 v[14:15], 21, v[14:15]
	v_cmp_gt_i32_e32 vcc_lo, 32, v16
	v_min_i32_e32 v17, 31, v16
	v_cmp_eq_u32_e64 s10, 0, v16
	s_delay_alu instid0(VALU_DEP_2) | instskip(SKIP_1) | instid1(VALU_DEP_2)
	v_dual_cndmask_b32 v15, 0, v15, vcc_lo :: v_dual_lshlrev_b32 v17, 2, v17
	v_cndmask_b32_e32 v14, 3, v14, vcc_lo
	v_and_b32_e32 v17, 0xfc, v17
	s_delay_alu instid0(VALU_DEP_2) | instskip(NEXT) | instid1(VALU_DEP_2)
	v_cmp_eq_u64_e32 vcc_lo, 0, v[14:15]
	v_and_or_b32 v14, v14, 3, v17
	s_and_b32 s10, s10, vcc_lo
	s_delay_alu instid0(VALU_DEP_1) | instid1(SALU_CYCLE_1)
	v_cndmask_b32_e64 v14, v14, 0, s10
	s_delay_alu instid0(VALU_DEP_1)
	v_or_b32_e32 v16, v14, v2
.LBB4_2007:                             ;   in Loop: Header=BB4_129 Depth=2
	s_or_b32 exec_lo, exec_lo, s41
                                        ; implicit-def: $vgpr2
.LBB4_2008:                             ;   in Loop: Header=BB4_129 Depth=2
	s_and_not1_saveexec_b32 s10, s40
; %bb.2009:                             ;   in Loop: Header=BB4_129 Depth=2
	v_or_b32_e32 v16, 0x7b, v2
; %bb.2010:                             ;   in Loop: Header=BB4_129 Depth=2
	s_or_b32 exec_lo, exec_lo, s10
                                        ; implicit-def: $vgpr17
                                        ; implicit-def: $vgpr14_vgpr15
                                        ; implicit-def: $vgpr2
.LBB4_2011:                             ;   in Loop: Header=BB4_129 Depth=2
	s_and_not1_saveexec_b32 s10, s29
	s_cbranch_execz .LBB4_2017
; %bb.2012:                             ;   in Loop: Header=BB4_129 Depth=2
	s_mov_b32 s29, exec_lo
                                        ; implicit-def: $vgpr16
	v_cmpx_ne_u64_e32 0, v[14:15]
	s_xor_b32 s29, exec_lo, s29
; %bb.2013:                             ;   in Loop: Header=BB4_129 Depth=2
	v_or_b32_e32 v16, 0x7f, v2
                                        ; implicit-def: $vgpr17
; %bb.2014:                             ;   in Loop: Header=BB4_129 Depth=2
	s_and_not1_saveexec_b32 s29, s29
; %bb.2015:                             ;   in Loop: Header=BB4_129 Depth=2
	v_cmp_lt_i32_e32 vcc_lo, -1, v17
	v_cndmask_b32_e32 v16, 0xfc, v122, vcc_lo
; %bb.2016:                             ;   in Loop: Header=BB4_129 Depth=2
	s_or_b32 exec_lo, exec_lo, s29
.LBB4_2017:                             ;   in Loop: Header=BB4_129 Depth=2
	s_delay_alu instid0(SALU_CYCLE_1)
	s_or_b32 exec_lo, exec_lo, s10
	v_dual_mov_b32 v2, 0 :: v_dual_mov_b32 v15, 0
	s_mov_b32 s10, exec_lo
	v_cmpx_lt_u32_e32 0xffffff, v38
	s_cbranch_execz .LBB4_2027
; %bb.2018:                             ;   in Loop: Header=BB4_129 Depth=2
	v_lshrrev_b32_e32 v14, 24, v38
	v_bfrev_b32_e32 v15, 1
	s_mov_b32 s29, exec_lo
	s_delay_alu instid0(VALU_DEP_2)
	v_cmpx_ne_u32_e32 0x80, v14
	s_cbranch_execz .LBB4_2026
; %bb.2019:                             ;   in Loop: Header=BB4_129 Depth=2
	v_and_b32_e32 v15, 0x7c000000, v38
	v_bfe_u32 v17, v38, 24, 2
	s_delay_alu instid0(VALU_DEP_2) | instskip(SKIP_1) | instid1(SALU_CYCLE_1)
	v_cmp_ne_u32_e32 vcc_lo, 0x7c000000, v15
                                        ; implicit-def: $vgpr15
	s_and_saveexec_b32 s40, vcc_lo
	s_xor_b32 s40, exec_lo, s40
	s_cbranch_execz .LBB4_2023
; %bb.2020:                             ;   in Loop: Header=BB4_129 Depth=2
	v_bfe_u32 v15, v38, 26, 5
	s_mov_b32 s41, exec_lo
	s_delay_alu instid0(VALU_DEP_1)
	v_cmpx_eq_u32_e32 0, v15
; %bb.2021:                             ;   in Loop: Header=BB4_129 Depth=2
	v_clz_i32_u32_e32 v15, v17
	s_delay_alu instid0(VALU_DEP_1) | instskip(NEXT) | instid1(VALU_DEP_1)
	v_min_u32_e32 v17, 32, v15
	v_subrev_nc_u32_e32 v15, 29, v17
	s_delay_alu instid0(VALU_DEP_1) | instskip(NEXT) | instid1(VALU_DEP_1)
	v_lshlrev_b64_e32 v[14:15], v15, v[14:15]
	v_dual_sub_nc_u32 v15, 30, v17 :: v_dual_bitop2_b32 v17, 3, v14 bitop3:0x40
; %bb.2022:                             ;   in Loop: Header=BB4_129 Depth=2
	s_or_b32 exec_lo, exec_lo, s41
	v_and_b32_e32 v14, 0x80000000, v38
	s_delay_alu instid0(VALU_DEP_1) | instskip(NEXT) | instid1(VALU_DEP_1)
	v_lshl_add_u32 v14, v15, 23, v14
	v_lshl_or_b32 v14, v17, 21, v14
                                        ; implicit-def: $vgpr17
	s_delay_alu instid0(VALU_DEP_1)
	v_add_nc_u32_e32 v15, 0x38000000, v14
.LBB4_2023:                             ;   in Loop: Header=BB4_129 Depth=2
	s_and_not1_saveexec_b32 s40, s40
; %bb.2024:                             ;   in Loop: Header=BB4_129 Depth=2
	v_cmp_lt_i32_e32 vcc_lo, -1, v38
	v_cndmask_b32_e32 v14, 0xff800000, v126, vcc_lo
	v_cmp_eq_u32_e32 vcc_lo, 0, v17
	s_delay_alu instid0(VALU_DEP_2)
	v_cndmask_b32_e32 v15, 0x7f800001, v14, vcc_lo
; %bb.2025:                             ;   in Loop: Header=BB4_129 Depth=2
	s_or_b32 exec_lo, exec_lo, s40
.LBB4_2026:                             ;   in Loop: Header=BB4_129 Depth=2
	s_delay_alu instid0(SALU_CYCLE_1)
	s_or_b32 exec_lo, exec_lo, s29
.LBB4_2027:                             ;   in Loop: Header=BB4_129 Depth=2
	s_delay_alu instid0(SALU_CYCLE_1) | instskip(NEXT) | instid1(SALU_CYCLE_1)
	s_or_b32 exec_lo, exec_lo, s10
	s_mov_b32 s10, exec_lo
	v_cmpx_lt_u64_e64 s[12:13], v[10:11]
	s_cbranch_execz .LBB4_2037
; %bb.2028:                             ;   in Loop: Header=BB4_129 Depth=2
	v_lshrrev_b32_e32 v14, 24, v11
	v_bfrev_b32_e32 v2, 1
	s_mov_b32 s29, exec_lo
	s_delay_alu instid0(VALU_DEP_2)
	v_cmpx_ne_u32_e32 0x80, v14
	s_cbranch_execz .LBB4_2036
; %bb.2029:                             ;   in Loop: Header=BB4_129 Depth=2
	v_and_b32_e32 v2, 0x7c000000, v11
	v_bfe_u32 v17, v11, 24, 2
	s_delay_alu instid0(VALU_DEP_2) | instskip(SKIP_1) | instid1(SALU_CYCLE_1)
	v_cmp_ne_u32_e32 vcc_lo, 0x7c000000, v2
                                        ; implicit-def: $vgpr2
	s_and_saveexec_b32 s40, vcc_lo
	s_xor_b32 s40, exec_lo, s40
	s_cbranch_execz .LBB4_2033
; %bb.2030:                             ;   in Loop: Header=BB4_129 Depth=2
	v_bfe_u32 v2, v11, 26, 5
	s_mov_b32 s41, exec_lo
	s_delay_alu instid0(VALU_DEP_1)
	v_cmpx_eq_u32_e32 0, v2
; %bb.2031:                             ;   in Loop: Header=BB4_129 Depth=2
	v_clz_i32_u32_e32 v2, v17
	s_delay_alu instid0(VALU_DEP_1) | instskip(NEXT) | instid1(VALU_DEP_1)
	v_min_u32_e32 v2, 32, v2
	v_subrev_nc_u32_e32 v17, 29, v2
	s_delay_alu instid0(VALU_DEP_1) | instskip(NEXT) | instid1(VALU_DEP_1)
	v_lshlrev_b64_e32 v[20:21], v17, v[14:15]
	v_dual_sub_nc_u32 v2, 30, v2 :: v_dual_bitop2_b32 v17, 3, v20 bitop3:0x40
; %bb.2032:                             ;   in Loop: Header=BB4_129 Depth=2
	s_or_b32 exec_lo, exec_lo, s41
	v_and_b32_e32 v14, 0x80000000, v11
	s_delay_alu instid0(VALU_DEP_1) | instskip(NEXT) | instid1(VALU_DEP_1)
	v_lshl_add_u32 v2, v2, 23, v14
	v_lshl_or_b32 v2, v17, 21, v2
                                        ; implicit-def: $vgpr17
	s_delay_alu instid0(VALU_DEP_1)
	v_add_nc_u32_e32 v2, 0x38000000, v2
.LBB4_2033:                             ;   in Loop: Header=BB4_129 Depth=2
	s_and_not1_saveexec_b32 s40, s40
; %bb.2034:                             ;   in Loop: Header=BB4_129 Depth=2
	v_cmp_lt_i64_e32 vcc_lo, -1, v[10:11]
	v_cndmask_b32_e32 v2, 0xff800000, v126, vcc_lo
	v_cmp_eq_u32_e32 vcc_lo, 0, v17
	s_delay_alu instid0(VALU_DEP_2)
	v_cndmask_b32_e32 v2, 0x7f800001, v2, vcc_lo
; %bb.2035:                             ;   in Loop: Header=BB4_129 Depth=2
	s_or_b32 exec_lo, exec_lo, s40
.LBB4_2036:                             ;   in Loop: Header=BB4_129 Depth=2
	s_delay_alu instid0(SALU_CYCLE_1)
	s_or_b32 exec_lo, exec_lo, s29
.LBB4_2037:                             ;   in Loop: Header=BB4_129 Depth=2
	s_delay_alu instid0(SALU_CYCLE_1) | instskip(NEXT) | instid1(VALU_DEP_1)
	s_or_b32 exec_lo, exec_lo, s10
	v_add_f32_e32 v10, v15, v2
	v_mov_b32_e32 v15, v39
                                        ; implicit-def: $vgpr17
	s_mov_b32 s10, exec_lo
	s_delay_alu instid0(VALU_DEP_2) | instskip(SKIP_2) | instid1(VALU_DEP_3)
	v_and_b32_e32 v14, 0x7f800000, v10
	v_and_b32_e32 v38, 0x7fffff, v10
	v_lshrrev_b32_e32 v2, 24, v10
	v_cmpx_ne_u64_e32 0x7f800000, v[14:15]
	s_xor_b32 s29, exec_lo, s10
	s_cbranch_execz .LBB4_2051
; %bb.2038:                             ;   in Loop: Header=BB4_129 Depth=2
	v_and_b32_e32 v14, 0x7fffffff, v10
	v_mov_b32_e32 v15, v39
	v_and_b32_e32 v2, 0x80, v2
                                        ; implicit-def: $vgpr17
	s_mov_b32 s10, exec_lo
	s_delay_alu instid0(VALU_DEP_2)
	v_cmpx_gt_u64_e32 0x47600001, v[14:15]
	s_xor_b32 s40, exec_lo, s10
	s_cbranch_execz .LBB4_2048
; %bb.2039:                             ;   in Loop: Header=BB4_129 Depth=2
	v_mov_b32_e32 v17, 0
	s_mov_b32 s41, exec_lo
	v_cmpx_ne_u32_e32 0, v10
	s_cbranch_execz .LBB4_2047
; %bb.2040:                             ;   in Loop: Header=BB4_129 Depth=2
	v_bfe_u32 v17, v10, 23, 8
	v_or_b32_e32 v14, 0x800000, v38
	s_mov_b32 s42, exec_lo
	s_delay_alu instid0(VALU_DEP_2) | instskip(SKIP_1) | instid1(VALU_DEP_2)
	v_dual_mov_b32 v15, v39 :: v_dual_sub_nc_u32 v10, 0x71, v17
	v_cmp_gt_u32_e32 vcc_lo, 0x72, v17
	v_cndmask_b32_e32 v10, 0, v10, vcc_lo
	v_cmp_eq_u32_e32 vcc_lo, 0, v17
	s_delay_alu instid0(VALU_DEP_2) | instskip(NEXT) | instid1(VALU_DEP_1)
	v_cndmask_b32_e64 v20, v10, 0x70, vcc_lo
	v_dual_cndmask_b32 v14, v14, v38, vcc_lo :: v_dual_add_nc_u32 v10, 21, v20
	v_add_nc_u32_e32 v21, 20, v20
	s_delay_alu instid0(VALU_DEP_2) | instskip(NEXT) | instid1(VALU_DEP_2)
	v_lshlrev_b64_e64 v[10:11], v10, -1
	v_lshlrev_b64_e64 v[24:25], v21, 1
	s_delay_alu instid0(VALU_DEP_2) | instskip(NEXT) | instid1(VALU_DEP_3)
	v_bfi_b32 v75, v11, 0, 0
	v_bfi_b32 v74, v10, 0, v14
	v_lshrrev_b64 v[10:11], v20, v[14:15]
	s_delay_alu instid0(VALU_DEP_1) | instskip(NEXT) | instid1(VALU_DEP_3)
	v_mov_b64_e32 v[14:15], v[10:11]
	v_cmpx_eq_u64_e64 v[74:75], v[24:25]
; %bb.2041:                             ;   in Loop: Header=BB4_129 Depth=2
	v_bfe_u32 v14, v10, 21, 1
	v_mov_b32_e32 v15, v39
	s_delay_alu instid0(VALU_DEP_1) | instskip(NEXT) | instid1(VALU_DEP_1)
	v_add_nc_u64_e32 v[14:15], v[10:11], v[14:15]
	v_add_nc_u64_e32 v[14:15], -1, v[14:15]
; %bb.2042:                             ;   in Loop: Header=BB4_129 Depth=2
	s_or_b32 exec_lo, exec_lo, s42
	v_add_nc_u32_e32 v11, 0xffffff81, v17
	v_lshrrev_b32_e32 v15, 23, v10
	s_mov_b32 s10, exec_lo
	s_delay_alu instid0(VALU_DEP_2) | instskip(NEXT) | instid1(VALU_DEP_1)
	v_cndmask_b32_e64 v11, v11, 0xffffff82, vcc_lo
	v_add3_u32 v15, v20, v11, v15
	v_and_b32_e32 v11, 0x1fffff, v14
                                        ; implicit-def: $vgpr14
	s_delay_alu instid0(VALU_DEP_1) | instskip(NEXT) | instid1(VALU_DEP_1)
	v_dual_add_nc_u32 v17, 14, v15 :: v_dual_add_nc_u32 v38, v11, v10
                                        ; implicit-def: $vgpr10_vgpr11
	v_cmpx_ne_u32_e32 0, v17
	s_xor_b32 s10, exec_lo, s10
; %bb.2043:                             ;   in Loop: Header=BB4_129 Depth=2
	s_delay_alu instid0(VALU_DEP_2) | instskip(SKIP_1) | instid1(VALU_DEP_1)
	v_cmp_lt_u64_e32 vcc_lo, 0xffffff, v[38:39]
	v_add_nc_u32_e32 v10, 15, v15
	v_cndmask_b32_e32 v14, v17, v10, vcc_lo
	v_cndmask_b32_e64 v10, 0, 1, vcc_lo
	s_delay_alu instid0(VALU_DEP_1)
	v_lshrrev_b64 v[10:11], v10, v[38:39]
; %bb.2044:                             ;   in Loop: Header=BB4_129 Depth=2
	s_and_not1_saveexec_b32 s10, s10
; %bb.2045:                             ;   in Loop: Header=BB4_129 Depth=2
	v_mov_b64_e32 v[10:11], v[38:39]
	v_bfe_u32 v14, v38, 23, 1
; %bb.2046:                             ;   in Loop: Header=BB4_129 Depth=2
	s_or_b32 exec_lo, exec_lo, s10
	s_delay_alu instid0(VALU_DEP_2) | instskip(NEXT) | instid1(VALU_DEP_2)
	v_lshrrev_b64 v[10:11], 21, v[10:11]
	v_cmp_gt_i32_e32 vcc_lo, 32, v14
	v_min_i32_e32 v15, 31, v14
	v_cmp_eq_u32_e64 s10, 0, v14
	s_delay_alu instid0(VALU_DEP_4) | instskip(NEXT) | instid1(VALU_DEP_3)
	v_cndmask_b32_e32 v11, 0, v11, vcc_lo
	v_dual_cndmask_b32 v10, 3, v10 :: v_dual_lshlrev_b32 v15, 2, v15
	s_delay_alu instid0(VALU_DEP_1) | instskip(NEXT) | instid1(VALU_DEP_2)
	v_and_b32_e32 v15, 0xfc, v15
	v_cmp_eq_u64_e32 vcc_lo, 0, v[10:11]
	s_delay_alu instid0(VALU_DEP_2)
	v_and_or_b32 v10, v10, 3, v15
	s_and_b32 s10, s10, vcc_lo
	s_delay_alu instid0(VALU_DEP_1) | instid1(SALU_CYCLE_1)
	v_cndmask_b32_e64 v10, v10, 0, s10
	s_delay_alu instid0(VALU_DEP_1)
	v_or_b32_e32 v17, v10, v2
.LBB4_2047:                             ;   in Loop: Header=BB4_129 Depth=2
	s_or_b32 exec_lo, exec_lo, s41
                                        ; implicit-def: $vgpr2
.LBB4_2048:                             ;   in Loop: Header=BB4_129 Depth=2
	s_and_not1_saveexec_b32 s10, s40
; %bb.2049:                             ;   in Loop: Header=BB4_129 Depth=2
	v_or_b32_e32 v17, 0x7b, v2
; %bb.2050:                             ;   in Loop: Header=BB4_129 Depth=2
	s_or_b32 exec_lo, exec_lo, s10
                                        ; implicit-def: $vgpr10
                                        ; implicit-def: $vgpr2
.LBB4_2051:                             ;   in Loop: Header=BB4_129 Depth=2
	s_and_not1_saveexec_b32 s10, s29
	s_cbranch_execz .LBB4_2057
; %bb.2052:                             ;   in Loop: Header=BB4_129 Depth=2
	s_mov_b32 s29, exec_lo
                                        ; implicit-def: $vgpr17
	v_cmpx_ne_u64_e32 0, v[38:39]
	s_xor_b32 s29, exec_lo, s29
; %bb.2053:                             ;   in Loop: Header=BB4_129 Depth=2
	v_or_b32_e32 v17, 0x7f, v2
                                        ; implicit-def: $vgpr10
; %bb.2054:                             ;   in Loop: Header=BB4_129 Depth=2
	s_and_not1_saveexec_b32 s29, s29
; %bb.2055:                             ;   in Loop: Header=BB4_129 Depth=2
	v_cmp_lt_i32_e32 vcc_lo, -1, v10
	v_cndmask_b32_e32 v17, 0xfc, v122, vcc_lo
; %bb.2056:                             ;   in Loop: Header=BB4_129 Depth=2
	s_or_b32 exec_lo, exec_lo, s29
.LBB4_2057:                             ;   in Loop: Header=BB4_129 Depth=2
	s_delay_alu instid0(SALU_CYCLE_1) | instskip(SKIP_4) | instid1(VALU_DEP_2)
	s_or_b32 exec_lo, exec_lo, s10
	v_lshl_or_b32 v2, v117, 8, v3
	v_dual_lshlrev_b32 v11, 16, v40 :: v_dual_lshlrev_b32 v14, 24, v43
	v_mov_b32_e32 v10, 0
	s_mov_b32 s10, exec_lo
	v_or3_b32 v38, v11, v14, v2
	v_mov_b32_e32 v11, 0
	v_cmpx_ne_u32_e32 0, v3
	s_cbranch_execz .LBB4_2067
; %bb.2058:                             ;   in Loop: Header=BB4_129 Depth=2
	v_bfrev_b32_e32 v11, 1
	s_mov_b32 s29, exec_lo
	v_cmpx_ne_u32_e32 0x80, v3
	s_cbranch_execz .LBB4_2066
; %bb.2059:                             ;   in Loop: Header=BB4_129 Depth=2
	v_and_b32_e32 v11, 0x7c, v3
	v_and_b32_e32 v14, 3, v3
	s_delay_alu instid0(VALU_DEP_2) | instskip(SKIP_1) | instid1(SALU_CYCLE_1)
	v_cmp_ne_u32_e32 vcc_lo, 0x7c, v11
                                        ; implicit-def: $vgpr11
	s_and_saveexec_b32 s40, vcc_lo
	s_xor_b32 s40, exec_lo, s40
	s_cbranch_execz .LBB4_2063
; %bb.2060:                             ;   in Loop: Header=BB4_129 Depth=2
	v_bfe_u32 v11, v3, 2, 5
	s_mov_b32 s41, exec_lo
	s_delay_alu instid0(VALU_DEP_1)
	v_cmpx_eq_u32_e32 0, v11
; %bb.2061:                             ;   in Loop: Header=BB4_129 Depth=2
	v_clz_i32_u32_e32 v11, v14
	s_delay_alu instid0(VALU_DEP_1) | instskip(NEXT) | instid1(VALU_DEP_1)
	v_min_u32_e32 v11, 32, v11
	v_subrev_nc_u32_e32 v14, 29, v11
	s_delay_alu instid0(VALU_DEP_1) | instskip(NEXT) | instid1(VALU_DEP_1)
	v_lshlrev_b64_e32 v[14:15], v14, v[38:39]
	v_dual_sub_nc_u32 v11, 30, v11 :: v_dual_bitop2_b32 v14, 3, v14 bitop3:0x40
; %bb.2062:                             ;   in Loop: Header=BB4_129 Depth=2
	s_or_b32 exec_lo, exec_lo, s41
	v_lshlrev_b32_e32 v3, 24, v3
	s_delay_alu instid0(VALU_DEP_1) | instskip(NEXT) | instid1(VALU_DEP_1)
	v_and_b32_e32 v3, 0x80000000, v3
	v_lshl_add_u32 v3, v11, 23, v3
	s_delay_alu instid0(VALU_DEP_1) | instskip(NEXT) | instid1(VALU_DEP_1)
	v_lshl_or_b32 v3, v14, 21, v3
                                        ; implicit-def: $vgpr14
	v_add_nc_u32_e32 v11, 0x38000000, v3
                                        ; implicit-def: $vgpr3
.LBB4_2063:                             ;   in Loop: Header=BB4_129 Depth=2
	s_and_not1_saveexec_b32 s40, s40
; %bb.2064:                             ;   in Loop: Header=BB4_129 Depth=2
	v_and_b32_e32 v3, 0x80, v3
	s_delay_alu instid0(VALU_DEP_1) | instskip(SKIP_2) | instid1(VALU_DEP_2)
	v_cmp_eq_u32_e32 vcc_lo, 0, v3
	v_cndmask_b32_e32 v3, 0xff800000, v126, vcc_lo
	v_cmp_eq_u32_e32 vcc_lo, 0, v14
	v_cndmask_b32_e32 v11, 0x7f800001, v3, vcc_lo
; %bb.2065:                             ;   in Loop: Header=BB4_129 Depth=2
	s_or_b32 exec_lo, exec_lo, s40
.LBB4_2066:                             ;   in Loop: Header=BB4_129 Depth=2
	s_delay_alu instid0(SALU_CYCLE_1)
	s_or_b32 exec_lo, exec_lo, s29
.LBB4_2067:                             ;   in Loop: Header=BB4_129 Depth=2
	s_delay_alu instid0(SALU_CYCLE_1) | instskip(SKIP_2) | instid1(VALU_DEP_1)
	s_or_b32 exec_lo, exec_lo, s10
	v_and_b32_e32 v3, 0xff, v12
	s_mov_b32 s10, exec_lo
	v_cmpx_ne_u16_e32 0, v3
	s_cbranch_execz .LBB4_2077
; %bb.2068:                             ;   in Loop: Header=BB4_129 Depth=2
	v_bfe_i32 v14, v12, 0, 8
	v_bfrev_b32_e32 v10, 1
	s_mov_b32 s29, exec_lo
	s_delay_alu instid0(VALU_DEP_2)
	v_cmpx_ne_u16_e32 0xff80, v14
	s_cbranch_execz .LBB4_2076
; %bb.2069:                             ;   in Loop: Header=BB4_129 Depth=2
	v_and_b32_e32 v10, 0x7c, v12
	v_and_b32_e32 v3, 3, v12
	s_delay_alu instid0(VALU_DEP_2) | instskip(SKIP_1) | instid1(SALU_CYCLE_1)
	v_cmp_ne_u32_e32 vcc_lo, 0x7c, v10
                                        ; implicit-def: $vgpr10
	s_and_saveexec_b32 s40, vcc_lo
	s_xor_b32 s40, exec_lo, s40
	s_cbranch_execz .LBB4_2073
; %bb.2070:                             ;   in Loop: Header=BB4_129 Depth=2
	v_bfe_u32 v10, v12, 2, 5
	s_mov_b32 s41, exec_lo
	s_delay_alu instid0(VALU_DEP_1)
	v_cmpx_eq_u32_e32 0, v10
; %bb.2071:                             ;   in Loop: Header=BB4_129 Depth=2
	v_clz_i32_u32_e32 v3, v3
	s_delay_alu instid0(VALU_DEP_1) | instskip(NEXT) | instid1(VALU_DEP_1)
	v_min_u32_e32 v3, 32, v3
	v_subrev_nc_u32_e32 v10, 29, v3
	s_delay_alu instid0(VALU_DEP_1) | instskip(NEXT) | instid1(VALU_DEP_1)
	v_lshlrev_b64_e32 v[14:15], v10, v[12:13]
	v_dual_sub_nc_u32 v10, 30, v3 :: v_dual_bitop2_b32 v3, 3, v14 bitop3:0x40
; %bb.2072:                             ;   in Loop: Header=BB4_129 Depth=2
	s_or_b32 exec_lo, exec_lo, s41
	v_lshlrev_b32_e32 v14, 24, v12
	s_delay_alu instid0(VALU_DEP_1) | instskip(NEXT) | instid1(VALU_DEP_1)
	v_and_b32_e32 v14, 0x80000000, v14
	v_lshl_add_u32 v10, v10, 23, v14
                                        ; implicit-def: $vgpr14
	s_delay_alu instid0(VALU_DEP_1) | instskip(NEXT) | instid1(VALU_DEP_1)
	v_lshl_or_b32 v3, v3, 21, v10
	v_add_nc_u32_e32 v10, 0x38000000, v3
                                        ; implicit-def: $vgpr3
.LBB4_2073:                             ;   in Loop: Header=BB4_129 Depth=2
	s_and_not1_saveexec_b32 s40, s40
; %bb.2074:                             ;   in Loop: Header=BB4_129 Depth=2
	v_cmp_lt_i16_e32 vcc_lo, -1, v14
	v_cndmask_b32_e32 v10, 0xff800000, v126, vcc_lo
	v_cmp_eq_u32_e32 vcc_lo, 0, v3
	s_delay_alu instid0(VALU_DEP_2)
	v_cndmask_b32_e32 v10, 0x7f800001, v10, vcc_lo
; %bb.2075:                             ;   in Loop: Header=BB4_129 Depth=2
	s_or_b32 exec_lo, exec_lo, s40
.LBB4_2076:                             ;   in Loop: Header=BB4_129 Depth=2
	s_delay_alu instid0(SALU_CYCLE_1)
	s_or_b32 exec_lo, exec_lo, s29
.LBB4_2077:                             ;   in Loop: Header=BB4_129 Depth=2
	s_delay_alu instid0(SALU_CYCLE_1) | instskip(NEXT) | instid1(VALU_DEP_1)
	s_or_b32 exec_lo, exec_lo, s10
	v_add_f32_e32 v14, v11, v10
	v_dual_mov_b32 v21, v39 :: v_dual_mov_b32 v11, v39
                                        ; implicit-def: $vgpr3
	s_mov_b32 s10, exec_lo
	s_delay_alu instid0(VALU_DEP_2) | instskip(SKIP_2) | instid1(VALU_DEP_3)
	v_and_b32_e32 v20, 0x7f800000, v14
	v_and_b32_e32 v10, 0x7fffff, v14
	v_lshrrev_b32_e32 v15, 24, v14
	v_cmpx_ne_u64_e32 0x7f800000, v[20:21]
	s_xor_b32 s29, exec_lo, s10
	s_cbranch_execz .LBB4_2091
; %bb.2078:                             ;   in Loop: Header=BB4_129 Depth=2
	v_and_b32_e32 v20, 0x7fffffff, v14
	v_mov_b32_e32 v21, v39
	v_and_b32_e32 v117, 0x80, v15
                                        ; implicit-def: $vgpr3
	s_mov_b32 s10, exec_lo
	s_delay_alu instid0(VALU_DEP_2)
	v_cmpx_gt_u64_e32 0x47600001, v[20:21]
	s_xor_b32 s40, exec_lo, s10
	s_cbranch_execz .LBB4_2088
; %bb.2079:                             ;   in Loop: Header=BB4_129 Depth=2
	v_mov_b32_e32 v3, 0
	s_mov_b32 s41, exec_lo
	v_cmpx_ne_u32_e32 0, v14
	s_cbranch_execz .LBB4_2087
; %bb.2080:                             ;   in Loop: Header=BB4_129 Depth=2
	v_bfe_u32 v3, v14, 23, 8
	v_or_b32_e32 v21, 0x800000, v10
	s_delay_alu instid0(VALU_DEP_2) | instskip(SKIP_1) | instid1(VALU_DEP_2)
	v_sub_nc_u32_e32 v14, 0x71, v3
	v_cmp_gt_u32_e32 vcc_lo, 0x72, v3
	v_cndmask_b32_e32 v14, 0, v14, vcc_lo
	v_cmp_eq_u32_e32 vcc_lo, 0, v3
	s_delay_alu instid0(VALU_DEP_2) | instskip(NEXT) | instid1(VALU_DEP_1)
	v_cndmask_b32_e64 v20, v14, 0x70, vcc_lo
	v_dual_cndmask_b32 v10, v21, v10, vcc_lo :: v_dual_add_nc_u32 v14, 21, v20
	v_add_nc_u32_e32 v24, 20, v20
	s_delay_alu instid0(VALU_DEP_2) | instskip(NEXT) | instid1(VALU_DEP_2)
	v_lshlrev_b64_e64 v[14:15], v14, -1
	v_lshlrev_b64_e64 v[24:25], v24, 1
	s_delay_alu instid0(VALU_DEP_2) | instskip(SKIP_1) | instid1(VALU_DEP_4)
	v_bfi_b32 v14, v14, 0, v10
	v_lshrrev_b64 v[10:11], v20, v[10:11]
	v_bfi_b32 v15, v15, 0, 0
	s_delay_alu instid0(VALU_DEP_1) | instskip(NEXT) | instid1(VALU_DEP_3)
	v_cmp_eq_u64_e64 s10, v[14:15], v[24:25]
	v_mov_b64_e32 v[14:15], v[10:11]
	s_and_saveexec_b32 s42, s10
; %bb.2081:                             ;   in Loop: Header=BB4_129 Depth=2
	v_bfe_u32 v14, v10, 21, 1
	v_mov_b32_e32 v15, v39
	s_delay_alu instid0(VALU_DEP_1) | instskip(NEXT) | instid1(VALU_DEP_1)
	v_add_nc_u64_e32 v[14:15], v[10:11], v[14:15]
	v_add_nc_u64_e32 v[14:15], -1, v[14:15]
; %bb.2082:                             ;   in Loop: Header=BB4_129 Depth=2
	s_or_b32 exec_lo, exec_lo, s42
	v_add_nc_u32_e32 v3, 0xffffff81, v3
	v_lshrrev_b32_e32 v11, 23, v10
	s_mov_b32 s10, exec_lo
	s_delay_alu instid0(VALU_DEP_2) | instskip(NEXT) | instid1(VALU_DEP_1)
	v_cndmask_b32_e64 v3, v3, 0xffffff82, vcc_lo
	v_add3_u32 v15, v20, v3, v11
	v_and_b32_e32 v3, 0x1fffff, v14
	s_delay_alu instid0(VALU_DEP_2) | instskip(NEXT) | instid1(VALU_DEP_2)
	v_dual_mov_b32 v11, v39 :: v_dual_add_nc_u32 v14, 14, v15
	v_add_nc_u32_e32 v10, v3, v10
                                        ; implicit-def: $vgpr3
	s_delay_alu instid0(VALU_DEP_2)
	v_cmpx_ne_u32_e32 0, v14
	s_xor_b32 s10, exec_lo, s10
; %bb.2083:                             ;   in Loop: Header=BB4_129 Depth=2
	s_delay_alu instid0(VALU_DEP_2) | instskip(SKIP_1) | instid1(VALU_DEP_1)
	v_cmp_lt_u64_e32 vcc_lo, 0xffffff, v[10:11]
	v_add_nc_u32_e32 v3, 15, v15
	v_cndmask_b32_e32 v3, v14, v3, vcc_lo
	v_cndmask_b32_e64 v14, 0, 1, vcc_lo
	s_delay_alu instid0(VALU_DEP_1)
	v_lshrrev_b64 v[10:11], v14, v[10:11]
; %bb.2084:                             ;   in Loop: Header=BB4_129 Depth=2
	s_and_not1_saveexec_b32 s10, s10
; %bb.2085:                             ;   in Loop: Header=BB4_129 Depth=2
	s_delay_alu instid0(VALU_DEP_1)
	v_bfe_u32 v3, v10, 23, 1
; %bb.2086:                             ;   in Loop: Header=BB4_129 Depth=2
	s_or_b32 exec_lo, exec_lo, s10
	s_delay_alu instid0(VALU_DEP_2) | instskip(NEXT) | instid1(VALU_DEP_2)
	v_lshrrev_b64 v[10:11], 21, v[10:11]
	v_cmp_gt_i32_e32 vcc_lo, 32, v3
	v_min_i32_e32 v14, 31, v3
	v_cmp_eq_u32_e64 s10, 0, v3
	s_delay_alu instid0(VALU_DEP_4) | instskip(NEXT) | instid1(VALU_DEP_3)
	v_cndmask_b32_e32 v10, 3, v10, vcc_lo
	v_dual_cndmask_b32 v11, 0, v11 :: v_dual_lshlrev_b32 v14, 2, v14
	s_delay_alu instid0(VALU_DEP_1) | instskip(NEXT) | instid1(VALU_DEP_2)
	v_and_b32_e32 v14, 0xfc, v14
	v_cmp_eq_u64_e32 vcc_lo, 0, v[10:11]
	s_delay_alu instid0(VALU_DEP_2)
	v_and_or_b32 v3, v10, 3, v14
	s_and_b32 s10, s10, vcc_lo
	s_delay_alu instid0(VALU_DEP_1) | instid1(SALU_CYCLE_1)
	v_cndmask_b32_e64 v3, v3, 0, s10
	s_delay_alu instid0(VALU_DEP_1)
	v_or_b32_e32 v3, v3, v117
.LBB4_2087:                             ;   in Loop: Header=BB4_129 Depth=2
	s_or_b32 exec_lo, exec_lo, s41
                                        ; implicit-def: $vgpr117
.LBB4_2088:                             ;   in Loop: Header=BB4_129 Depth=2
	s_and_not1_saveexec_b32 s10, s40
; %bb.2089:                             ;   in Loop: Header=BB4_129 Depth=2
	v_or_b32_e32 v3, 0x7b, v117
; %bb.2090:                             ;   in Loop: Header=BB4_129 Depth=2
	s_or_b32 exec_lo, exec_lo, s10
                                        ; implicit-def: $vgpr14
                                        ; implicit-def: $vgpr10_vgpr11
                                        ; implicit-def: $vgpr15
.LBB4_2091:                             ;   in Loop: Header=BB4_129 Depth=2
	s_and_not1_saveexec_b32 s10, s29
	s_cbranch_execz .LBB4_2097
; %bb.2092:                             ;   in Loop: Header=BB4_129 Depth=2
	s_mov_b32 s29, exec_lo
                                        ; implicit-def: $vgpr3
	v_cmpx_ne_u64_e32 0, v[10:11]
	s_xor_b32 s29, exec_lo, s29
; %bb.2093:                             ;   in Loop: Header=BB4_129 Depth=2
	v_or_b32_e32 v3, 0x7f, v15
                                        ; implicit-def: $vgpr14
; %bb.2094:                             ;   in Loop: Header=BB4_129 Depth=2
	s_and_not1_saveexec_b32 s29, s29
; %bb.2095:                             ;   in Loop: Header=BB4_129 Depth=2
	v_cmp_lt_i32_e32 vcc_lo, -1, v14
	v_cndmask_b32_e32 v3, 0xfc, v122, vcc_lo
; %bb.2096:                             ;   in Loop: Header=BB4_129 Depth=2
	s_or_b32 exec_lo, exec_lo, s29
.LBB4_2097:                             ;   in Loop: Header=BB4_129 Depth=2
	s_delay_alu instid0(SALU_CYCLE_1) | instskip(SKIP_3) | instid1(VALU_DEP_2)
	s_or_b32 exec_lo, exec_lo, s10
	v_lshrrev_b16 v10, 8, v2
	v_dual_mov_b32 v14, 0 :: v_dual_mov_b32 v15, 0
	s_mov_b32 s10, exec_lo
	v_cmpx_ne_u16_e32 0, v10
	s_cbranch_execz .LBB4_2107
; %bb.2098:                             ;   in Loop: Header=BB4_129 Depth=2
	v_bfrev_b32_e32 v15, 1
	s_mov_b32 s29, exec_lo
	v_cmpx_ne_u16_e32 0x80, v10
	s_cbranch_execz .LBB4_2106
; %bb.2099:                             ;   in Loop: Header=BB4_129 Depth=2
	v_and_b32_e32 v20, 0xffff, v10
	s_delay_alu instid0(VALU_DEP_1) | instskip(SKIP_1) | instid1(VALU_DEP_2)
	v_and_b32_e32 v15, 0x7c, v20
	v_and_b32_e32 v11, 3, v20
	v_cmp_ne_u32_e32 vcc_lo, 0x7c, v15
                                        ; implicit-def: $vgpr15
	s_and_saveexec_b32 s40, vcc_lo
	s_delay_alu instid0(SALU_CYCLE_1)
	s_xor_b32 s40, exec_lo, s40
	s_cbranch_execz .LBB4_2103
; %bb.2100:                             ;   in Loop: Header=BB4_129 Depth=2
	v_bfe_u32 v15, v20, 2, 5
	s_mov_b32 s41, exec_lo
	s_delay_alu instid0(VALU_DEP_1)
	v_cmpx_eq_u32_e32 0, v15
	s_cbranch_execz .LBB4_2102
; %bb.2101:                             ;   in Loop: Header=BB4_129 Depth=2
	v_clz_i32_u32_e32 v11, v11
	s_delay_alu instid0(VALU_DEP_1) | instskip(SKIP_1) | instid1(VALU_DEP_2)
	v_min_u32_e32 v15, 32, v11
	v_mov_b32_e32 v11, v39
	v_subrev_nc_u32_e32 v20, 29, v15
	v_sub_nc_u32_e32 v15, 30, v15
	s_delay_alu instid0(VALU_DEP_2) | instskip(NEXT) | instid1(VALU_DEP_1)
	v_lshlrev_b64_e32 v[10:11], v20, v[10:11]
	v_and_b32_e32 v11, 3, v10
.LBB4_2102:                             ;   in Loop: Header=BB4_129 Depth=2
	s_or_b32 exec_lo, exec_lo, s41
	v_lshlrev_b32_e32 v2, 16, v2
	s_delay_alu instid0(VALU_DEP_1) | instskip(NEXT) | instid1(VALU_DEP_1)
	v_and_b32_e32 v2, 0x80000000, v2
	v_lshl_add_u32 v2, v15, 23, v2
	s_delay_alu instid0(VALU_DEP_1) | instskip(NEXT) | instid1(VALU_DEP_1)
	v_lshl_or_b32 v2, v11, 21, v2
                                        ; implicit-def: $vgpr11
	v_add_nc_u32_e32 v15, 0x38000000, v2
                                        ; implicit-def: $vgpr2
.LBB4_2103:                             ;   in Loop: Header=BB4_129 Depth=2
	s_and_not1_saveexec_b32 s40, s40
; %bb.2104:                             ;   in Loop: Header=BB4_129 Depth=2
	v_cmp_lt_i16_e32 vcc_lo, -1, v2
	v_cndmask_b32_e32 v2, 0xff800000, v126, vcc_lo
	v_cmp_eq_u32_e32 vcc_lo, 0, v11
	s_delay_alu instid0(VALU_DEP_2)
	v_cndmask_b32_e32 v15, 0x7f800001, v2, vcc_lo
; %bb.2105:                             ;   in Loop: Header=BB4_129 Depth=2
	s_or_b32 exec_lo, exec_lo, s40
.LBB4_2106:                             ;   in Loop: Header=BB4_129 Depth=2
	s_delay_alu instid0(SALU_CYCLE_1)
	s_or_b32 exec_lo, exec_lo, s29
.LBB4_2107:                             ;   in Loop: Header=BB4_129 Depth=2
	s_delay_alu instid0(SALU_CYCLE_1) | instskip(SKIP_2) | instid1(VALU_DEP_1)
	s_or_b32 exec_lo, exec_lo, s10
	v_lshrrev_b16 v10, 8, v12
	s_mov_b32 s10, exec_lo
	v_cmpx_ne_u16_e32 0, v10
	s_cbranch_execz .LBB4_2117
; %bb.2108:                             ;   in Loop: Header=BB4_129 Depth=2
	v_bfrev_b32_e32 v14, 1
	s_mov_b32 s29, exec_lo
	v_cmpx_ne_u16_e32 0x80, v10
	s_cbranch_execz .LBB4_2116
; %bb.2109:                             ;   in Loop: Header=BB4_129 Depth=2
	v_and_b32_e32 v11, 0xffff, v10
	s_delay_alu instid0(VALU_DEP_1) | instskip(SKIP_1) | instid1(VALU_DEP_2)
	v_and_b32_e32 v14, 0x7c, v11
	v_and_b32_e32 v2, 3, v11
	v_cmp_ne_u32_e32 vcc_lo, 0x7c, v14
                                        ; implicit-def: $vgpr14
	s_and_saveexec_b32 s40, vcc_lo
	s_delay_alu instid0(SALU_CYCLE_1)
	s_xor_b32 s40, exec_lo, s40
	s_cbranch_execz .LBB4_2113
; %bb.2110:                             ;   in Loop: Header=BB4_129 Depth=2
	v_bfe_u32 v11, v11, 2, 5
	s_mov_b32 s41, exec_lo
	s_delay_alu instid0(VALU_DEP_1)
	v_cmpx_eq_u32_e32 0, v11
	s_cbranch_execz .LBB4_2112
; %bb.2111:                             ;   in Loop: Header=BB4_129 Depth=2
	v_clz_i32_u32_e32 v2, v2
	v_mov_b32_e32 v11, v39
	s_delay_alu instid0(VALU_DEP_2) | instskip(NEXT) | instid1(VALU_DEP_1)
	v_min_u32_e32 v2, 32, v2
	v_subrev_nc_u32_e32 v14, 29, v2
	s_delay_alu instid0(VALU_DEP_1) | instskip(SKIP_1) | instid1(VALU_DEP_2)
	v_lshlrev_b64_e32 v[10:11], v14, v[10:11]
	v_sub_nc_u32_e32 v11, 30, v2
	v_and_b32_e32 v2, 3, v10
.LBB4_2112:                             ;   in Loop: Header=BB4_129 Depth=2
	s_or_b32 exec_lo, exec_lo, s41
	v_lshlrev_b32_e32 v10, 16, v12
	s_delay_alu instid0(VALU_DEP_1) | instskip(NEXT) | instid1(VALU_DEP_1)
	v_and_b32_e32 v10, 0x80000000, v10
	v_lshl_add_u32 v10, v11, 23, v10
	s_delay_alu instid0(VALU_DEP_1) | instskip(NEXT) | instid1(VALU_DEP_1)
	v_lshl_or_b32 v2, v2, 21, v10
	v_add_nc_u32_e32 v14, 0x38000000, v2
                                        ; implicit-def: $vgpr2
.LBB4_2113:                             ;   in Loop: Header=BB4_129 Depth=2
	s_and_not1_saveexec_b32 s40, s40
; %bb.2114:                             ;   in Loop: Header=BB4_129 Depth=2
	v_cmp_lt_i16_e32 vcc_lo, -1, v12
	v_cndmask_b32_e32 v10, 0xff800000, v126, vcc_lo
	v_cmp_eq_u32_e32 vcc_lo, 0, v2
	s_delay_alu instid0(VALU_DEP_2)
	v_cndmask_b32_e32 v14, 0x7f800001, v10, vcc_lo
; %bb.2115:                             ;   in Loop: Header=BB4_129 Depth=2
	s_or_b32 exec_lo, exec_lo, s40
.LBB4_2116:                             ;   in Loop: Header=BB4_129 Depth=2
	s_delay_alu instid0(SALU_CYCLE_1)
	s_or_b32 exec_lo, exec_lo, s29
.LBB4_2117:                             ;   in Loop: Header=BB4_129 Depth=2
	s_delay_alu instid0(SALU_CYCLE_1) | instskip(NEXT) | instid1(VALU_DEP_1)
	s_or_b32 exec_lo, exec_lo, s10
	v_add_f32_e32 v14, v15, v14
	v_dual_mov_b32 v21, v39 :: v_dual_mov_b32 v11, v39
                                        ; implicit-def: $vgpr117
	s_mov_b32 s10, exec_lo
	s_delay_alu instid0(VALU_DEP_2) | instskip(SKIP_2) | instid1(VALU_DEP_3)
	v_and_b32_e32 v20, 0x7f800000, v14
	v_and_b32_e32 v10, 0x7fffff, v14
	v_lshrrev_b32_e32 v2, 24, v14
	v_cmpx_ne_u64_e32 0x7f800000, v[20:21]
	s_xor_b32 s29, exec_lo, s10
	s_cbranch_execz .LBB4_2131
; %bb.2118:                             ;   in Loop: Header=BB4_129 Depth=2
	v_and_b32_e32 v20, 0x7fffffff, v14
	v_mov_b32_e32 v21, v39
	v_and_b32_e32 v2, 0x80, v2
                                        ; implicit-def: $vgpr117
	s_mov_b32 s10, exec_lo
	s_delay_alu instid0(VALU_DEP_2)
	v_cmpx_gt_u64_e32 0x47600001, v[20:21]
	s_xor_b32 s40, exec_lo, s10
	s_cbranch_execz .LBB4_2128
; %bb.2119:                             ;   in Loop: Header=BB4_129 Depth=2
	v_mov_b32_e32 v117, 0
	s_mov_b32 s41, exec_lo
	v_cmpx_ne_u32_e32 0, v14
	s_cbranch_execz .LBB4_2127
; %bb.2120:                             ;   in Loop: Header=BB4_129 Depth=2
	v_bfe_u32 v20, v14, 23, 8
	v_or_b32_e32 v24, 0x800000, v10
	s_delay_alu instid0(VALU_DEP_2) | instskip(SKIP_1) | instid1(VALU_DEP_2)
	v_sub_nc_u32_e32 v14, 0x71, v20
	v_cmp_gt_u32_e32 vcc_lo, 0x72, v20
	v_cndmask_b32_e32 v14, 0, v14, vcc_lo
	v_cmp_eq_u32_e32 vcc_lo, 0, v20
	s_delay_alu instid0(VALU_DEP_2) | instskip(NEXT) | instid1(VALU_DEP_1)
	v_cndmask_b32_e64 v21, v14, 0x70, vcc_lo
	v_dual_cndmask_b32 v10, v24, v10, vcc_lo :: v_dual_add_nc_u32 v14, 21, v21
	v_add_nc_u32_e32 v25, 20, v21
	s_delay_alu instid0(VALU_DEP_2) | instskip(NEXT) | instid1(VALU_DEP_2)
	v_lshlrev_b64_e64 v[14:15], v14, -1
	v_lshlrev_b64_e64 v[24:25], v25, 1
	s_delay_alu instid0(VALU_DEP_2) | instskip(SKIP_1) | instid1(VALU_DEP_4)
	v_bfi_b32 v14, v14, 0, v10
	v_lshrrev_b64 v[10:11], v21, v[10:11]
	v_bfi_b32 v15, v15, 0, 0
	s_delay_alu instid0(VALU_DEP_1) | instskip(NEXT) | instid1(VALU_DEP_3)
	v_cmp_eq_u64_e64 s10, v[14:15], v[24:25]
	v_mov_b64_e32 v[14:15], v[10:11]
	s_and_saveexec_b32 s42, s10
; %bb.2121:                             ;   in Loop: Header=BB4_129 Depth=2
	v_bfe_u32 v14, v10, 21, 1
	v_mov_b32_e32 v15, v39
	s_delay_alu instid0(VALU_DEP_1) | instskip(NEXT) | instid1(VALU_DEP_1)
	v_add_nc_u64_e32 v[14:15], v[10:11], v[14:15]
	v_add_nc_u64_e32 v[14:15], -1, v[14:15]
; %bb.2122:                             ;   in Loop: Header=BB4_129 Depth=2
	s_or_b32 exec_lo, exec_lo, s42
	v_add_nc_u32_e32 v11, 0xffffff81, v20
	v_lshrrev_b32_e32 v15, 23, v10
	s_mov_b32 s10, exec_lo
	s_delay_alu instid0(VALU_DEP_2) | instskip(NEXT) | instid1(VALU_DEP_1)
	v_cndmask_b32_e64 v11, v11, 0xffffff82, vcc_lo
	v_add3_u32 v15, v21, v11, v15
	v_and_b32_e32 v11, 0x1fffff, v14
                                        ; implicit-def: $vgpr14
	s_delay_alu instid0(VALU_DEP_1) | instskip(SKIP_1) | instid1(VALU_DEP_2)
	v_dual_add_nc_u32 v20, 14, v15 :: v_dual_add_nc_u32 v10, v11, v10
	v_mov_b32_e32 v11, v39
	v_cmpx_ne_u32_e32 0, v20
	s_xor_b32 s10, exec_lo, s10
; %bb.2123:                             ;   in Loop: Header=BB4_129 Depth=2
	s_delay_alu instid0(VALU_DEP_2) | instskip(SKIP_2) | instid1(VALU_DEP_2)
	v_cmp_lt_u64_e32 vcc_lo, 0xffffff, v[10:11]
	v_add_nc_u32_e32 v14, 15, v15
	v_cndmask_b32_e64 v15, 0, 1, vcc_lo
	v_cndmask_b32_e32 v14, v20, v14, vcc_lo
	s_delay_alu instid0(VALU_DEP_2)
	v_lshrrev_b64 v[10:11], v15, v[10:11]
; %bb.2124:                             ;   in Loop: Header=BB4_129 Depth=2
	s_and_not1_saveexec_b32 s10, s10
; %bb.2125:                             ;   in Loop: Header=BB4_129 Depth=2
	s_delay_alu instid0(VALU_DEP_1)
	v_bfe_u32 v14, v10, 23, 1
; %bb.2126:                             ;   in Loop: Header=BB4_129 Depth=2
	s_or_b32 exec_lo, exec_lo, s10
	s_delay_alu instid0(VALU_DEP_2) | instskip(NEXT) | instid1(VALU_DEP_2)
	v_lshrrev_b64 v[10:11], 21, v[10:11]
	v_cmp_gt_i32_e32 vcc_lo, 32, v14
	v_min_i32_e32 v15, 31, v14
	v_cmp_eq_u32_e64 s10, 0, v14
	s_delay_alu instid0(VALU_DEP_4) | instskip(NEXT) | instid1(VALU_DEP_3)
	v_cndmask_b32_e32 v11, 0, v11, vcc_lo
	v_dual_cndmask_b32 v10, 3, v10 :: v_dual_lshlrev_b32 v15, 2, v15
	s_delay_alu instid0(VALU_DEP_1) | instskip(NEXT) | instid1(VALU_DEP_2)
	v_and_b32_e32 v15, 0xfc, v15
	v_cmp_eq_u64_e32 vcc_lo, 0, v[10:11]
	s_delay_alu instid0(VALU_DEP_2)
	v_and_or_b32 v10, v10, 3, v15
	s_and_b32 s10, s10, vcc_lo
	s_delay_alu instid0(VALU_DEP_1) | instid1(SALU_CYCLE_1)
	v_cndmask_b32_e64 v10, v10, 0, s10
	s_delay_alu instid0(VALU_DEP_1)
	v_or_b32_e32 v117, v10, v2
.LBB4_2127:                             ;   in Loop: Header=BB4_129 Depth=2
	s_or_b32 exec_lo, exec_lo, s41
                                        ; implicit-def: $vgpr2
.LBB4_2128:                             ;   in Loop: Header=BB4_129 Depth=2
	s_and_not1_saveexec_b32 s10, s40
; %bb.2129:                             ;   in Loop: Header=BB4_129 Depth=2
	v_or_b32_e32 v117, 0x7b, v2
; %bb.2130:                             ;   in Loop: Header=BB4_129 Depth=2
	s_or_b32 exec_lo, exec_lo, s10
                                        ; implicit-def: $vgpr14
                                        ; implicit-def: $vgpr10_vgpr11
                                        ; implicit-def: $vgpr2
.LBB4_2131:                             ;   in Loop: Header=BB4_129 Depth=2
	s_and_not1_saveexec_b32 s10, s29
	s_cbranch_execz .LBB4_2137
; %bb.2132:                             ;   in Loop: Header=BB4_129 Depth=2
	s_mov_b32 s29, exec_lo
                                        ; implicit-def: $vgpr117
	v_cmpx_ne_u64_e32 0, v[10:11]
	s_xor_b32 s29, exec_lo, s29
; %bb.2133:                             ;   in Loop: Header=BB4_129 Depth=2
	v_or_b32_e32 v117, 0x7f, v2
                                        ; implicit-def: $vgpr14
; %bb.2134:                             ;   in Loop: Header=BB4_129 Depth=2
	s_and_not1_saveexec_b32 s29, s29
; %bb.2135:                             ;   in Loop: Header=BB4_129 Depth=2
	v_cmp_lt_i32_e32 vcc_lo, -1, v14
	v_cndmask_b32_e32 v117, 0xfc, v122, vcc_lo
; %bb.2136:                             ;   in Loop: Header=BB4_129 Depth=2
	s_or_b32 exec_lo, exec_lo, s29
.LBB4_2137:                             ;   in Loop: Header=BB4_129 Depth=2
	s_delay_alu instid0(SALU_CYCLE_1) | instskip(SKIP_3) | instid1(VALU_DEP_2)
	s_or_b32 exec_lo, exec_lo, s10
	v_dual_lshrrev_b32 v10, 16, v38 :: v_dual_mov_b32 v2, 0
	v_mov_b32_e32 v11, 0
	s_mov_b32 s10, exec_lo
	v_and_b32_e32 v14, 0xff, v10
	s_delay_alu instid0(VALU_DEP_1)
	v_cmpx_ne_u16_e32 0, v14
	s_cbranch_execz .LBB4_2147
; %bb.2138:                             ;   in Loop: Header=BB4_129 Depth=2
	v_bfrev_b32_e32 v11, 1
	s_mov_b32 s29, exec_lo
	v_cmpx_ne_u16_e32 0x80, v14
	s_cbranch_execz .LBB4_2146
; %bb.2139:                             ;   in Loop: Header=BB4_129 Depth=2
	v_and_b32_e32 v11, 0x7c0000, v38
	v_bfe_u32 v14, v38, 16, 2
	s_delay_alu instid0(VALU_DEP_2) | instskip(SKIP_1) | instid1(SALU_CYCLE_1)
	v_cmp_ne_u32_e32 vcc_lo, 0x7c0000, v11
                                        ; implicit-def: $vgpr11
	s_and_saveexec_b32 s40, vcc_lo
	s_xor_b32 s40, exec_lo, s40
	s_cbranch_execz .LBB4_2143
; %bb.2140:                             ;   in Loop: Header=BB4_129 Depth=2
	v_bfe_u32 v11, v38, 18, 5
	s_mov_b32 s41, exec_lo
	s_delay_alu instid0(VALU_DEP_1)
	v_cmpx_eq_u32_e32 0, v11
; %bb.2141:                             ;   in Loop: Header=BB4_129 Depth=2
	v_clz_i32_u32_e32 v11, v14
	s_delay_alu instid0(VALU_DEP_1) | instskip(NEXT) | instid1(VALU_DEP_1)
	v_min_u32_e32 v11, 32, v11
	v_subrev_nc_u32_e32 v14, 29, v11
	s_delay_alu instid0(VALU_DEP_1) | instskip(NEXT) | instid1(VALU_DEP_1)
	v_lshlrev_b64_e32 v[14:15], v14, v[10:11]
	v_dual_sub_nc_u32 v11, 30, v11 :: v_dual_bitop2_b32 v14, 3, v14 bitop3:0x40
; %bb.2142:                             ;   in Loop: Header=BB4_129 Depth=2
	s_or_b32 exec_lo, exec_lo, s41
	v_lshlrev_b32_e32 v10, 24, v10
	s_delay_alu instid0(VALU_DEP_1) | instskip(NEXT) | instid1(VALU_DEP_1)
	v_and_b32_e32 v10, 0x80000000, v10
	v_lshl_add_u32 v10, v11, 23, v10
	s_delay_alu instid0(VALU_DEP_1) | instskip(NEXT) | instid1(VALU_DEP_1)
	v_lshl_or_b32 v10, v14, 21, v10
                                        ; implicit-def: $vgpr14
	v_add_nc_u32_e32 v11, 0x38000000, v10
                                        ; implicit-def: $vgpr10
.LBB4_2143:                             ;   in Loop: Header=BB4_129 Depth=2
	s_and_not1_saveexec_b32 s40, s40
; %bb.2144:                             ;   in Loop: Header=BB4_129 Depth=2
	v_bfe_i32 v10, v10, 0, 8
	s_delay_alu instid0(VALU_DEP_1) | instskip(SKIP_2) | instid1(VALU_DEP_2)
	v_cmp_lt_i16_e32 vcc_lo, -1, v10
	v_cndmask_b32_e32 v10, 0xff800000, v126, vcc_lo
	v_cmp_eq_u32_e32 vcc_lo, 0, v14
	v_cndmask_b32_e32 v11, 0x7f800001, v10, vcc_lo
; %bb.2145:                             ;   in Loop: Header=BB4_129 Depth=2
	s_or_b32 exec_lo, exec_lo, s40
.LBB4_2146:                             ;   in Loop: Header=BB4_129 Depth=2
	s_delay_alu instid0(SALU_CYCLE_1)
	s_or_b32 exec_lo, exec_lo, s29
.LBB4_2147:                             ;   in Loop: Header=BB4_129 Depth=2
	s_delay_alu instid0(SALU_CYCLE_1) | instskip(SKIP_2) | instid1(VALU_DEP_1)
	s_or_b32 exec_lo, exec_lo, s10
	v_lshrrev_b32_e32 v10, 16, v12
	s_mov_b32 s10, exec_lo
	v_and_b32_e32 v14, 0xff, v10
	s_delay_alu instid0(VALU_DEP_1)
	v_cmpx_ne_u16_e32 0, v14
	s_cbranch_execz .LBB4_2157
; %bb.2148:                             ;   in Loop: Header=BB4_129 Depth=2
	v_bfrev_b32_e32 v2, 1
	s_mov_b32 s29, exec_lo
	v_cmpx_ne_u16_e32 0x80, v14
	s_cbranch_execz .LBB4_2156
; %bb.2149:                             ;   in Loop: Header=BB4_129 Depth=2
	v_and_b32_e32 v2, 0x7c0000, v12
	v_bfe_u32 v14, v12, 16, 2
	s_delay_alu instid0(VALU_DEP_2) | instskip(SKIP_1) | instid1(SALU_CYCLE_1)
	v_cmp_ne_u32_e32 vcc_lo, 0x7c0000, v2
                                        ; implicit-def: $vgpr2
	s_and_saveexec_b32 s40, vcc_lo
	s_xor_b32 s40, exec_lo, s40
	s_cbranch_execz .LBB4_2153
; %bb.2150:                             ;   in Loop: Header=BB4_129 Depth=2
	v_bfe_u32 v2, v12, 18, 5
	s_mov_b32 s41, exec_lo
	s_delay_alu instid0(VALU_DEP_1)
	v_cmpx_eq_u32_e32 0, v2
; %bb.2151:                             ;   in Loop: Header=BB4_129 Depth=2
	v_clz_i32_u32_e32 v2, v14
	s_delay_alu instid0(VALU_DEP_1) | instskip(NEXT) | instid1(VALU_DEP_1)
	v_min_u32_e32 v2, 32, v2
	v_subrev_nc_u32_e32 v14, 29, v2
	v_sub_nc_u32_e32 v2, 30, v2
	s_delay_alu instid0(VALU_DEP_2) | instskip(NEXT) | instid1(VALU_DEP_1)
	v_lshlrev_b64_e32 v[14:15], v14, v[10:11]
	v_and_b32_e32 v14, 3, v14
; %bb.2152:                             ;   in Loop: Header=BB4_129 Depth=2
	s_or_b32 exec_lo, exec_lo, s41
	v_lshlrev_b32_e32 v10, 24, v10
	s_delay_alu instid0(VALU_DEP_1) | instskip(NEXT) | instid1(VALU_DEP_1)
	v_and_b32_e32 v10, 0x80000000, v10
	v_lshl_add_u32 v2, v2, 23, v10
                                        ; implicit-def: $vgpr10
	s_delay_alu instid0(VALU_DEP_1) | instskip(NEXT) | instid1(VALU_DEP_1)
	v_lshl_or_b32 v2, v14, 21, v2
                                        ; implicit-def: $vgpr14
	v_add_nc_u32_e32 v2, 0x38000000, v2
.LBB4_2153:                             ;   in Loop: Header=BB4_129 Depth=2
	s_and_not1_saveexec_b32 s40, s40
; %bb.2154:                             ;   in Loop: Header=BB4_129 Depth=2
	v_bfe_i32 v2, v10, 0, 8
	s_delay_alu instid0(VALU_DEP_1) | instskip(SKIP_2) | instid1(VALU_DEP_2)
	v_cmp_lt_i16_e32 vcc_lo, -1, v2
	v_cndmask_b32_e32 v2, 0xff800000, v126, vcc_lo
	v_cmp_eq_u32_e32 vcc_lo, 0, v14
	v_cndmask_b32_e32 v2, 0x7f800001, v2, vcc_lo
; %bb.2155:                             ;   in Loop: Header=BB4_129 Depth=2
	s_or_b32 exec_lo, exec_lo, s40
.LBB4_2156:                             ;   in Loop: Header=BB4_129 Depth=2
	s_delay_alu instid0(SALU_CYCLE_1)
	s_or_b32 exec_lo, exec_lo, s29
.LBB4_2157:                             ;   in Loop: Header=BB4_129 Depth=2
	s_delay_alu instid0(SALU_CYCLE_1) | instskip(NEXT) | instid1(VALU_DEP_1)
	s_or_b32 exec_lo, exec_lo, s10
	v_add_f32_e32 v14, v11, v2
	v_dual_mov_b32 v21, v39 :: v_dual_mov_b32 v11, v39
                                        ; implicit-def: $vgpr40
	s_mov_b32 s10, exec_lo
	s_delay_alu instid0(VALU_DEP_2) | instskip(SKIP_2) | instid1(VALU_DEP_3)
	v_and_b32_e32 v20, 0x7f800000, v14
	v_and_b32_e32 v10, 0x7fffff, v14
	v_lshrrev_b32_e32 v2, 24, v14
	v_cmpx_ne_u64_e32 0x7f800000, v[20:21]
	s_xor_b32 s29, exec_lo, s10
	s_cbranch_execz .LBB4_2171
; %bb.2158:                             ;   in Loop: Header=BB4_129 Depth=2
	v_and_b32_e32 v20, 0x7fffffff, v14
	v_mov_b32_e32 v21, v39
	v_and_b32_e32 v2, 0x80, v2
                                        ; implicit-def: $vgpr40
	s_mov_b32 s10, exec_lo
	s_delay_alu instid0(VALU_DEP_2)
	v_cmpx_gt_u64_e32 0x47600001, v[20:21]
	s_xor_b32 s40, exec_lo, s10
	s_cbranch_execz .LBB4_2168
; %bb.2159:                             ;   in Loop: Header=BB4_129 Depth=2
	v_mov_b32_e32 v40, 0
	s_mov_b32 s41, exec_lo
	v_cmpx_ne_u32_e32 0, v14
	s_cbranch_execz .LBB4_2167
; %bb.2160:                             ;   in Loop: Header=BB4_129 Depth=2
	v_bfe_u32 v20, v14, 23, 8
	v_or_b32_e32 v24, 0x800000, v10
	s_delay_alu instid0(VALU_DEP_2) | instskip(SKIP_1) | instid1(VALU_DEP_2)
	v_sub_nc_u32_e32 v14, 0x71, v20
	v_cmp_gt_u32_e32 vcc_lo, 0x72, v20
	v_cndmask_b32_e32 v14, 0, v14, vcc_lo
	v_cmp_eq_u32_e32 vcc_lo, 0, v20
	s_delay_alu instid0(VALU_DEP_2) | instskip(NEXT) | instid1(VALU_DEP_1)
	v_cndmask_b32_e64 v21, v14, 0x70, vcc_lo
	v_dual_cndmask_b32 v10, v24, v10, vcc_lo :: v_dual_add_nc_u32 v14, 21, v21
	v_add_nc_u32_e32 v25, 20, v21
	s_delay_alu instid0(VALU_DEP_2) | instskip(NEXT) | instid1(VALU_DEP_2)
	v_lshlrev_b64_e64 v[14:15], v14, -1
	v_lshlrev_b64_e64 v[24:25], v25, 1
	s_delay_alu instid0(VALU_DEP_2) | instskip(SKIP_1) | instid1(VALU_DEP_4)
	v_bfi_b32 v14, v14, 0, v10
	v_lshrrev_b64 v[10:11], v21, v[10:11]
	v_bfi_b32 v15, v15, 0, 0
	s_delay_alu instid0(VALU_DEP_1) | instskip(NEXT) | instid1(VALU_DEP_3)
	v_cmp_eq_u64_e64 s10, v[14:15], v[24:25]
	v_mov_b64_e32 v[14:15], v[10:11]
	s_and_saveexec_b32 s42, s10
; %bb.2161:                             ;   in Loop: Header=BB4_129 Depth=2
	v_bfe_u32 v14, v10, 21, 1
	v_mov_b32_e32 v15, v39
	s_delay_alu instid0(VALU_DEP_1) | instskip(NEXT) | instid1(VALU_DEP_1)
	v_add_nc_u64_e32 v[14:15], v[10:11], v[14:15]
	v_add_nc_u64_e32 v[14:15], -1, v[14:15]
; %bb.2162:                             ;   in Loop: Header=BB4_129 Depth=2
	s_or_b32 exec_lo, exec_lo, s42
	v_add_nc_u32_e32 v11, 0xffffff81, v20
	v_lshrrev_b32_e32 v15, 23, v10
	s_mov_b32 s10, exec_lo
	s_delay_alu instid0(VALU_DEP_2) | instskip(NEXT) | instid1(VALU_DEP_1)
	v_cndmask_b32_e64 v11, v11, 0xffffff82, vcc_lo
	v_add3_u32 v15, v21, v11, v15
	v_and_b32_e32 v11, 0x1fffff, v14
                                        ; implicit-def: $vgpr14
	s_delay_alu instid0(VALU_DEP_1) | instskip(SKIP_1) | instid1(VALU_DEP_2)
	v_dual_add_nc_u32 v20, 14, v15 :: v_dual_add_nc_u32 v10, v11, v10
	v_mov_b32_e32 v11, v39
	v_cmpx_ne_u32_e32 0, v20
	s_xor_b32 s10, exec_lo, s10
; %bb.2163:                             ;   in Loop: Header=BB4_129 Depth=2
	s_delay_alu instid0(VALU_DEP_2) | instskip(SKIP_2) | instid1(VALU_DEP_2)
	v_cmp_lt_u64_e32 vcc_lo, 0xffffff, v[10:11]
	v_add_nc_u32_e32 v14, 15, v15
	v_cndmask_b32_e64 v15, 0, 1, vcc_lo
	v_cndmask_b32_e32 v14, v20, v14, vcc_lo
	s_delay_alu instid0(VALU_DEP_2)
	v_lshrrev_b64 v[10:11], v15, v[10:11]
; %bb.2164:                             ;   in Loop: Header=BB4_129 Depth=2
	s_and_not1_saveexec_b32 s10, s10
; %bb.2165:                             ;   in Loop: Header=BB4_129 Depth=2
	s_delay_alu instid0(VALU_DEP_1)
	v_bfe_u32 v14, v10, 23, 1
; %bb.2166:                             ;   in Loop: Header=BB4_129 Depth=2
	s_or_b32 exec_lo, exec_lo, s10
	s_delay_alu instid0(VALU_DEP_2) | instskip(NEXT) | instid1(VALU_DEP_2)
	v_lshrrev_b64 v[10:11], 21, v[10:11]
	v_cmp_gt_i32_e32 vcc_lo, 32, v14
	v_min_i32_e32 v15, 31, v14
	v_cmp_eq_u32_e64 s10, 0, v14
	s_delay_alu instid0(VALU_DEP_4) | instskip(NEXT) | instid1(VALU_DEP_3)
	v_cndmask_b32_e32 v11, 0, v11, vcc_lo
	v_dual_cndmask_b32 v10, 3, v10 :: v_dual_lshlrev_b32 v15, 2, v15
	s_delay_alu instid0(VALU_DEP_1) | instskip(NEXT) | instid1(VALU_DEP_2)
	v_and_b32_e32 v15, 0xfc, v15
	v_cmp_eq_u64_e32 vcc_lo, 0, v[10:11]
	s_delay_alu instid0(VALU_DEP_2)
	v_and_or_b32 v10, v10, 3, v15
	s_and_b32 s10, s10, vcc_lo
	s_delay_alu instid0(VALU_DEP_1) | instid1(SALU_CYCLE_1)
	v_cndmask_b32_e64 v10, v10, 0, s10
	s_delay_alu instid0(VALU_DEP_1)
	v_or_b32_e32 v40, v10, v2
.LBB4_2167:                             ;   in Loop: Header=BB4_129 Depth=2
	s_or_b32 exec_lo, exec_lo, s41
                                        ; implicit-def: $vgpr2
.LBB4_2168:                             ;   in Loop: Header=BB4_129 Depth=2
	s_and_not1_saveexec_b32 s10, s40
; %bb.2169:                             ;   in Loop: Header=BB4_129 Depth=2
	v_or_b32_e32 v40, 0x7b, v2
; %bb.2170:                             ;   in Loop: Header=BB4_129 Depth=2
	s_or_b32 exec_lo, exec_lo, s10
                                        ; implicit-def: $vgpr14
                                        ; implicit-def: $vgpr10_vgpr11
                                        ; implicit-def: $vgpr2
.LBB4_2171:                             ;   in Loop: Header=BB4_129 Depth=2
	s_and_not1_saveexec_b32 s10, s29
	s_cbranch_execz .LBB4_2177
; %bb.2172:                             ;   in Loop: Header=BB4_129 Depth=2
	s_mov_b32 s29, exec_lo
                                        ; implicit-def: $vgpr40
	v_cmpx_ne_u64_e32 0, v[10:11]
	s_xor_b32 s29, exec_lo, s29
; %bb.2173:                             ;   in Loop: Header=BB4_129 Depth=2
	v_or_b32_e32 v40, 0x7f, v2
                                        ; implicit-def: $vgpr14
; %bb.2174:                             ;   in Loop: Header=BB4_129 Depth=2
	s_and_not1_saveexec_b32 s29, s29
; %bb.2175:                             ;   in Loop: Header=BB4_129 Depth=2
	v_cmp_lt_i32_e32 vcc_lo, -1, v14
	v_cndmask_b32_e32 v40, 0xfc, v122, vcc_lo
; %bb.2176:                             ;   in Loop: Header=BB4_129 Depth=2
	s_or_b32 exec_lo, exec_lo, s29
.LBB4_2177:                             ;   in Loop: Header=BB4_129 Depth=2
	s_delay_alu instid0(SALU_CYCLE_1)
	s_or_b32 exec_lo, exec_lo, s10
	v_dual_mov_b32 v2, 0 :: v_dual_mov_b32 v11, 0
	s_mov_b32 s10, exec_lo
	v_cmpx_lt_u32_e32 0xffffff, v38
	s_cbranch_execz .LBB4_2187
; %bb.2178:                             ;   in Loop: Header=BB4_129 Depth=2
	v_lshrrev_b32_e32 v10, 24, v38
	v_bfrev_b32_e32 v11, 1
	s_mov_b32 s29, exec_lo
	s_delay_alu instid0(VALU_DEP_2)
	v_cmpx_ne_u32_e32 0x80, v10
	s_cbranch_execz .LBB4_2186
; %bb.2179:                             ;   in Loop: Header=BB4_129 Depth=2
	v_and_b32_e32 v11, 0x7c000000, v38
	v_bfe_u32 v14, v38, 24, 2
	s_delay_alu instid0(VALU_DEP_2) | instskip(SKIP_1) | instid1(SALU_CYCLE_1)
	v_cmp_ne_u32_e32 vcc_lo, 0x7c000000, v11
                                        ; implicit-def: $vgpr11
	s_and_saveexec_b32 s40, vcc_lo
	s_xor_b32 s40, exec_lo, s40
	s_cbranch_execz .LBB4_2183
; %bb.2180:                             ;   in Loop: Header=BB4_129 Depth=2
	v_bfe_u32 v11, v38, 26, 5
	s_mov_b32 s41, exec_lo
	s_delay_alu instid0(VALU_DEP_1)
	v_cmpx_eq_u32_e32 0, v11
; %bb.2181:                             ;   in Loop: Header=BB4_129 Depth=2
	v_clz_i32_u32_e32 v11, v14
	s_delay_alu instid0(VALU_DEP_1) | instskip(NEXT) | instid1(VALU_DEP_1)
	v_min_u32_e32 v14, 32, v11
	v_subrev_nc_u32_e32 v11, 29, v14
	s_delay_alu instid0(VALU_DEP_1) | instskip(SKIP_1) | instid1(VALU_DEP_2)
	v_lshlrev_b64_e32 v[10:11], v11, v[10:11]
	v_sub_nc_u32_e32 v11, 30, v14
	v_and_b32_e32 v14, 3, v10
; %bb.2182:                             ;   in Loop: Header=BB4_129 Depth=2
	s_or_b32 exec_lo, exec_lo, s41
	v_and_b32_e32 v10, 0x80000000, v38
	s_delay_alu instid0(VALU_DEP_1) | instskip(NEXT) | instid1(VALU_DEP_1)
	v_lshl_add_u32 v10, v11, 23, v10
	v_lshl_or_b32 v10, v14, 21, v10
                                        ; implicit-def: $vgpr14
	s_delay_alu instid0(VALU_DEP_1)
	v_add_nc_u32_e32 v11, 0x38000000, v10
.LBB4_2183:                             ;   in Loop: Header=BB4_129 Depth=2
	s_and_not1_saveexec_b32 s40, s40
; %bb.2184:                             ;   in Loop: Header=BB4_129 Depth=2
	v_cmp_lt_i32_e32 vcc_lo, -1, v38
	v_cndmask_b32_e32 v10, 0xff800000, v126, vcc_lo
	v_cmp_eq_u32_e32 vcc_lo, 0, v14
	s_delay_alu instid0(VALU_DEP_2)
	v_cndmask_b32_e32 v11, 0x7f800001, v10, vcc_lo
; %bb.2185:                             ;   in Loop: Header=BB4_129 Depth=2
	s_or_b32 exec_lo, exec_lo, s40
.LBB4_2186:                             ;   in Loop: Header=BB4_129 Depth=2
	s_delay_alu instid0(SALU_CYCLE_1)
	s_or_b32 exec_lo, exec_lo, s29
.LBB4_2187:                             ;   in Loop: Header=BB4_129 Depth=2
	s_delay_alu instid0(SALU_CYCLE_1) | instskip(NEXT) | instid1(SALU_CYCLE_1)
	s_or_b32 exec_lo, exec_lo, s10
	s_mov_b32 s10, exec_lo
	v_cmpx_lt_u32_e32 0xffffff, v12
	s_cbranch_execz .LBB4_2197
; %bb.2188:                             ;   in Loop: Header=BB4_129 Depth=2
	v_lshrrev_b32_e32 v10, 24, v12
	v_bfrev_b32_e32 v2, 1
	s_mov_b32 s29, exec_lo
	s_delay_alu instid0(VALU_DEP_2)
	v_cmpx_ne_u32_e32 0x80, v10
	s_cbranch_execz .LBB4_2196
; %bb.2189:                             ;   in Loop: Header=BB4_129 Depth=2
	v_and_b32_e32 v2, 0x7c000000, v12
	v_bfe_u32 v14, v12, 24, 2
	s_delay_alu instid0(VALU_DEP_2) | instskip(SKIP_1) | instid1(SALU_CYCLE_1)
	v_cmp_ne_u32_e32 vcc_lo, 0x7c000000, v2
                                        ; implicit-def: $vgpr2
	s_and_saveexec_b32 s40, vcc_lo
	s_xor_b32 s40, exec_lo, s40
	s_cbranch_execz .LBB4_2193
; %bb.2190:                             ;   in Loop: Header=BB4_129 Depth=2
	v_bfe_u32 v2, v12, 26, 5
	s_mov_b32 s41, exec_lo
	s_delay_alu instid0(VALU_DEP_1)
	v_cmpx_eq_u32_e32 0, v2
; %bb.2191:                             ;   in Loop: Header=BB4_129 Depth=2
	v_clz_i32_u32_e32 v2, v14
	s_delay_alu instid0(VALU_DEP_1) | instskip(NEXT) | instid1(VALU_DEP_1)
	v_min_u32_e32 v2, 32, v2
	v_subrev_nc_u32_e32 v14, 29, v2
	v_sub_nc_u32_e32 v2, 30, v2
	s_delay_alu instid0(VALU_DEP_2) | instskip(NEXT) | instid1(VALU_DEP_1)
	v_lshlrev_b64_e32 v[14:15], v14, v[10:11]
	v_and_b32_e32 v14, 3, v14
; %bb.2192:                             ;   in Loop: Header=BB4_129 Depth=2
	s_or_b32 exec_lo, exec_lo, s41
	v_and_b32_e32 v10, 0x80000000, v12
	s_delay_alu instid0(VALU_DEP_1) | instskip(NEXT) | instid1(VALU_DEP_1)
	v_lshl_add_u32 v2, v2, 23, v10
	v_lshl_or_b32 v2, v14, 21, v2
                                        ; implicit-def: $vgpr14
	s_delay_alu instid0(VALU_DEP_1)
	v_add_nc_u32_e32 v2, 0x38000000, v2
.LBB4_2193:                             ;   in Loop: Header=BB4_129 Depth=2
	s_and_not1_saveexec_b32 s40, s40
; %bb.2194:                             ;   in Loop: Header=BB4_129 Depth=2
	v_cmp_lt_i32_e32 vcc_lo, -1, v12
	v_cndmask_b32_e32 v2, 0xff800000, v126, vcc_lo
	v_cmp_eq_u32_e32 vcc_lo, 0, v14
	s_delay_alu instid0(VALU_DEP_2)
	v_cndmask_b32_e32 v2, 0x7f800001, v2, vcc_lo
; %bb.2195:                             ;   in Loop: Header=BB4_129 Depth=2
	s_or_b32 exec_lo, exec_lo, s40
.LBB4_2196:                             ;   in Loop: Header=BB4_129 Depth=2
	s_delay_alu instid0(SALU_CYCLE_1)
	s_or_b32 exec_lo, exec_lo, s29
.LBB4_2197:                             ;   in Loop: Header=BB4_129 Depth=2
	s_delay_alu instid0(SALU_CYCLE_1) | instskip(NEXT) | instid1(VALU_DEP_1)
	s_or_b32 exec_lo, exec_lo, s10
	v_add_f32_e32 v10, v11, v2
	v_mov_b32_e32 v15, v39
                                        ; implicit-def: $vgpr43
	s_mov_b32 s10, exec_lo
	s_delay_alu instid0(VALU_DEP_2) | instskip(SKIP_2) | instid1(VALU_DEP_3)
	v_and_b32_e32 v14, 0x7f800000, v10
	v_and_b32_e32 v38, 0x7fffff, v10
	v_lshrrev_b32_e32 v2, 24, v10
	v_cmpx_ne_u64_e32 0x7f800000, v[14:15]
	s_xor_b32 s29, exec_lo, s10
	s_cbranch_execz .LBB4_2211
; %bb.2198:                             ;   in Loop: Header=BB4_129 Depth=2
	v_and_b32_e32 v14, 0x7fffffff, v10
	v_mov_b32_e32 v15, v39
	v_and_b32_e32 v2, 0x80, v2
                                        ; implicit-def: $vgpr43
	s_mov_b32 s10, exec_lo
	s_delay_alu instid0(VALU_DEP_2)
	v_cmpx_gt_u64_e32 0x47600001, v[14:15]
	s_xor_b32 s40, exec_lo, s10
	s_cbranch_execz .LBB4_2208
; %bb.2199:                             ;   in Loop: Header=BB4_129 Depth=2
	v_mov_b32_e32 v43, 0
	s_mov_b32 s41, exec_lo
	v_cmpx_ne_u32_e32 0, v10
	s_cbranch_execz .LBB4_2207
; %bb.2200:                             ;   in Loop: Header=BB4_129 Depth=2
	v_bfe_u32 v20, v10, 23, 8
	v_or_b32_e32 v14, 0x800000, v38
	s_mov_b32 s42, exec_lo
	s_delay_alu instid0(VALU_DEP_2) | instskip(SKIP_1) | instid1(VALU_DEP_2)
	v_dual_mov_b32 v15, v39 :: v_dual_sub_nc_u32 v10, 0x71, v20
	v_cmp_gt_u32_e32 vcc_lo, 0x72, v20
	v_cndmask_b32_e32 v10, 0, v10, vcc_lo
	v_cmp_eq_u32_e32 vcc_lo, 0, v20
	s_delay_alu instid0(VALU_DEP_2) | instskip(NEXT) | instid1(VALU_DEP_1)
	v_cndmask_b32_e64 v21, v10, 0x70, vcc_lo
	v_dual_cndmask_b32 v14, v14, v38, vcc_lo :: v_dual_add_nc_u32 v10, 21, v21
	v_add_nc_u32_e32 v24, 20, v21
	s_delay_alu instid0(VALU_DEP_2) | instskip(NEXT) | instid1(VALU_DEP_2)
	v_lshlrev_b64_e64 v[10:11], v10, -1
	v_lshlrev_b64_e64 v[24:25], v24, 1
	s_delay_alu instid0(VALU_DEP_2) | instskip(NEXT) | instid1(VALU_DEP_3)
	v_bfi_b32 v75, v11, 0, 0
	v_bfi_b32 v74, v10, 0, v14
	v_lshrrev_b64 v[10:11], v21, v[14:15]
	s_delay_alu instid0(VALU_DEP_1) | instskip(NEXT) | instid1(VALU_DEP_3)
	v_mov_b64_e32 v[14:15], v[10:11]
	v_cmpx_eq_u64_e64 v[74:75], v[24:25]
; %bb.2201:                             ;   in Loop: Header=BB4_129 Depth=2
	v_bfe_u32 v14, v10, 21, 1
	v_mov_b32_e32 v15, v39
	s_delay_alu instid0(VALU_DEP_1) | instskip(NEXT) | instid1(VALU_DEP_1)
	v_add_nc_u64_e32 v[14:15], v[10:11], v[14:15]
	v_add_nc_u64_e32 v[14:15], -1, v[14:15]
; %bb.2202:                             ;   in Loop: Header=BB4_129 Depth=2
	s_or_b32 exec_lo, exec_lo, s42
	v_add_nc_u32_e32 v11, 0xffffff81, v20
	v_lshrrev_b32_e32 v15, 23, v10
	s_mov_b32 s10, exec_lo
	s_delay_alu instid0(VALU_DEP_2) | instskip(NEXT) | instid1(VALU_DEP_1)
	v_cndmask_b32_e64 v11, v11, 0xffffff82, vcc_lo
	v_add3_u32 v15, v21, v11, v15
	v_and_b32_e32 v11, 0x1fffff, v14
                                        ; implicit-def: $vgpr14
	s_delay_alu instid0(VALU_DEP_1) | instskip(NEXT) | instid1(VALU_DEP_1)
	v_dual_add_nc_u32 v20, 14, v15 :: v_dual_add_nc_u32 v38, v11, v10
                                        ; implicit-def: $vgpr10_vgpr11
	v_cmpx_ne_u32_e32 0, v20
	s_xor_b32 s10, exec_lo, s10
; %bb.2203:                             ;   in Loop: Header=BB4_129 Depth=2
	s_delay_alu instid0(VALU_DEP_2) | instskip(SKIP_1) | instid1(VALU_DEP_1)
	v_cmp_lt_u64_e32 vcc_lo, 0xffffff, v[38:39]
	v_add_nc_u32_e32 v10, 15, v15
	v_cndmask_b32_e32 v14, v20, v10, vcc_lo
	v_cndmask_b32_e64 v10, 0, 1, vcc_lo
	s_delay_alu instid0(VALU_DEP_1)
	v_lshrrev_b64 v[10:11], v10, v[38:39]
; %bb.2204:                             ;   in Loop: Header=BB4_129 Depth=2
	s_and_not1_saveexec_b32 s10, s10
; %bb.2205:                             ;   in Loop: Header=BB4_129 Depth=2
	v_mov_b64_e32 v[10:11], v[38:39]
	v_bfe_u32 v14, v38, 23, 1
; %bb.2206:                             ;   in Loop: Header=BB4_129 Depth=2
	s_or_b32 exec_lo, exec_lo, s10
	s_delay_alu instid0(VALU_DEP_2) | instskip(NEXT) | instid1(VALU_DEP_2)
	v_lshrrev_b64 v[10:11], 21, v[10:11]
	v_cmp_gt_i32_e32 vcc_lo, 32, v14
	v_min_i32_e32 v15, 31, v14
	v_cmp_eq_u32_e64 s10, 0, v14
	s_delay_alu instid0(VALU_DEP_4) | instskip(NEXT) | instid1(VALU_DEP_3)
	v_cndmask_b32_e32 v11, 0, v11, vcc_lo
	v_dual_cndmask_b32 v10, 3, v10 :: v_dual_lshlrev_b32 v15, 2, v15
	s_delay_alu instid0(VALU_DEP_1) | instskip(NEXT) | instid1(VALU_DEP_2)
	v_and_b32_e32 v15, 0xfc, v15
	v_cmp_eq_u64_e32 vcc_lo, 0, v[10:11]
	s_delay_alu instid0(VALU_DEP_2)
	v_and_or_b32 v10, v10, 3, v15
	s_and_b32 s10, s10, vcc_lo
	s_delay_alu instid0(VALU_DEP_1) | instid1(SALU_CYCLE_1)
	v_cndmask_b32_e64 v10, v10, 0, s10
	s_delay_alu instid0(VALU_DEP_1)
	v_or_b32_e32 v43, v10, v2
.LBB4_2207:                             ;   in Loop: Header=BB4_129 Depth=2
	s_or_b32 exec_lo, exec_lo, s41
                                        ; implicit-def: $vgpr2
.LBB4_2208:                             ;   in Loop: Header=BB4_129 Depth=2
	s_and_not1_saveexec_b32 s10, s40
; %bb.2209:                             ;   in Loop: Header=BB4_129 Depth=2
	v_or_b32_e32 v43, 0x7b, v2
; %bb.2210:                             ;   in Loop: Header=BB4_129 Depth=2
	s_or_b32 exec_lo, exec_lo, s10
                                        ; implicit-def: $vgpr10
                                        ; implicit-def: $vgpr2
.LBB4_2211:                             ;   in Loop: Header=BB4_129 Depth=2
	s_and_not1_saveexec_b32 s10, s29
	s_cbranch_execz .LBB4_2217
; %bb.2212:                             ;   in Loop: Header=BB4_129 Depth=2
	s_mov_b32 s29, exec_lo
                                        ; implicit-def: $vgpr43
	v_cmpx_ne_u64_e32 0, v[38:39]
	s_xor_b32 s29, exec_lo, s29
; %bb.2213:                             ;   in Loop: Header=BB4_129 Depth=2
	v_or_b32_e32 v43, 0x7f, v2
                                        ; implicit-def: $vgpr10
; %bb.2214:                             ;   in Loop: Header=BB4_129 Depth=2
	s_and_not1_saveexec_b32 s29, s29
; %bb.2215:                             ;   in Loop: Header=BB4_129 Depth=2
	v_cmp_lt_i32_e32 vcc_lo, -1, v10
	v_cndmask_b32_e32 v43, 0xfc, v122, vcc_lo
; %bb.2216:                             ;   in Loop: Header=BB4_129 Depth=2
	s_or_b32 exec_lo, exec_lo, s29
.LBB4_2217:                             ;   in Loop: Header=BB4_129 Depth=2
	s_delay_alu instid0(SALU_CYCLE_1) | instskip(SKIP_4) | instid1(VALU_DEP_2)
	s_or_b32 exec_lo, exec_lo, s10
	v_dual_lshlrev_b32 v10, 24, v118 :: v_dual_lshlrev_b32 v14, 16, v115
	v_lshl_or_b32 v2, v71, 8, v113
	v_mov_b32_e32 v11, 0
	s_mov_b32 s10, exec_lo
	v_or3_b32 v38, v14, v10, v2
	v_mov_b32_e32 v10, 0
	v_cmpx_ne_u32_e32 0, v113
	s_cbranch_execz .LBB4_2227
; %bb.2218:                             ;   in Loop: Header=BB4_129 Depth=2
	v_bfrev_b32_e32 v10, 1
	s_mov_b32 s29, exec_lo
	v_cmpx_ne_u32_e32 0x80, v113
	s_cbranch_execz .LBB4_2226
; %bb.2219:                             ;   in Loop: Header=BB4_129 Depth=2
	v_and_b32_e32 v10, 0x7c, v113
	v_and_b32_e32 v14, 3, v113
	s_delay_alu instid0(VALU_DEP_2) | instskip(SKIP_1) | instid1(SALU_CYCLE_1)
	v_cmp_ne_u32_e32 vcc_lo, 0x7c, v10
                                        ; implicit-def: $vgpr10
	s_and_saveexec_b32 s40, vcc_lo
	s_xor_b32 s40, exec_lo, s40
	s_cbranch_execz .LBB4_2223
; %bb.2220:                             ;   in Loop: Header=BB4_129 Depth=2
	v_bfe_u32 v10, v113, 2, 5
	s_mov_b32 s41, exec_lo
	s_delay_alu instid0(VALU_DEP_1)
	v_cmpx_eq_u32_e32 0, v10
; %bb.2221:                             ;   in Loop: Header=BB4_129 Depth=2
	v_clz_i32_u32_e32 v10, v14
	s_delay_alu instid0(VALU_DEP_1) | instskip(NEXT) | instid1(VALU_DEP_1)
	v_min_u32_e32 v10, 32, v10
	v_subrev_nc_u32_e32 v14, 29, v10
	v_sub_nc_u32_e32 v10, 30, v10
	s_delay_alu instid0(VALU_DEP_2) | instskip(NEXT) | instid1(VALU_DEP_1)
	v_lshlrev_b64_e32 v[14:15], v14, v[38:39]
	v_and_b32_e32 v14, 3, v14
; %bb.2222:                             ;   in Loop: Header=BB4_129 Depth=2
	s_or_b32 exec_lo, exec_lo, s41
	v_lshlrev_b32_e32 v15, 24, v113
                                        ; implicit-def: $vgpr113
	s_delay_alu instid0(VALU_DEP_1) | instskip(NEXT) | instid1(VALU_DEP_1)
	v_and_b32_e32 v15, 0x80000000, v15
	v_lshl_add_u32 v10, v10, 23, v15
	s_delay_alu instid0(VALU_DEP_1) | instskip(NEXT) | instid1(VALU_DEP_1)
	v_lshl_or_b32 v10, v14, 21, v10
                                        ; implicit-def: $vgpr14
	v_add_nc_u32_e32 v10, 0x38000000, v10
.LBB4_2223:                             ;   in Loop: Header=BB4_129 Depth=2
	s_and_not1_saveexec_b32 s40, s40
; %bb.2224:                             ;   in Loop: Header=BB4_129 Depth=2
	v_and_b32_e32 v10, 0x80, v113
	s_delay_alu instid0(VALU_DEP_1) | instskip(SKIP_2) | instid1(VALU_DEP_2)
	v_cmp_eq_u32_e32 vcc_lo, 0, v10
	v_cndmask_b32_e32 v10, 0xff800000, v126, vcc_lo
	v_cmp_eq_u32_e32 vcc_lo, 0, v14
	v_cndmask_b32_e32 v10, 0x7f800001, v10, vcc_lo
; %bb.2225:                             ;   in Loop: Header=BB4_129 Depth=2
	s_or_b32 exec_lo, exec_lo, s40
.LBB4_2226:                             ;   in Loop: Header=BB4_129 Depth=2
	s_delay_alu instid0(SALU_CYCLE_1)
	s_or_b32 exec_lo, exec_lo, s29
.LBB4_2227:                             ;   in Loop: Header=BB4_129 Depth=2
	s_delay_alu instid0(SALU_CYCLE_1) | instskip(SKIP_2) | instid1(VALU_DEP_1)
	s_or_b32 exec_lo, exec_lo, s10
	v_and_b32_e32 v14, 0xff, v13
	s_mov_b32 s10, exec_lo
	v_cmpx_ne_u16_e32 0, v14
	s_cbranch_execz .LBB4_2237
; %bb.2228:                             ;   in Loop: Header=BB4_129 Depth=2
	v_bfrev_b32_e32 v11, 1
	s_mov_b32 s29, exec_lo
	v_cmpx_ne_u16_e32 0x80, v14
	s_cbranch_execz .LBB4_2236
; %bb.2229:                             ;   in Loop: Header=BB4_129 Depth=2
	v_and_b32_e32 v11, 0x7c, v13
	v_and_b32_e32 v14, 3, v13
	s_delay_alu instid0(VALU_DEP_2) | instskip(SKIP_1) | instid1(SALU_CYCLE_1)
	v_cmp_ne_u32_e32 vcc_lo, 0x7c, v11
                                        ; implicit-def: $vgpr11
	s_and_saveexec_b32 s40, vcc_lo
	s_xor_b32 s40, exec_lo, s40
	s_cbranch_execz .LBB4_2233
; %bb.2230:                             ;   in Loop: Header=BB4_129 Depth=2
	v_bfe_u32 v11, v13, 2, 5
	s_mov_b32 s41, exec_lo
	s_delay_alu instid0(VALU_DEP_1)
	v_cmpx_eq_u32_e32 0, v11
; %bb.2231:                             ;   in Loop: Header=BB4_129 Depth=2
	v_clz_i32_u32_e32 v11, v14
	v_dual_mov_b32 v14, v13 :: v_dual_mov_b32 v15, v39
	s_delay_alu instid0(VALU_DEP_2) | instskip(NEXT) | instid1(VALU_DEP_1)
	v_min_u32_e32 v11, 32, v11
	v_subrev_nc_u32_e32 v20, 29, v11
	s_delay_alu instid0(VALU_DEP_1) | instskip(NEXT) | instid1(VALU_DEP_1)
	v_lshlrev_b64_e32 v[14:15], v20, v[14:15]
	v_dual_sub_nc_u32 v11, 30, v11 :: v_dual_bitop2_b32 v14, 3, v14 bitop3:0x40
; %bb.2232:                             ;   in Loop: Header=BB4_129 Depth=2
	s_or_b32 exec_lo, exec_lo, s41
	v_lshlrev_b32_e32 v15, 24, v13
	s_delay_alu instid0(VALU_DEP_1) | instskip(NEXT) | instid1(VALU_DEP_1)
	v_and_b32_e32 v15, 0x80000000, v15
	v_lshl_add_u32 v11, v11, 23, v15
	s_delay_alu instid0(VALU_DEP_1) | instskip(NEXT) | instid1(VALU_DEP_1)
	v_lshl_or_b32 v11, v14, 21, v11
                                        ; implicit-def: $vgpr14
	v_add_nc_u32_e32 v11, 0x38000000, v11
.LBB4_2233:                             ;   in Loop: Header=BB4_129 Depth=2
	s_and_not1_saveexec_b32 s40, s40
; %bb.2234:                             ;   in Loop: Header=BB4_129 Depth=2
	v_bfe_i32 v11, v13, 0, 8
	s_delay_alu instid0(VALU_DEP_1) | instskip(SKIP_2) | instid1(VALU_DEP_2)
	v_cmp_lt_i16_e32 vcc_lo, -1, v11
	v_cndmask_b32_e32 v11, 0xff800000, v126, vcc_lo
	v_cmp_eq_u32_e32 vcc_lo, 0, v14
	v_cndmask_b32_e32 v11, 0x7f800001, v11, vcc_lo
; %bb.2235:                             ;   in Loop: Header=BB4_129 Depth=2
	s_or_b32 exec_lo, exec_lo, s40
.LBB4_2236:                             ;   in Loop: Header=BB4_129 Depth=2
	s_delay_alu instid0(SALU_CYCLE_1)
	s_or_b32 exec_lo, exec_lo, s29
.LBB4_2237:                             ;   in Loop: Header=BB4_129 Depth=2
	s_delay_alu instid0(SALU_CYCLE_1) | instskip(NEXT) | instid1(VALU_DEP_1)
	s_or_b32 exec_lo, exec_lo, s10
	v_dual_add_f32 v14, v10, v11 :: v_dual_mov_b32 v21, v39
	v_mov_b32_e32 v11, v39
                                        ; implicit-def: $vgpr71
	s_mov_b32 s10, exec_lo
	s_delay_alu instid0(VALU_DEP_2) | instskip(SKIP_2) | instid1(VALU_DEP_3)
	v_and_b32_e32 v20, 0x7f800000, v14
	v_and_b32_e32 v10, 0x7fffff, v14
	v_lshrrev_b32_e32 v15, 24, v14
	v_cmpx_ne_u64_e32 0x7f800000, v[20:21]
	s_xor_b32 s29, exec_lo, s10
	s_cbranch_execz .LBB4_2251
; %bb.2238:                             ;   in Loop: Header=BB4_129 Depth=2
	v_and_b32_e32 v20, 0x7fffffff, v14
	v_mov_b32_e32 v21, v39
	v_and_b32_e32 v113, 0x80, v15
                                        ; implicit-def: $vgpr71
	s_mov_b32 s10, exec_lo
	s_delay_alu instid0(VALU_DEP_2)
	v_cmpx_gt_u64_e32 0x47600001, v[20:21]
	s_xor_b32 s40, exec_lo, s10
	s_cbranch_execz .LBB4_2248
; %bb.2239:                             ;   in Loop: Header=BB4_129 Depth=2
	v_mov_b32_e32 v71, 0
	s_mov_b32 s41, exec_lo
	v_cmpx_ne_u32_e32 0, v14
	s_cbranch_execz .LBB4_2247
; %bb.2240:                             ;   in Loop: Header=BB4_129 Depth=2
	v_bfe_u32 v20, v14, 23, 8
	v_or_b32_e32 v24, 0x800000, v10
	s_delay_alu instid0(VALU_DEP_2) | instskip(SKIP_1) | instid1(VALU_DEP_2)
	v_sub_nc_u32_e32 v14, 0x71, v20
	v_cmp_gt_u32_e32 vcc_lo, 0x72, v20
	v_cndmask_b32_e32 v14, 0, v14, vcc_lo
	v_cmp_eq_u32_e32 vcc_lo, 0, v20
	s_delay_alu instid0(VALU_DEP_2) | instskip(NEXT) | instid1(VALU_DEP_1)
	v_cndmask_b32_e64 v21, v14, 0x70, vcc_lo
	v_dual_cndmask_b32 v10, v24, v10, vcc_lo :: v_dual_add_nc_u32 v14, 21, v21
	v_add_nc_u32_e32 v25, 20, v21
	s_delay_alu instid0(VALU_DEP_2) | instskip(NEXT) | instid1(VALU_DEP_2)
	v_lshlrev_b64_e64 v[14:15], v14, -1
	v_lshlrev_b64_e64 v[24:25], v25, 1
	s_delay_alu instid0(VALU_DEP_2) | instskip(SKIP_1) | instid1(VALU_DEP_4)
	v_bfi_b32 v14, v14, 0, v10
	v_lshrrev_b64 v[10:11], v21, v[10:11]
	v_bfi_b32 v15, v15, 0, 0
	s_delay_alu instid0(VALU_DEP_1) | instskip(NEXT) | instid1(VALU_DEP_3)
	v_cmp_eq_u64_e64 s10, v[14:15], v[24:25]
	v_mov_b64_e32 v[14:15], v[10:11]
	s_and_saveexec_b32 s42, s10
; %bb.2241:                             ;   in Loop: Header=BB4_129 Depth=2
	v_bfe_u32 v14, v10, 21, 1
	v_mov_b32_e32 v15, v39
	s_delay_alu instid0(VALU_DEP_1) | instskip(NEXT) | instid1(VALU_DEP_1)
	v_add_nc_u64_e32 v[14:15], v[10:11], v[14:15]
	v_add_nc_u64_e32 v[14:15], -1, v[14:15]
; %bb.2242:                             ;   in Loop: Header=BB4_129 Depth=2
	s_or_b32 exec_lo, exec_lo, s42
	v_add_nc_u32_e32 v11, 0xffffff81, v20
	v_lshrrev_b32_e32 v15, 23, v10
	s_mov_b32 s10, exec_lo
	s_delay_alu instid0(VALU_DEP_2) | instskip(NEXT) | instid1(VALU_DEP_1)
	v_cndmask_b32_e64 v11, v11, 0xffffff82, vcc_lo
	v_add3_u32 v15, v21, v11, v15
	v_and_b32_e32 v11, 0x1fffff, v14
                                        ; implicit-def: $vgpr14
	s_delay_alu instid0(VALU_DEP_1) | instskip(SKIP_1) | instid1(VALU_DEP_2)
	v_dual_add_nc_u32 v20, 14, v15 :: v_dual_add_nc_u32 v10, v11, v10
	v_mov_b32_e32 v11, v39
	v_cmpx_ne_u32_e32 0, v20
	s_xor_b32 s10, exec_lo, s10
; %bb.2243:                             ;   in Loop: Header=BB4_129 Depth=2
	s_delay_alu instid0(VALU_DEP_2) | instskip(SKIP_2) | instid1(VALU_DEP_2)
	v_cmp_lt_u64_e32 vcc_lo, 0xffffff, v[10:11]
	v_add_nc_u32_e32 v14, 15, v15
	v_cndmask_b32_e64 v15, 0, 1, vcc_lo
	v_cndmask_b32_e32 v14, v20, v14, vcc_lo
	s_delay_alu instid0(VALU_DEP_2)
	v_lshrrev_b64 v[10:11], v15, v[10:11]
; %bb.2244:                             ;   in Loop: Header=BB4_129 Depth=2
	s_and_not1_saveexec_b32 s10, s10
; %bb.2245:                             ;   in Loop: Header=BB4_129 Depth=2
	s_delay_alu instid0(VALU_DEP_1)
	v_bfe_u32 v14, v10, 23, 1
; %bb.2246:                             ;   in Loop: Header=BB4_129 Depth=2
	s_or_b32 exec_lo, exec_lo, s10
	s_delay_alu instid0(VALU_DEP_2) | instskip(NEXT) | instid1(VALU_DEP_2)
	v_lshrrev_b64 v[10:11], 21, v[10:11]
	v_cmp_gt_i32_e32 vcc_lo, 32, v14
	v_min_i32_e32 v15, 31, v14
	v_cmp_eq_u32_e64 s10, 0, v14
	s_delay_alu instid0(VALU_DEP_4) | instskip(NEXT) | instid1(VALU_DEP_3)
	v_cndmask_b32_e32 v11, 0, v11, vcc_lo
	v_dual_cndmask_b32 v10, 3, v10 :: v_dual_lshlrev_b32 v15, 2, v15
	s_delay_alu instid0(VALU_DEP_1) | instskip(NEXT) | instid1(VALU_DEP_2)
	v_and_b32_e32 v15, 0xfc, v15
	v_cmp_eq_u64_e32 vcc_lo, 0, v[10:11]
	s_delay_alu instid0(VALU_DEP_2)
	v_and_or_b32 v10, v10, 3, v15
	s_and_b32 s10, s10, vcc_lo
	s_delay_alu instid0(VALU_DEP_1) | instid1(SALU_CYCLE_1)
	v_cndmask_b32_e64 v10, v10, 0, s10
	s_delay_alu instid0(VALU_DEP_1)
	v_or_b32_e32 v71, v10, v113
.LBB4_2247:                             ;   in Loop: Header=BB4_129 Depth=2
	s_or_b32 exec_lo, exec_lo, s41
                                        ; implicit-def: $vgpr113
.LBB4_2248:                             ;   in Loop: Header=BB4_129 Depth=2
	s_and_not1_saveexec_b32 s10, s40
; %bb.2249:                             ;   in Loop: Header=BB4_129 Depth=2
	v_or_b32_e32 v71, 0x7b, v113
; %bb.2250:                             ;   in Loop: Header=BB4_129 Depth=2
	s_or_b32 exec_lo, exec_lo, s10
                                        ; implicit-def: $vgpr14
                                        ; implicit-def: $vgpr10_vgpr11
                                        ; implicit-def: $vgpr15
.LBB4_2251:                             ;   in Loop: Header=BB4_129 Depth=2
	s_and_not1_saveexec_b32 s10, s29
	s_cbranch_execz .LBB4_2257
; %bb.2252:                             ;   in Loop: Header=BB4_129 Depth=2
	s_mov_b32 s29, exec_lo
                                        ; implicit-def: $vgpr71
	v_cmpx_ne_u64_e32 0, v[10:11]
	s_xor_b32 s29, exec_lo, s29
; %bb.2253:                             ;   in Loop: Header=BB4_129 Depth=2
	v_or_b32_e32 v71, 0x7f, v15
                                        ; implicit-def: $vgpr14
; %bb.2254:                             ;   in Loop: Header=BB4_129 Depth=2
	s_and_not1_saveexec_b32 s29, s29
; %bb.2255:                             ;   in Loop: Header=BB4_129 Depth=2
	v_cmp_lt_i32_e32 vcc_lo, -1, v14
	v_cndmask_b32_e32 v71, 0xfc, v122, vcc_lo
; %bb.2256:                             ;   in Loop: Header=BB4_129 Depth=2
	s_or_b32 exec_lo, exec_lo, s29
.LBB4_2257:                             ;   in Loop: Header=BB4_129 Depth=2
	s_delay_alu instid0(SALU_CYCLE_1) | instskip(SKIP_3) | instid1(VALU_DEP_2)
	s_or_b32 exec_lo, exec_lo, s10
	v_lshrrev_b16 v10, 8, v2
	v_dual_mov_b32 v14, 0 :: v_dual_mov_b32 v15, 0
	s_mov_b32 s10, exec_lo
	v_cmpx_ne_u16_e32 0, v10
	s_cbranch_execz .LBB4_2267
; %bb.2258:                             ;   in Loop: Header=BB4_129 Depth=2
	v_bfrev_b32_e32 v15, 1
	s_mov_b32 s29, exec_lo
	v_cmpx_ne_u16_e32 0x80, v10
	s_cbranch_execz .LBB4_2266
; %bb.2259:                             ;   in Loop: Header=BB4_129 Depth=2
	v_and_b32_e32 v20, 0xffff, v10
	s_delay_alu instid0(VALU_DEP_1) | instskip(SKIP_1) | instid1(VALU_DEP_2)
	v_and_b32_e32 v15, 0x7c, v20
	v_and_b32_e32 v11, 3, v20
	v_cmp_ne_u32_e32 vcc_lo, 0x7c, v15
                                        ; implicit-def: $vgpr15
	s_and_saveexec_b32 s40, vcc_lo
	s_delay_alu instid0(SALU_CYCLE_1)
	s_xor_b32 s40, exec_lo, s40
	s_cbranch_execz .LBB4_2263
; %bb.2260:                             ;   in Loop: Header=BB4_129 Depth=2
	v_bfe_u32 v15, v20, 2, 5
	s_mov_b32 s41, exec_lo
	s_delay_alu instid0(VALU_DEP_1)
	v_cmpx_eq_u32_e32 0, v15
	s_cbranch_execz .LBB4_2262
; %bb.2261:                             ;   in Loop: Header=BB4_129 Depth=2
	v_clz_i32_u32_e32 v11, v11
	s_delay_alu instid0(VALU_DEP_1) | instskip(SKIP_1) | instid1(VALU_DEP_2)
	v_min_u32_e32 v15, 32, v11
	v_mov_b32_e32 v11, v39
	v_subrev_nc_u32_e32 v20, 29, v15
	v_sub_nc_u32_e32 v15, 30, v15
	s_delay_alu instid0(VALU_DEP_2) | instskip(NEXT) | instid1(VALU_DEP_1)
	v_lshlrev_b64_e32 v[10:11], v20, v[10:11]
	v_and_b32_e32 v11, 3, v10
.LBB4_2262:                             ;   in Loop: Header=BB4_129 Depth=2
	s_or_b32 exec_lo, exec_lo, s41
	v_lshlrev_b32_e32 v2, 16, v2
	s_delay_alu instid0(VALU_DEP_1) | instskip(NEXT) | instid1(VALU_DEP_1)
	v_and_b32_e32 v2, 0x80000000, v2
	v_lshl_add_u32 v2, v15, 23, v2
	s_delay_alu instid0(VALU_DEP_1) | instskip(NEXT) | instid1(VALU_DEP_1)
	v_lshl_or_b32 v2, v11, 21, v2
                                        ; implicit-def: $vgpr11
	v_add_nc_u32_e32 v15, 0x38000000, v2
                                        ; implicit-def: $vgpr2
.LBB4_2263:                             ;   in Loop: Header=BB4_129 Depth=2
	s_and_not1_saveexec_b32 s40, s40
; %bb.2264:                             ;   in Loop: Header=BB4_129 Depth=2
	v_cmp_lt_i16_e32 vcc_lo, -1, v2
	v_cndmask_b32_e32 v2, 0xff800000, v126, vcc_lo
	v_cmp_eq_u32_e32 vcc_lo, 0, v11
	s_delay_alu instid0(VALU_DEP_2)
	v_cndmask_b32_e32 v15, 0x7f800001, v2, vcc_lo
; %bb.2265:                             ;   in Loop: Header=BB4_129 Depth=2
	s_or_b32 exec_lo, exec_lo, s40
.LBB4_2266:                             ;   in Loop: Header=BB4_129 Depth=2
	s_delay_alu instid0(SALU_CYCLE_1)
	s_or_b32 exec_lo, exec_lo, s29
.LBB4_2267:                             ;   in Loop: Header=BB4_129 Depth=2
	s_delay_alu instid0(SALU_CYCLE_1) | instskip(SKIP_2) | instid1(VALU_DEP_1)
	s_or_b32 exec_lo, exec_lo, s10
	v_lshrrev_b16 v10, 8, v13
	s_mov_b32 s10, exec_lo
	v_cmpx_ne_u16_e32 0, v10
	s_cbranch_execz .LBB4_2277
; %bb.2268:                             ;   in Loop: Header=BB4_129 Depth=2
	v_bfrev_b32_e32 v14, 1
	s_mov_b32 s29, exec_lo
	v_cmpx_ne_u16_e32 0x80, v10
	s_cbranch_execz .LBB4_2276
; %bb.2269:                             ;   in Loop: Header=BB4_129 Depth=2
	v_and_b32_e32 v11, 0xffff, v10
	s_delay_alu instid0(VALU_DEP_1) | instskip(SKIP_1) | instid1(VALU_DEP_2)
	v_and_b32_e32 v14, 0x7c, v11
	v_and_b32_e32 v2, 3, v11
	v_cmp_ne_u32_e32 vcc_lo, 0x7c, v14
                                        ; implicit-def: $vgpr14
	s_and_saveexec_b32 s40, vcc_lo
	s_delay_alu instid0(SALU_CYCLE_1)
	s_xor_b32 s40, exec_lo, s40
	s_cbranch_execz .LBB4_2273
; %bb.2270:                             ;   in Loop: Header=BB4_129 Depth=2
	v_bfe_u32 v11, v11, 2, 5
	s_mov_b32 s41, exec_lo
	s_delay_alu instid0(VALU_DEP_1)
	v_cmpx_eq_u32_e32 0, v11
	s_cbranch_execz .LBB4_2272
; %bb.2271:                             ;   in Loop: Header=BB4_129 Depth=2
	v_clz_i32_u32_e32 v2, v2
	v_mov_b32_e32 v11, v39
	s_delay_alu instid0(VALU_DEP_2) | instskip(NEXT) | instid1(VALU_DEP_1)
	v_min_u32_e32 v2, 32, v2
	v_subrev_nc_u32_e32 v14, 29, v2
	s_delay_alu instid0(VALU_DEP_1) | instskip(SKIP_1) | instid1(VALU_DEP_2)
	v_lshlrev_b64_e32 v[10:11], v14, v[10:11]
	v_sub_nc_u32_e32 v11, 30, v2
	v_and_b32_e32 v2, 3, v10
.LBB4_2272:                             ;   in Loop: Header=BB4_129 Depth=2
	s_or_b32 exec_lo, exec_lo, s41
	v_lshlrev_b32_e32 v10, 16, v13
	s_delay_alu instid0(VALU_DEP_1) | instskip(NEXT) | instid1(VALU_DEP_1)
	v_and_b32_e32 v10, 0x80000000, v10
	v_lshl_add_u32 v10, v11, 23, v10
	s_delay_alu instid0(VALU_DEP_1) | instskip(NEXT) | instid1(VALU_DEP_1)
	v_lshl_or_b32 v2, v2, 21, v10
	v_add_nc_u32_e32 v14, 0x38000000, v2
                                        ; implicit-def: $vgpr2
.LBB4_2273:                             ;   in Loop: Header=BB4_129 Depth=2
	s_and_not1_saveexec_b32 s40, s40
; %bb.2274:                             ;   in Loop: Header=BB4_129 Depth=2
	v_cmp_lt_i16_e32 vcc_lo, -1, v13
	v_cndmask_b32_e32 v10, 0xff800000, v126, vcc_lo
	v_cmp_eq_u32_e32 vcc_lo, 0, v2
	s_delay_alu instid0(VALU_DEP_2)
	v_cndmask_b32_e32 v14, 0x7f800001, v10, vcc_lo
; %bb.2275:                             ;   in Loop: Header=BB4_129 Depth=2
	s_or_b32 exec_lo, exec_lo, s40
.LBB4_2276:                             ;   in Loop: Header=BB4_129 Depth=2
	s_delay_alu instid0(SALU_CYCLE_1)
	s_or_b32 exec_lo, exec_lo, s29
.LBB4_2277:                             ;   in Loop: Header=BB4_129 Depth=2
	s_delay_alu instid0(SALU_CYCLE_1) | instskip(NEXT) | instid1(VALU_DEP_1)
	s_or_b32 exec_lo, exec_lo, s10
	v_add_f32_e32 v14, v15, v14
	v_dual_mov_b32 v21, v39 :: v_dual_mov_b32 v11, v39
                                        ; implicit-def: $vgpr2
	s_mov_b32 s10, exec_lo
	s_delay_alu instid0(VALU_DEP_2) | instskip(SKIP_2) | instid1(VALU_DEP_3)
	v_and_b32_e32 v20, 0x7f800000, v14
	v_and_b32_e32 v10, 0x7fffff, v14
	v_lshrrev_b32_e32 v15, 24, v14
	v_cmpx_ne_u64_e32 0x7f800000, v[20:21]
	s_xor_b32 s29, exec_lo, s10
	s_cbranch_execz .LBB4_2291
; %bb.2278:                             ;   in Loop: Header=BB4_129 Depth=2
	v_and_b32_e32 v20, 0x7fffffff, v14
	v_mov_b32_e32 v21, v39
	v_and_b32_e32 v113, 0x80, v15
                                        ; implicit-def: $vgpr2
	s_mov_b32 s10, exec_lo
	s_delay_alu instid0(VALU_DEP_2)
	v_cmpx_gt_u64_e32 0x47600001, v[20:21]
	s_xor_b32 s40, exec_lo, s10
	s_cbranch_execz .LBB4_2288
; %bb.2279:                             ;   in Loop: Header=BB4_129 Depth=2
	v_mov_b32_e32 v2, 0
	s_mov_b32 s41, exec_lo
	v_cmpx_ne_u32_e32 0, v14
	s_cbranch_execz .LBB4_2287
; %bb.2280:                             ;   in Loop: Header=BB4_129 Depth=2
	v_bfe_u32 v2, v14, 23, 8
	v_or_b32_e32 v21, 0x800000, v10
	s_delay_alu instid0(VALU_DEP_2) | instskip(SKIP_1) | instid1(VALU_DEP_2)
	v_sub_nc_u32_e32 v14, 0x71, v2
	v_cmp_gt_u32_e32 vcc_lo, 0x72, v2
	v_cndmask_b32_e32 v14, 0, v14, vcc_lo
	v_cmp_eq_u32_e32 vcc_lo, 0, v2
	s_delay_alu instid0(VALU_DEP_2) | instskip(NEXT) | instid1(VALU_DEP_1)
	v_cndmask_b32_e64 v20, v14, 0x70, vcc_lo
	v_dual_cndmask_b32 v10, v21, v10, vcc_lo :: v_dual_add_nc_u32 v14, 21, v20
	v_add_nc_u32_e32 v24, 20, v20
	s_delay_alu instid0(VALU_DEP_2) | instskip(NEXT) | instid1(VALU_DEP_2)
	v_lshlrev_b64_e64 v[14:15], v14, -1
	v_lshlrev_b64_e64 v[24:25], v24, 1
	s_delay_alu instid0(VALU_DEP_2) | instskip(SKIP_1) | instid1(VALU_DEP_4)
	v_bfi_b32 v14, v14, 0, v10
	v_lshrrev_b64 v[10:11], v20, v[10:11]
	v_bfi_b32 v15, v15, 0, 0
	s_delay_alu instid0(VALU_DEP_1) | instskip(NEXT) | instid1(VALU_DEP_3)
	v_cmp_eq_u64_e64 s10, v[14:15], v[24:25]
	v_mov_b64_e32 v[14:15], v[10:11]
	s_and_saveexec_b32 s42, s10
; %bb.2281:                             ;   in Loop: Header=BB4_129 Depth=2
	v_bfe_u32 v14, v10, 21, 1
	v_mov_b32_e32 v15, v39
	s_delay_alu instid0(VALU_DEP_1) | instskip(NEXT) | instid1(VALU_DEP_1)
	v_add_nc_u64_e32 v[14:15], v[10:11], v[14:15]
	v_add_nc_u64_e32 v[14:15], -1, v[14:15]
; %bb.2282:                             ;   in Loop: Header=BB4_129 Depth=2
	s_or_b32 exec_lo, exec_lo, s42
	v_add_nc_u32_e32 v2, 0xffffff81, v2
	v_lshrrev_b32_e32 v11, 23, v10
	s_mov_b32 s10, exec_lo
	s_delay_alu instid0(VALU_DEP_2) | instskip(NEXT) | instid1(VALU_DEP_1)
	v_cndmask_b32_e64 v2, v2, 0xffffff82, vcc_lo
	v_add3_u32 v15, v20, v2, v11
	v_and_b32_e32 v2, 0x1fffff, v14
	s_delay_alu instid0(VALU_DEP_2) | instskip(NEXT) | instid1(VALU_DEP_2)
	v_dual_mov_b32 v11, v39 :: v_dual_add_nc_u32 v14, 14, v15
	v_add_nc_u32_e32 v10, v2, v10
                                        ; implicit-def: $vgpr2
	s_delay_alu instid0(VALU_DEP_2)
	v_cmpx_ne_u32_e32 0, v14
	s_xor_b32 s10, exec_lo, s10
; %bb.2283:                             ;   in Loop: Header=BB4_129 Depth=2
	s_delay_alu instid0(VALU_DEP_2) | instskip(SKIP_1) | instid1(VALU_DEP_1)
	v_cmp_lt_u64_e32 vcc_lo, 0xffffff, v[10:11]
	v_add_nc_u32_e32 v2, 15, v15
	v_cndmask_b32_e32 v2, v14, v2, vcc_lo
	v_cndmask_b32_e64 v14, 0, 1, vcc_lo
	s_delay_alu instid0(VALU_DEP_1)
	v_lshrrev_b64 v[10:11], v14, v[10:11]
; %bb.2284:                             ;   in Loop: Header=BB4_129 Depth=2
	s_and_not1_saveexec_b32 s10, s10
; %bb.2285:                             ;   in Loop: Header=BB4_129 Depth=2
	s_delay_alu instid0(VALU_DEP_1)
	v_bfe_u32 v2, v10, 23, 1
; %bb.2286:                             ;   in Loop: Header=BB4_129 Depth=2
	s_or_b32 exec_lo, exec_lo, s10
	s_delay_alu instid0(VALU_DEP_2) | instskip(NEXT) | instid1(VALU_DEP_2)
	v_lshrrev_b64 v[10:11], 21, v[10:11]
	v_cmp_gt_i32_e32 vcc_lo, 32, v2
	v_min_i32_e32 v14, 31, v2
	v_cmp_eq_u32_e64 s10, 0, v2
	s_delay_alu instid0(VALU_DEP_2) | instskip(SKIP_1) | instid1(VALU_DEP_2)
	v_dual_cndmask_b32 v11, 0, v11 :: v_dual_lshlrev_b32 v14, 2, v14
	v_cndmask_b32_e32 v10, 3, v10, vcc_lo
	v_and_b32_e32 v14, 0xfc, v14
	s_delay_alu instid0(VALU_DEP_2) | instskip(NEXT) | instid1(VALU_DEP_2)
	v_cmp_eq_u64_e32 vcc_lo, 0, v[10:11]
	v_and_or_b32 v2, v10, 3, v14
	s_and_b32 s10, s10, vcc_lo
	s_delay_alu instid0(VALU_DEP_1) | instid1(SALU_CYCLE_1)
	v_cndmask_b32_e64 v2, v2, 0, s10
	s_delay_alu instid0(VALU_DEP_1)
	v_or_b32_e32 v2, v2, v113
.LBB4_2287:                             ;   in Loop: Header=BB4_129 Depth=2
	s_or_b32 exec_lo, exec_lo, s41
                                        ; implicit-def: $vgpr113
.LBB4_2288:                             ;   in Loop: Header=BB4_129 Depth=2
	s_and_not1_saveexec_b32 s10, s40
; %bb.2289:                             ;   in Loop: Header=BB4_129 Depth=2
	v_or_b32_e32 v2, 0x7b, v113
; %bb.2290:                             ;   in Loop: Header=BB4_129 Depth=2
	s_or_b32 exec_lo, exec_lo, s10
                                        ; implicit-def: $vgpr14
                                        ; implicit-def: $vgpr10_vgpr11
                                        ; implicit-def: $vgpr15
.LBB4_2291:                             ;   in Loop: Header=BB4_129 Depth=2
	s_and_not1_saveexec_b32 s10, s29
	s_cbranch_execz .LBB4_2297
; %bb.2292:                             ;   in Loop: Header=BB4_129 Depth=2
	s_mov_b32 s29, exec_lo
                                        ; implicit-def: $vgpr2
	v_cmpx_ne_u64_e32 0, v[10:11]
	s_xor_b32 s29, exec_lo, s29
; %bb.2293:                             ;   in Loop: Header=BB4_129 Depth=2
	v_or_b32_e32 v2, 0x7f, v15
                                        ; implicit-def: $vgpr14
; %bb.2294:                             ;   in Loop: Header=BB4_129 Depth=2
	s_and_not1_saveexec_b32 s29, s29
; %bb.2295:                             ;   in Loop: Header=BB4_129 Depth=2
	v_cmp_lt_i32_e32 vcc_lo, -1, v14
	v_cndmask_b32_e32 v2, 0xfc, v122, vcc_lo
; %bb.2296:                             ;   in Loop: Header=BB4_129 Depth=2
	s_or_b32 exec_lo, exec_lo, s29
.LBB4_2297:                             ;   in Loop: Header=BB4_129 Depth=2
	s_delay_alu instid0(SALU_CYCLE_1) | instskip(SKIP_3) | instid1(VALU_DEP_2)
	s_or_b32 exec_lo, exec_lo, s10
	v_dual_mov_b32 v11, 0 :: v_dual_lshrrev_b32 v10, 16, v38
	v_mov_b32_e32 v14, 0
	s_mov_b32 s10, exec_lo
	v_and_b32_e32 v15, 0xff, v10
	s_delay_alu instid0(VALU_DEP_1)
	v_cmpx_ne_u16_e32 0, v15
	s_cbranch_execz .LBB4_2307
; %bb.2298:                             ;   in Loop: Header=BB4_129 Depth=2
	v_bfrev_b32_e32 v14, 1
	s_mov_b32 s29, exec_lo
	v_cmpx_ne_u16_e32 0x80, v15
	s_cbranch_execz .LBB4_2306
; %bb.2299:                             ;   in Loop: Header=BB4_129 Depth=2
	v_and_b32_e32 v14, 0x7c0000, v38
	v_bfe_u32 v15, v38, 16, 2
	s_delay_alu instid0(VALU_DEP_2) | instskip(SKIP_1) | instid1(SALU_CYCLE_1)
	v_cmp_ne_u32_e32 vcc_lo, 0x7c0000, v14
                                        ; implicit-def: $vgpr14
	s_and_saveexec_b32 s40, vcc_lo
	s_xor_b32 s40, exec_lo, s40
	s_cbranch_execz .LBB4_2303
; %bb.2300:                             ;   in Loop: Header=BB4_129 Depth=2
	v_bfe_u32 v14, v38, 18, 5
	s_mov_b32 s41, exec_lo
	s_delay_alu instid0(VALU_DEP_1)
	v_cmpx_eq_u32_e32 0, v14
; %bb.2301:                             ;   in Loop: Header=BB4_129 Depth=2
	v_clz_i32_u32_e32 v14, v15
	s_delay_alu instid0(VALU_DEP_1) | instskip(NEXT) | instid1(VALU_DEP_1)
	v_min_u32_e32 v14, 32, v14
	v_subrev_nc_u32_e32 v15, 29, v14
	s_delay_alu instid0(VALU_DEP_1) | instskip(NEXT) | instid1(VALU_DEP_1)
	v_lshlrev_b64_e32 v[20:21], v15, v[10:11]
	v_dual_sub_nc_u32 v14, 30, v14 :: v_dual_bitop2_b32 v15, 3, v20 bitop3:0x40
; %bb.2302:                             ;   in Loop: Header=BB4_129 Depth=2
	s_or_b32 exec_lo, exec_lo, s41
	v_lshlrev_b32_e32 v10, 24, v10
	s_delay_alu instid0(VALU_DEP_1) | instskip(NEXT) | instid1(VALU_DEP_1)
	v_and_b32_e32 v10, 0x80000000, v10
	v_lshl_add_u32 v10, v14, 23, v10
	s_delay_alu instid0(VALU_DEP_1) | instskip(NEXT) | instid1(VALU_DEP_1)
	v_lshl_or_b32 v10, v15, 21, v10
                                        ; implicit-def: $vgpr15
	v_add_nc_u32_e32 v14, 0x38000000, v10
                                        ; implicit-def: $vgpr10
.LBB4_2303:                             ;   in Loop: Header=BB4_129 Depth=2
	s_and_not1_saveexec_b32 s40, s40
; %bb.2304:                             ;   in Loop: Header=BB4_129 Depth=2
	v_bfe_i32 v10, v10, 0, 8
	s_delay_alu instid0(VALU_DEP_1) | instskip(SKIP_2) | instid1(VALU_DEP_2)
	v_cmp_lt_i16_e32 vcc_lo, -1, v10
	v_cndmask_b32_e32 v10, 0xff800000, v126, vcc_lo
	v_cmp_eq_u32_e32 vcc_lo, 0, v15
	v_cndmask_b32_e32 v14, 0x7f800001, v10, vcc_lo
; %bb.2305:                             ;   in Loop: Header=BB4_129 Depth=2
	s_or_b32 exec_lo, exec_lo, s40
.LBB4_2306:                             ;   in Loop: Header=BB4_129 Depth=2
	s_delay_alu instid0(SALU_CYCLE_1)
	s_or_b32 exec_lo, exec_lo, s29
.LBB4_2307:                             ;   in Loop: Header=BB4_129 Depth=2
	s_delay_alu instid0(SALU_CYCLE_1) | instskip(SKIP_2) | instid1(VALU_DEP_1)
	s_or_b32 exec_lo, exec_lo, s10
	v_lshrrev_b32_e32 v10, 16, v13
	s_mov_b32 s10, exec_lo
	v_and_b32_e32 v15, 0xff, v10
	s_delay_alu instid0(VALU_DEP_1)
	v_cmpx_ne_u16_e32 0, v15
	s_cbranch_execz .LBB4_2317
; %bb.2308:                             ;   in Loop: Header=BB4_129 Depth=2
	v_bfrev_b32_e32 v11, 1
	s_mov_b32 s29, exec_lo
	v_cmpx_ne_u16_e32 0x80, v15
	s_cbranch_execz .LBB4_2316
; %bb.2309:                             ;   in Loop: Header=BB4_129 Depth=2
	v_and_b32_e32 v11, 0x7c0000, v13
	v_bfe_u32 v15, v13, 16, 2
	s_delay_alu instid0(VALU_DEP_2) | instskip(SKIP_1) | instid1(SALU_CYCLE_1)
	v_cmp_ne_u32_e32 vcc_lo, 0x7c0000, v11
                                        ; implicit-def: $vgpr11
	s_and_saveexec_b32 s40, vcc_lo
	s_xor_b32 s40, exec_lo, s40
	s_cbranch_execz .LBB4_2313
; %bb.2310:                             ;   in Loop: Header=BB4_129 Depth=2
	v_bfe_u32 v11, v13, 18, 5
	s_mov_b32 s41, exec_lo
	s_delay_alu instid0(VALU_DEP_1)
	v_cmpx_eq_u32_e32 0, v11
; %bb.2311:                             ;   in Loop: Header=BB4_129 Depth=2
	v_clz_i32_u32_e32 v11, v15
	s_delay_alu instid0(VALU_DEP_1) | instskip(NEXT) | instid1(VALU_DEP_1)
	v_min_u32_e32 v11, 32, v11
	v_subrev_nc_u32_e32 v15, 29, v11
	s_delay_alu instid0(VALU_DEP_1) | instskip(NEXT) | instid1(VALU_DEP_1)
	v_lshlrev_b64_e32 v[20:21], v15, v[10:11]
	v_dual_sub_nc_u32 v11, 30, v11 :: v_dual_bitop2_b32 v15, 3, v20 bitop3:0x40
; %bb.2312:                             ;   in Loop: Header=BB4_129 Depth=2
	s_or_b32 exec_lo, exec_lo, s41
	v_lshlrev_b32_e32 v10, 24, v10
	s_delay_alu instid0(VALU_DEP_1) | instskip(NEXT) | instid1(VALU_DEP_1)
	v_and_b32_e32 v10, 0x80000000, v10
	v_lshl_add_u32 v10, v11, 23, v10
	s_delay_alu instid0(VALU_DEP_1) | instskip(NEXT) | instid1(VALU_DEP_1)
	v_lshl_or_b32 v10, v15, 21, v10
                                        ; implicit-def: $vgpr15
	v_add_nc_u32_e32 v11, 0x38000000, v10
                                        ; implicit-def: $vgpr10
.LBB4_2313:                             ;   in Loop: Header=BB4_129 Depth=2
	s_and_not1_saveexec_b32 s40, s40
; %bb.2314:                             ;   in Loop: Header=BB4_129 Depth=2
	v_bfe_i32 v10, v10, 0, 8
	s_delay_alu instid0(VALU_DEP_1) | instskip(SKIP_2) | instid1(VALU_DEP_2)
	v_cmp_lt_i16_e32 vcc_lo, -1, v10
	v_cndmask_b32_e32 v10, 0xff800000, v126, vcc_lo
	v_cmp_eq_u32_e32 vcc_lo, 0, v15
	v_cndmask_b32_e32 v11, 0x7f800001, v10, vcc_lo
; %bb.2315:                             ;   in Loop: Header=BB4_129 Depth=2
	s_or_b32 exec_lo, exec_lo, s40
.LBB4_2316:                             ;   in Loop: Header=BB4_129 Depth=2
	s_delay_alu instid0(SALU_CYCLE_1)
	s_or_b32 exec_lo, exec_lo, s29
.LBB4_2317:                             ;   in Loop: Header=BB4_129 Depth=2
	s_delay_alu instid0(SALU_CYCLE_1) | instskip(NEXT) | instid1(VALU_DEP_1)
	s_or_b32 exec_lo, exec_lo, s10
	v_dual_add_f32 v15, v14, v11 :: v_dual_mov_b32 v21, v39
	v_mov_b32_e32 v11, v39
                                        ; implicit-def: $vgpr14
	s_delay_alu instid0(VALU_DEP_2) | instskip(SKIP_1) | instid1(VALU_DEP_2)
	v_and_b32_e32 v20, 0x7f800000, v15
	v_and_b32_e32 v10, 0x7fffff, v15
	v_cmp_ne_u64_e32 vcc_lo, 0x7f800000, v[20:21]
	v_lshrrev_b32_e32 v20, 24, v15
	s_and_saveexec_b32 s10, vcc_lo
	s_delay_alu instid0(SALU_CYCLE_1)
	s_xor_b32 s29, exec_lo, s10
	s_cbranch_execz .LBB4_2331
; %bb.2318:                             ;   in Loop: Header=BB4_129 Depth=2
	v_and_b32_e32 v24, 0x7fffffff, v15
	v_mov_b32_e32 v25, v39
	v_and_b32_e32 v113, 0x80, v20
                                        ; implicit-def: $vgpr14
	s_mov_b32 s10, exec_lo
	s_delay_alu instid0(VALU_DEP_2)
	v_cmpx_gt_u64_e32 0x47600001, v[24:25]
	s_xor_b32 s40, exec_lo, s10
	s_cbranch_execz .LBB4_2328
; %bb.2319:                             ;   in Loop: Header=BB4_129 Depth=2
	v_mov_b32_e32 v14, 0
	s_mov_b32 s41, exec_lo
	v_cmpx_ne_u32_e32 0, v15
	s_cbranch_execz .LBB4_2327
; %bb.2320:                             ;   in Loop: Header=BB4_129 Depth=2
	v_bfe_u32 v20, v15, 23, 8
	v_or_b32_e32 v24, 0x800000, v10
	s_delay_alu instid0(VALU_DEP_2) | instskip(SKIP_1) | instid1(VALU_DEP_2)
	v_sub_nc_u32_e32 v14, 0x71, v20
	v_cmp_gt_u32_e32 vcc_lo, 0x72, v20
	v_cndmask_b32_e32 v14, 0, v14, vcc_lo
	v_cmp_eq_u32_e32 vcc_lo, 0, v20
	s_delay_alu instid0(VALU_DEP_2) | instskip(NEXT) | instid1(VALU_DEP_1)
	v_cndmask_b32_e64 v21, v14, 0x70, vcc_lo
	v_dual_cndmask_b32 v10, v24, v10, vcc_lo :: v_dual_add_nc_u32 v14, 21, v21
	v_add_nc_u32_e32 v25, 20, v21
	s_delay_alu instid0(VALU_DEP_2) | instskip(NEXT) | instid1(VALU_DEP_2)
	v_lshlrev_b64_e64 v[14:15], v14, -1
	v_lshlrev_b64_e64 v[24:25], v25, 1
	s_delay_alu instid0(VALU_DEP_2) | instskip(SKIP_1) | instid1(VALU_DEP_4)
	v_bfi_b32 v14, v14, 0, v10
	v_lshrrev_b64 v[10:11], v21, v[10:11]
	v_bfi_b32 v15, v15, 0, 0
	s_delay_alu instid0(VALU_DEP_1) | instskip(NEXT) | instid1(VALU_DEP_3)
	v_cmp_eq_u64_e64 s10, v[14:15], v[24:25]
	v_mov_b64_e32 v[14:15], v[10:11]
	s_and_saveexec_b32 s42, s10
; %bb.2321:                             ;   in Loop: Header=BB4_129 Depth=2
	v_bfe_u32 v14, v10, 21, 1
	v_mov_b32_e32 v15, v39
	s_delay_alu instid0(VALU_DEP_1) | instskip(NEXT) | instid1(VALU_DEP_1)
	v_add_nc_u64_e32 v[14:15], v[10:11], v[14:15]
	v_add_nc_u64_e32 v[14:15], -1, v[14:15]
; %bb.2322:                             ;   in Loop: Header=BB4_129 Depth=2
	s_or_b32 exec_lo, exec_lo, s42
	v_add_nc_u32_e32 v11, 0xffffff81, v20
	v_lshrrev_b32_e32 v15, 23, v10
	s_mov_b32 s10, exec_lo
	s_delay_alu instid0(VALU_DEP_2) | instskip(NEXT) | instid1(VALU_DEP_1)
	v_cndmask_b32_e64 v11, v11, 0xffffff82, vcc_lo
	v_add3_u32 v15, v21, v11, v15
	v_and_b32_e32 v11, 0x1fffff, v14
                                        ; implicit-def: $vgpr14
	s_delay_alu instid0(VALU_DEP_1) | instskip(SKIP_1) | instid1(VALU_DEP_2)
	v_dual_add_nc_u32 v20, 14, v15 :: v_dual_add_nc_u32 v10, v11, v10
	v_mov_b32_e32 v11, v39
	v_cmpx_ne_u32_e32 0, v20
	s_xor_b32 s10, exec_lo, s10
; %bb.2323:                             ;   in Loop: Header=BB4_129 Depth=2
	s_delay_alu instid0(VALU_DEP_2) | instskip(SKIP_2) | instid1(VALU_DEP_2)
	v_cmp_lt_u64_e32 vcc_lo, 0xffffff, v[10:11]
	v_add_nc_u32_e32 v14, 15, v15
	v_cndmask_b32_e64 v15, 0, 1, vcc_lo
	v_cndmask_b32_e32 v14, v20, v14, vcc_lo
	s_delay_alu instid0(VALU_DEP_2)
	v_lshrrev_b64 v[10:11], v15, v[10:11]
; %bb.2324:                             ;   in Loop: Header=BB4_129 Depth=2
	s_and_not1_saveexec_b32 s10, s10
; %bb.2325:                             ;   in Loop: Header=BB4_129 Depth=2
	s_delay_alu instid0(VALU_DEP_1)
	v_bfe_u32 v14, v10, 23, 1
; %bb.2326:                             ;   in Loop: Header=BB4_129 Depth=2
	s_or_b32 exec_lo, exec_lo, s10
	s_delay_alu instid0(VALU_DEP_2) | instskip(NEXT) | instid1(VALU_DEP_2)
	v_lshrrev_b64 v[10:11], 21, v[10:11]
	v_cmp_gt_i32_e32 vcc_lo, 32, v14
	v_min_i32_e32 v15, 31, v14
	v_cmp_eq_u32_e64 s10, 0, v14
	s_delay_alu instid0(VALU_DEP_4) | instskip(NEXT) | instid1(VALU_DEP_3)
	v_cndmask_b32_e32 v11, 0, v11, vcc_lo
	v_dual_cndmask_b32 v10, 3, v10 :: v_dual_lshlrev_b32 v15, 2, v15
	s_delay_alu instid0(VALU_DEP_1) | instskip(NEXT) | instid1(VALU_DEP_2)
	v_and_b32_e32 v15, 0xfc, v15
	v_cmp_eq_u64_e32 vcc_lo, 0, v[10:11]
	s_delay_alu instid0(VALU_DEP_2)
	v_and_or_b32 v10, v10, 3, v15
	s_and_b32 s10, s10, vcc_lo
	s_delay_alu instid0(VALU_DEP_1) | instid1(SALU_CYCLE_1)
	v_cndmask_b32_e64 v10, v10, 0, s10
	s_delay_alu instid0(VALU_DEP_1)
	v_or_b32_e32 v14, v10, v113
.LBB4_2327:                             ;   in Loop: Header=BB4_129 Depth=2
	s_or_b32 exec_lo, exec_lo, s41
                                        ; implicit-def: $vgpr113
.LBB4_2328:                             ;   in Loop: Header=BB4_129 Depth=2
	s_and_not1_saveexec_b32 s10, s40
; %bb.2329:                             ;   in Loop: Header=BB4_129 Depth=2
	v_or_b32_e32 v14, 0x7b, v113
; %bb.2330:                             ;   in Loop: Header=BB4_129 Depth=2
	s_or_b32 exec_lo, exec_lo, s10
                                        ; implicit-def: $vgpr15
                                        ; implicit-def: $vgpr10_vgpr11
                                        ; implicit-def: $vgpr20
.LBB4_2331:                             ;   in Loop: Header=BB4_129 Depth=2
	s_and_not1_saveexec_b32 s10, s29
	s_cbranch_execz .LBB4_2337
; %bb.2332:                             ;   in Loop: Header=BB4_129 Depth=2
	s_mov_b32 s29, exec_lo
                                        ; implicit-def: $vgpr14
	v_cmpx_ne_u64_e32 0, v[10:11]
	s_xor_b32 s29, exec_lo, s29
; %bb.2333:                             ;   in Loop: Header=BB4_129 Depth=2
	v_or_b32_e32 v14, 0x7f, v20
                                        ; implicit-def: $vgpr15
; %bb.2334:                             ;   in Loop: Header=BB4_129 Depth=2
	s_and_not1_saveexec_b32 s29, s29
; %bb.2335:                             ;   in Loop: Header=BB4_129 Depth=2
	v_cmp_lt_i32_e32 vcc_lo, -1, v15
	v_cndmask_b32_e32 v14, 0xfc, v122, vcc_lo
; %bb.2336:                             ;   in Loop: Header=BB4_129 Depth=2
	s_or_b32 exec_lo, exec_lo, s29
.LBB4_2337:                             ;   in Loop: Header=BB4_129 Depth=2
	s_delay_alu instid0(SALU_CYCLE_1)
	s_or_b32 exec_lo, exec_lo, s10
	v_dual_mov_b32 v11, 0 :: v_dual_mov_b32 v15, 0
	s_mov_b32 s10, exec_lo
	v_cmpx_lt_u32_e32 0xffffff, v38
	s_cbranch_execz .LBB4_2347
; %bb.2338:                             ;   in Loop: Header=BB4_129 Depth=2
	v_lshrrev_b32_e32 v10, 24, v38
	v_bfrev_b32_e32 v15, 1
	s_mov_b32 s29, exec_lo
	s_delay_alu instid0(VALU_DEP_2)
	v_cmpx_ne_u32_e32 0x80, v10
	s_cbranch_execz .LBB4_2346
; %bb.2339:                             ;   in Loop: Header=BB4_129 Depth=2
	v_and_b32_e32 v15, 0x7c000000, v38
	v_bfe_u32 v20, v38, 24, 2
	s_delay_alu instid0(VALU_DEP_2) | instskip(SKIP_1) | instid1(SALU_CYCLE_1)
	v_cmp_ne_u32_e32 vcc_lo, 0x7c000000, v15
                                        ; implicit-def: $vgpr15
	s_and_saveexec_b32 s40, vcc_lo
	s_xor_b32 s40, exec_lo, s40
	s_cbranch_execz .LBB4_2343
; %bb.2340:                             ;   in Loop: Header=BB4_129 Depth=2
	v_bfe_u32 v15, v38, 26, 5
	s_mov_b32 s41, exec_lo
	s_delay_alu instid0(VALU_DEP_1)
	v_cmpx_eq_u32_e32 0, v15
; %bb.2341:                             ;   in Loop: Header=BB4_129 Depth=2
	v_clz_i32_u32_e32 v15, v20
	s_delay_alu instid0(VALU_DEP_1) | instskip(NEXT) | instid1(VALU_DEP_1)
	v_min_u32_e32 v15, 32, v15
	v_subrev_nc_u32_e32 v20, 29, v15
	s_delay_alu instid0(VALU_DEP_1) | instskip(NEXT) | instid1(VALU_DEP_1)
	v_lshlrev_b64_e32 v[20:21], v20, v[10:11]
	v_dual_sub_nc_u32 v15, 30, v15 :: v_dual_bitop2_b32 v20, 3, v20 bitop3:0x40
; %bb.2342:                             ;   in Loop: Header=BB4_129 Depth=2
	s_or_b32 exec_lo, exec_lo, s41
	v_and_b32_e32 v10, 0x80000000, v38
	s_delay_alu instid0(VALU_DEP_1) | instskip(NEXT) | instid1(VALU_DEP_1)
	v_lshl_add_u32 v10, v15, 23, v10
	v_lshl_or_b32 v10, v20, 21, v10
                                        ; implicit-def: $vgpr20
	s_delay_alu instid0(VALU_DEP_1)
	v_add_nc_u32_e32 v15, 0x38000000, v10
.LBB4_2343:                             ;   in Loop: Header=BB4_129 Depth=2
	s_and_not1_saveexec_b32 s40, s40
; %bb.2344:                             ;   in Loop: Header=BB4_129 Depth=2
	v_cmp_lt_i32_e32 vcc_lo, -1, v38
	v_cndmask_b32_e32 v10, 0xff800000, v126, vcc_lo
	v_cmp_eq_u32_e32 vcc_lo, 0, v20
	s_delay_alu instid0(VALU_DEP_2)
	v_cndmask_b32_e32 v15, 0x7f800001, v10, vcc_lo
; %bb.2345:                             ;   in Loop: Header=BB4_129 Depth=2
	s_or_b32 exec_lo, exec_lo, s40
.LBB4_2346:                             ;   in Loop: Header=BB4_129 Depth=2
	s_delay_alu instid0(SALU_CYCLE_1)
	s_or_b32 exec_lo, exec_lo, s29
.LBB4_2347:                             ;   in Loop: Header=BB4_129 Depth=2
	s_delay_alu instid0(SALU_CYCLE_1) | instskip(NEXT) | instid1(SALU_CYCLE_1)
	s_or_b32 exec_lo, exec_lo, s10
	s_mov_b32 s10, exec_lo
	v_cmpx_lt_u64_e64 s[12:13], v[12:13]
	s_cbranch_execz .LBB4_2357
; %bb.2348:                             ;   in Loop: Header=BB4_129 Depth=2
	v_lshrrev_b32_e32 v10, 24, v13
	v_bfrev_b32_e32 v11, 1
	s_mov_b32 s29, exec_lo
	s_delay_alu instid0(VALU_DEP_2)
	v_cmpx_ne_u32_e32 0x80, v10
	s_cbranch_execz .LBB4_2356
; %bb.2349:                             ;   in Loop: Header=BB4_129 Depth=2
	v_and_b32_e32 v11, 0x7c000000, v13
	v_bfe_u32 v20, v13, 24, 2
	s_delay_alu instid0(VALU_DEP_2) | instskip(SKIP_1) | instid1(SALU_CYCLE_1)
	v_cmp_ne_u32_e32 vcc_lo, 0x7c000000, v11
                                        ; implicit-def: $vgpr11
	s_and_saveexec_b32 s40, vcc_lo
	s_xor_b32 s40, exec_lo, s40
	s_cbranch_execz .LBB4_2353
; %bb.2350:                             ;   in Loop: Header=BB4_129 Depth=2
	v_bfe_u32 v11, v13, 26, 5
	s_mov_b32 s41, exec_lo
	s_delay_alu instid0(VALU_DEP_1)
	v_cmpx_eq_u32_e32 0, v11
; %bb.2351:                             ;   in Loop: Header=BB4_129 Depth=2
	v_clz_i32_u32_e32 v11, v20
	s_delay_alu instid0(VALU_DEP_1) | instskip(NEXT) | instid1(VALU_DEP_1)
	v_min_u32_e32 v12, 32, v11
	v_subrev_nc_u32_e32 v11, 29, v12
	s_delay_alu instid0(VALU_DEP_1) | instskip(NEXT) | instid1(VALU_DEP_1)
	v_lshlrev_b64_e32 v[10:11], v11, v[10:11]
	v_dual_sub_nc_u32 v11, 30, v12 :: v_dual_bitop2_b32 v20, 3, v10 bitop3:0x40
; %bb.2352:                             ;   in Loop: Header=BB4_129 Depth=2
	s_or_b32 exec_lo, exec_lo, s41
	v_and_b32_e32 v10, 0x80000000, v13
                                        ; implicit-def: $vgpr12_vgpr13
	s_delay_alu instid0(VALU_DEP_1) | instskip(NEXT) | instid1(VALU_DEP_1)
	v_lshl_add_u32 v10, v11, 23, v10
	v_lshl_or_b32 v10, v20, 21, v10
                                        ; implicit-def: $vgpr20
	s_delay_alu instid0(VALU_DEP_1)
	v_add_nc_u32_e32 v11, 0x38000000, v10
.LBB4_2353:                             ;   in Loop: Header=BB4_129 Depth=2
	s_and_not1_saveexec_b32 s40, s40
; %bb.2354:                             ;   in Loop: Header=BB4_129 Depth=2
	v_cmp_lt_i64_e32 vcc_lo, -1, v[12:13]
	v_cndmask_b32_e32 v10, 0xff800000, v126, vcc_lo
	v_cmp_eq_u32_e32 vcc_lo, 0, v20
	s_delay_alu instid0(VALU_DEP_2)
	v_cndmask_b32_e32 v11, 0x7f800001, v10, vcc_lo
; %bb.2355:                             ;   in Loop: Header=BB4_129 Depth=2
	s_or_b32 exec_lo, exec_lo, s40
.LBB4_2356:                             ;   in Loop: Header=BB4_129 Depth=2
	s_delay_alu instid0(SALU_CYCLE_1)
	s_or_b32 exec_lo, exec_lo, s29
.LBB4_2357:                             ;   in Loop: Header=BB4_129 Depth=2
	s_delay_alu instid0(SALU_CYCLE_1) | instskip(NEXT) | instid1(VALU_DEP_1)
	s_or_b32 exec_lo, exec_lo, s10
	v_add_f32_e32 v11, v15, v11
	v_mov_b32_e32 v13, v39
                                        ; implicit-def: $vgpr10
	s_delay_alu instid0(VALU_DEP_2) | instskip(SKIP_1) | instid1(VALU_DEP_2)
	v_and_b32_e32 v12, 0x7f800000, v11
	v_and_b32_e32 v38, 0x7fffff, v11
	v_cmp_ne_u64_e32 vcc_lo, 0x7f800000, v[12:13]
	v_lshrrev_b32_e32 v12, 24, v11
	s_and_saveexec_b32 s10, vcc_lo
	s_delay_alu instid0(SALU_CYCLE_1)
	s_xor_b32 s29, exec_lo, s10
	s_cbranch_execz .LBB4_2371
; %bb.2358:                             ;   in Loop: Header=BB4_129 Depth=2
	v_and_b32_e32 v20, 0x7fffffff, v11
	v_mov_b32_e32 v21, v39
	v_and_b32_e32 v15, 0x80, v12
                                        ; implicit-def: $vgpr10
	s_mov_b32 s10, exec_lo
	s_delay_alu instid0(VALU_DEP_2)
	v_cmpx_gt_u64_e32 0x47600001, v[20:21]
	s_xor_b32 s40, exec_lo, s10
	s_cbranch_execz .LBB4_2368
; %bb.2359:                             ;   in Loop: Header=BB4_129 Depth=2
	v_mov_b32_e32 v10, 0
	s_mov_b32 s41, exec_lo
	v_cmpx_ne_u32_e32 0, v11
	s_cbranch_execz .LBB4_2367
; %bb.2360:                             ;   in Loop: Header=BB4_129 Depth=2
	v_bfe_u32 v20, v11, 23, 8
	v_or_b32_e32 v12, 0x800000, v38
	s_mov_b32 s42, exec_lo
	s_delay_alu instid0(VALU_DEP_2) | instskip(SKIP_1) | instid1(VALU_DEP_2)
	v_dual_mov_b32 v13, v39 :: v_dual_sub_nc_u32 v10, 0x71, v20
	v_cmp_gt_u32_e32 vcc_lo, 0x72, v20
	v_cndmask_b32_e32 v10, 0, v10, vcc_lo
	v_cmp_eq_u32_e32 vcc_lo, 0, v20
	s_delay_alu instid0(VALU_DEP_2) | instskip(NEXT) | instid1(VALU_DEP_1)
	v_cndmask_b32_e64 v21, v10, 0x70, vcc_lo
	v_dual_cndmask_b32 v12, v12, v38, vcc_lo :: v_dual_add_nc_u32 v10, 21, v21
	v_add_nc_u32_e32 v24, 20, v21
	s_delay_alu instid0(VALU_DEP_2) | instskip(NEXT) | instid1(VALU_DEP_2)
	v_lshlrev_b64_e64 v[10:11], v10, -1
	v_lshlrev_b64_e64 v[24:25], v24, 1
	s_delay_alu instid0(VALU_DEP_2) | instskip(NEXT) | instid1(VALU_DEP_3)
	v_bfi_b32 v75, v11, 0, 0
	v_bfi_b32 v74, v10, 0, v12
	v_lshrrev_b64 v[10:11], v21, v[12:13]
	s_delay_alu instid0(VALU_DEP_1) | instskip(NEXT) | instid1(VALU_DEP_3)
	v_mov_b64_e32 v[12:13], v[10:11]
	v_cmpx_eq_u64_e64 v[74:75], v[24:25]
; %bb.2361:                             ;   in Loop: Header=BB4_129 Depth=2
	v_bfe_u32 v12, v10, 21, 1
	v_mov_b32_e32 v13, v39
	s_delay_alu instid0(VALU_DEP_1) | instskip(NEXT) | instid1(VALU_DEP_1)
	v_add_nc_u64_e32 v[12:13], v[10:11], v[12:13]
	v_add_nc_u64_e32 v[12:13], -1, v[12:13]
; %bb.2362:                             ;   in Loop: Header=BB4_129 Depth=2
	s_or_b32 exec_lo, exec_lo, s42
	v_add_nc_u32_e32 v11, 0xffffff81, v20
	v_lshrrev_b32_e32 v13, 23, v10
	s_mov_b32 s10, exec_lo
	s_delay_alu instid0(VALU_DEP_2) | instskip(NEXT) | instid1(VALU_DEP_1)
	v_cndmask_b32_e64 v11, v11, 0xffffff82, vcc_lo
	v_add3_u32 v13, v21, v11, v13
	v_and_b32_e32 v11, 0x1fffff, v12
                                        ; implicit-def: $vgpr12
	s_delay_alu instid0(VALU_DEP_1) | instskip(NEXT) | instid1(VALU_DEP_1)
	v_dual_add_nc_u32 v20, 14, v13 :: v_dual_add_nc_u32 v38, v11, v10
                                        ; implicit-def: $vgpr10_vgpr11
	v_cmpx_ne_u32_e32 0, v20
	s_xor_b32 s10, exec_lo, s10
; %bb.2363:                             ;   in Loop: Header=BB4_129 Depth=2
	s_delay_alu instid0(VALU_DEP_2) | instskip(SKIP_1) | instid1(VALU_DEP_1)
	v_cmp_lt_u64_e32 vcc_lo, 0xffffff, v[38:39]
	v_add_nc_u32_e32 v10, 15, v13
	v_cndmask_b32_e32 v12, v20, v10, vcc_lo
	v_cndmask_b32_e64 v10, 0, 1, vcc_lo
	s_delay_alu instid0(VALU_DEP_1)
	v_lshrrev_b64 v[10:11], v10, v[38:39]
; %bb.2364:                             ;   in Loop: Header=BB4_129 Depth=2
	s_and_not1_saveexec_b32 s10, s10
; %bb.2365:                             ;   in Loop: Header=BB4_129 Depth=2
	v_mov_b64_e32 v[10:11], v[38:39]
	v_bfe_u32 v12, v38, 23, 1
; %bb.2366:                             ;   in Loop: Header=BB4_129 Depth=2
	s_or_b32 exec_lo, exec_lo, s10
	s_delay_alu instid0(VALU_DEP_2) | instskip(NEXT) | instid1(VALU_DEP_2)
	v_lshrrev_b64 v[10:11], 21, v[10:11]
	v_cmp_gt_i32_e32 vcc_lo, 32, v12
	v_min_i32_e32 v13, 31, v12
	v_cmp_eq_u32_e64 s10, 0, v12
	s_delay_alu instid0(VALU_DEP_2) | instskip(SKIP_1) | instid1(VALU_DEP_2)
	v_dual_cndmask_b32 v11, 0, v11, vcc_lo :: v_dual_lshlrev_b32 v13, 2, v13
	v_cndmask_b32_e32 v10, 3, v10, vcc_lo
	v_and_b32_e32 v13, 0xfc, v13
	s_delay_alu instid0(VALU_DEP_2) | instskip(NEXT) | instid1(VALU_DEP_2)
	v_cmp_eq_u64_e32 vcc_lo, 0, v[10:11]
	v_and_or_b32 v10, v10, 3, v13
	s_and_b32 s10, s10, vcc_lo
	s_delay_alu instid0(VALU_DEP_1) | instid1(SALU_CYCLE_1)
	v_cndmask_b32_e64 v10, v10, 0, s10
	s_delay_alu instid0(VALU_DEP_1)
	v_or_b32_e32 v10, v10, v15
.LBB4_2367:                             ;   in Loop: Header=BB4_129 Depth=2
	s_or_b32 exec_lo, exec_lo, s41
                                        ; implicit-def: $vgpr15
.LBB4_2368:                             ;   in Loop: Header=BB4_129 Depth=2
	s_and_not1_saveexec_b32 s10, s40
; %bb.2369:                             ;   in Loop: Header=BB4_129 Depth=2
	v_or_b32_e32 v10, 0x7b, v15
; %bb.2370:                             ;   in Loop: Header=BB4_129 Depth=2
	s_or_b32 exec_lo, exec_lo, s10
                                        ; implicit-def: $vgpr11
                                        ; implicit-def: $vgpr12
.LBB4_2371:                             ;   in Loop: Header=BB4_129 Depth=2
	s_and_not1_saveexec_b32 s10, s29
	s_cbranch_execz .LBB4_128
; %bb.2372:                             ;   in Loop: Header=BB4_129 Depth=2
	s_mov_b32 s29, exec_lo
                                        ; implicit-def: $vgpr10
	v_cmpx_ne_u64_e32 0, v[38:39]
	s_xor_b32 s29, exec_lo, s29
; %bb.2373:                             ;   in Loop: Header=BB4_129 Depth=2
	v_or_b32_e32 v10, 0x7f, v12
                                        ; implicit-def: $vgpr11
; %bb.2374:                             ;   in Loop: Header=BB4_129 Depth=2
	s_and_not1_saveexec_b32 s29, s29
	s_cbranch_execz .LBB4_127
; %bb.2375:                             ;   in Loop: Header=BB4_129 Depth=2
	v_cmp_lt_i32_e32 vcc_lo, -1, v11
	v_cndmask_b32_e32 v10, 0xfc, v122, vcc_lo
	s_branch .LBB4_127
.LBB4_2376:                             ;   in Loop: Header=BB4_49 Depth=1
	s_or_b32 exec_lo, exec_lo, s26
.LBB4_2377:                             ;   in Loop: Header=BB4_49 Depth=1
	s_delay_alu instid0(SALU_CYCLE_1) | instskip(SKIP_4) | instid1(VALU_DEP_2)
	s_or_b32 exec_lo, exec_lo, s11
	v_and_b32_e32 v2, 0x3ffffc00, v123
	v_mov_b32_e32 v30, 0
	s_mov_b32 s10, 0
	s_mov_b32 s25, exec_lo
                                        ; implicit-def: $vgpr71
                                        ; implicit-def: $vgpr0
	v_cmpx_ne_u32_e64 v123, v2
	s_cbranch_execz .LBB4_3447
; %bb.2378:                             ;   in Loop: Header=BB4_49 Depth=1
	v_lshlrev_b32_e32 v0, 5, v81
	v_and_b32_e32 v3, 31, v121
	v_bfe_u32 v13, v123, 9, 1
	v_and_b32_e32 v12, 0x3ff, v123
	s_mov_b32 s26, exec_lo
	s_delay_alu instid0(VALU_DEP_3) | instskip(NEXT) | instid1(VALU_DEP_1)
	v_sub_nc_u32_e32 v0, v3, v0
	v_ashrrev_i32_e32 v3, 31, v0
	s_delay_alu instid0(VALU_DEP_1) | instskip(NEXT) | instid1(VALU_DEP_1)
	v_lshrrev_b32_e32 v3, 27, v3
	v_add_nc_u32_e32 v3, v0, v3
	s_delay_alu instid0(VALU_DEP_1) | instskip(SKIP_2) | instid1(VALU_DEP_3)
	v_and_b32_e32 v10, 0xffffffe0, v3
	v_ashrrev_i32_e32 v11, 5, v3
	v_and_b32_e32 v3, 0x1ff, v123
	v_sub_nc_u32_e32 v0, v0, v10
	s_delay_alu instid0(VALU_DEP_2) | instskip(NEXT) | instid1(VALU_DEP_2)
	v_cmp_lt_u32_e64 s10, 15, v3
	v_lshlrev_b32_e32 v10, 4, v0
	s_delay_alu instid0(VALU_DEP_2) | instskip(NEXT) | instid1(VALU_DEP_2)
	v_add_co_ci_u32_e64 v13, null, 0, v13, s10
	v_lshl_add_u32 v10, v11, 9, v10
	s_delay_alu instid0(VALU_DEP_1) | instskip(NEXT) | instid1(VALU_DEP_1)
	v_dual_sub_nc_u32 v81, v13, v11 :: v_dual_sub_nc_u32 v71, v12, v10
	v_cmpx_lt_i32_e32 15, v71
	s_cbranch_execz .LBB4_3446
; %bb.2379:                             ;   in Loop: Header=BB4_49 Depth=1
	s_trap 2
	ds_load_b64 v[12:13], v0
	v_add_nc_u32_e32 v10, v10, v2
	s_delay_alu instid0(VALU_DEP_1) | instskip(NEXT) | instid1(VALU_DEP_1)
	v_ashrrev_i32_e32 v11, 31, v10
	v_add_nc_u64_e32 v[14:15], v[10:11], v[82:83]
	v_add_nc_u64_e32 v[16:17], v[10:11], v[84:85]
	s_wait_dscnt 0x0
	v_readfirstlane_b32 s28, v12
	v_readfirstlane_b32 s29, v13
	v_add_nc_u64_e32 v[86:87], v[12:13], v[10:11]
	s_and_b32 s27, s28, 3
	s_bfe_i32 s11, s28, 0x80000
	s_clz_i32_u32 s42, s27
	s_bfe_u32 s40, s28, 0x50002
	s_min_u32 s42, s42, 32
	s_and_b32 s41, s28, 0x7c
	s_sub_co_i32 s45, s42, 29
	s_lshl_b32 s43, s28, 24
	s_sext_i32_i8 s44, s28
	s_lshl_b64 s[28:29], s[28:29], s45
	s_and_b32 s43, s43, 0x80000000
	s_sub_co_i32 s29, 30, s42
	s_and_b32 s28, s28, 3
	s_cmp_gt_i32 s44, -1
	s_cselect_b32 s42, s22, 0xff800000
	s_cmp_eq_u32 s27, 0
	s_cselect_b32 s42, s42, 0x7f800001
	s_cmp_eq_u32 s40, 0
	s_cselect_b32 s29, s29, s40
	s_cselect_b32 s27, s28, s27
	s_lshl_b32 s28, s29, 23
	s_lshl_b32 s27, s27, 21
	s_add_co_i32 s28, s28, s43
	s_delay_alu instid0(SALU_CYCLE_1) | instskip(NEXT) | instid1(SALU_CYCLE_1)
	s_or_b32 s27, s28, s27
	s_add_co_i32 s28, s27, 0x38000000
	s_cmp_eq_u32 s41, 0x7c
	s_mov_b32 s27, 0
	s_cselect_b32 s28, s42, s28
	s_and_b32 s29, s11, 0xff
	s_branch .LBB4_2382
.LBB4_2380:                             ;   in Loop: Header=BB4_2382 Depth=2
	s_or_b32 exec_lo, exec_lo, s40
.LBB4_2381:                             ;   in Loop: Header=BB4_2382 Depth=2
	s_delay_alu instid0(SALU_CYCLE_1)
	s_or_b32 exec_lo, exec_lo, s11
	v_lshl_or_b32 v11, v101, 8, v100
	v_dual_lshlrev_b32 v12, 16, v41 :: v_dual_lshlrev_b32 v13, 24, v30
	v_lshl_or_b32 v20, v112, 8, v102
	v_dual_lshlrev_b32 v21, 16, v115 :: v_dual_lshlrev_b32 v24, 24, v118
	;; [unrolled: 2-line block ×3, first 2 shown]
	v_dual_lshlrev_b32 v38, 24, v10 :: v_dual_lshlrev_b32 v96, 16, v96
	v_lshl_or_b32 v2, v2, 8, v98
	v_or3_b32 v11, v11, v12, v13
	v_or3_b32 v10, v20, v21, v24
	;; [unrolled: 1-line block ×3, first 2 shown]
	v_dual_sub_nc_u32 v71, v71, v54 :: v_dual_sub_nc_u32 v81, v81, v48
	v_or3_b32 v13, v2, v96, v38
	v_add_nc_u64_e32 v[14:15], v[14:15], v[54:55]
	v_add_nc_u64_e32 v[86:87], v[86:87], v[54:55]
	s_delay_alu instid0(VALU_DEP_4) | instskip(SKIP_4) | instid1(SALU_CYCLE_1)
	v_cmp_gt_i32_e32 vcc_lo, 16, v71
	global_store_b128 v[16:17], v[10:13], off th:TH_STORE_NT
	s_wait_xcnt 0x0
	v_add_nc_u64_e32 v[16:17], v[16:17], v[54:55]
	s_or_b32 s27, vcc_lo, s27
	s_and_not1_b32 exec_lo, exec_lo, s27
	s_cbranch_execz .LBB4_3445
.LBB4_2382:                             ;   Parent Loop BB4_49 Depth=1
                                        ; =>  This Inner Loop Header: Depth=2
	s_cmp_lt_i32 s29, 0x80
	s_cbranch_scc1 .LBB4_2386
; %bb.2383:                             ;   in Loop: Header=BB4_2382 Depth=2
	s_and_b32 s11, 0xffff, s29
	s_delay_alu instid0(SALU_CYCLE_1)
	s_cmp_eq_u32 s11, 0x80
	s_mov_b32 s11, -1
	s_cbranch_scc0 .LBB4_2385
; %bb.2384:                             ;   in Loop: Header=BB4_2382 Depth=2
	s_mov_b32 s11, 0
.LBB4_2385:                             ;   in Loop: Header=BB4_2382 Depth=2
	s_brev_b32 s40, 1
	s_branch .LBB4_2388
.LBB4_2386:                             ;   in Loop: Header=BB4_2382 Depth=2
	s_mov_b32 s11, 0
	s_brev_b32 s40, 1
	s_cbranch_execz .LBB4_2388
; %bb.2387:                             ;   in Loop: Header=BB4_2382 Depth=2
	s_and_b32 s11, 0xffff, s29
	s_mov_b32 s40, 0
	s_cmp_lg_u32 s11, 0
	s_cselect_b32 s11, -1, 0
.LBB4_2388:                             ;   in Loop: Header=BB4_2382 Depth=2
	s_delay_alu instid0(SALU_CYCLE_1)
	s_and_not1_b32 vcc_lo, exec_lo, s11
	s_cbranch_vccnz .LBB4_2390
; %bb.2389:                             ;   in Loop: Header=BB4_2382 Depth=2
	s_mov_b32 s40, s28
.LBB4_2390:                             ;   in Loop: Header=BB4_2382 Depth=2
	global_load_b128 v[10:13], v[14:15], off th:TH_LOAD_NT
	s_wait_loadcnt 0x0
	v_and_b32_e32 v2, 0xff, v10
	s_delay_alu instid0(VALU_DEP_1)
	v_cmp_ne_u16_e32 vcc_lo, 0, v2
	v_mov_b32_e32 v2, 0
	s_wait_xcnt 0x0
	s_and_saveexec_b32 s11, vcc_lo
	s_cbranch_execz .LBB4_2400
; %bb.2391:                             ;   in Loop: Header=BB4_2382 Depth=2
	v_bfe_i32 v21, v10, 0, 8
	v_bfrev_b32_e32 v2, 1
	s_mov_b32 s41, exec_lo
	s_delay_alu instid0(VALU_DEP_2)
	v_cmpx_ne_u16_e32 0xff80, v21
	s_cbranch_execz .LBB4_2399
; %bb.2392:                             ;   in Loop: Header=BB4_2382 Depth=2
	v_and_b32_e32 v2, 0x7c, v10
	v_and_b32_e32 v20, 3, v10
	s_delay_alu instid0(VALU_DEP_2) | instskip(SKIP_1) | instid1(SALU_CYCLE_1)
	v_cmp_ne_u32_e32 vcc_lo, 0x7c, v2
                                        ; implicit-def: $vgpr2
	s_and_saveexec_b32 s42, vcc_lo
	s_xor_b32 s42, exec_lo, s42
	s_cbranch_execz .LBB4_2396
; %bb.2393:                             ;   in Loop: Header=BB4_2382 Depth=2
	v_bfe_u32 v2, v10, 2, 5
	s_mov_b32 s43, exec_lo
	s_delay_alu instid0(VALU_DEP_1)
	v_cmpx_eq_u32_e32 0, v2
; %bb.2394:                             ;   in Loop: Header=BB4_2382 Depth=2
	v_clz_i32_u32_e32 v2, v20
	s_delay_alu instid0(VALU_DEP_1) | instskip(NEXT) | instid1(VALU_DEP_1)
	v_min_u32_e32 v2, 32, v2
	v_subrev_nc_u32_e32 v20, 29, v2
	s_delay_alu instid0(VALU_DEP_1) | instskip(NEXT) | instid1(VALU_DEP_1)
	v_lshlrev_b64_e32 v[20:21], v20, v[10:11]
	v_dual_sub_nc_u32 v2, 30, v2 :: v_dual_bitop2_b32 v20, 3, v20 bitop3:0x40
; %bb.2395:                             ;   in Loop: Header=BB4_2382 Depth=2
	s_or_b32 exec_lo, exec_lo, s43
	v_lshlrev_b32_e32 v21, 24, v10
	s_delay_alu instid0(VALU_DEP_1) | instskip(NEXT) | instid1(VALU_DEP_1)
	v_and_b32_e32 v21, 0x80000000, v21
	v_lshl_add_u32 v2, v2, 23, v21
                                        ; implicit-def: $vgpr21
	s_delay_alu instid0(VALU_DEP_1) | instskip(NEXT) | instid1(VALU_DEP_1)
	v_lshl_or_b32 v2, v20, 21, v2
                                        ; implicit-def: $vgpr20
	v_add_nc_u32_e32 v2, 0x38000000, v2
.LBB4_2396:                             ;   in Loop: Header=BB4_2382 Depth=2
	s_and_not1_saveexec_b32 s42, s42
; %bb.2397:                             ;   in Loop: Header=BB4_2382 Depth=2
	v_cmp_lt_i16_e32 vcc_lo, -1, v21
	v_cndmask_b32_e32 v2, 0xff800000, v126, vcc_lo
	v_cmp_eq_u32_e32 vcc_lo, 0, v20
	s_delay_alu instid0(VALU_DEP_2)
	v_cndmask_b32_e32 v2, 0x7f800001, v2, vcc_lo
; %bb.2398:                             ;   in Loop: Header=BB4_2382 Depth=2
	s_or_b32 exec_lo, exec_lo, s42
.LBB4_2399:                             ;   in Loop: Header=BB4_2382 Depth=2
	s_delay_alu instid0(SALU_CYCLE_1)
	s_or_b32 exec_lo, exec_lo, s41
.LBB4_2400:                             ;   in Loop: Header=BB4_2382 Depth=2
	s_delay_alu instid0(SALU_CYCLE_1) | instskip(NEXT) | instid1(VALU_DEP_1)
	s_or_b32 exec_lo, exec_lo, s11
	v_dual_mul_f32 v30, s40, v2 :: v_dual_mov_b32 v21, v39
                                        ; implicit-def: $vgpr101
	s_mov_b32 s11, exec_lo
	s_delay_alu instid0(VALU_DEP_1) | instskip(SKIP_2) | instid1(VALU_DEP_3)
	v_and_b32_e32 v20, 0x7f800000, v30
	v_and_b32_e32 v38, 0x7fffff, v30
	v_lshrrev_b32_e32 v2, 24, v30
	v_cmpx_ne_u64_e32 0x7f800000, v[20:21]
	s_xor_b32 s41, exec_lo, s11
	s_cbranch_execz .LBB4_2414
; %bb.2401:                             ;   in Loop: Header=BB4_2382 Depth=2
	v_and_b32_e32 v20, 0x7fffffff, v30
	v_mov_b32_e32 v21, v39
	v_and_b32_e32 v2, 0x80, v2
                                        ; implicit-def: $vgpr101
	s_mov_b32 s11, exec_lo
	s_delay_alu instid0(VALU_DEP_2)
	v_cmpx_gt_u64_e32 0x47600001, v[20:21]
	s_xor_b32 s42, exec_lo, s11
	s_cbranch_execz .LBB4_2411
; %bb.2402:                             ;   in Loop: Header=BB4_2382 Depth=2
	v_mov_b32_e32 v101, 0
	s_mov_b32 s43, exec_lo
	v_cmpx_ne_u32_e32 0, v30
	s_cbranch_execz .LBB4_2410
; %bb.2403:                             ;   in Loop: Header=BB4_2382 Depth=2
	v_bfe_u32 v20, v30, 23, 8
	v_or_b32_e32 v30, 0x800000, v38
	v_mov_b32_e32 v31, v39
	s_delay_alu instid0(VALU_DEP_3) | instskip(SKIP_1) | instid1(VALU_DEP_2)
	v_sub_nc_u32_e32 v21, 0x71, v20
	v_cmp_gt_u32_e32 vcc_lo, 0x72, v20
	v_cndmask_b32_e32 v21, 0, v21, vcc_lo
	v_cmp_eq_u32_e32 vcc_lo, 0, v20
	s_delay_alu instid0(VALU_DEP_2) | instskip(NEXT) | instid1(VALU_DEP_1)
	v_cndmask_b32_e64 v21, v21, 0x70, vcc_lo
	v_dual_cndmask_b32 v30, v30, v38, vcc_lo :: v_dual_add_nc_u32 v24, 21, v21
	v_add_nc_u32_e32 v96, 20, v21
	s_delay_alu instid0(VALU_DEP_2) | instskip(NEXT) | instid1(VALU_DEP_2)
	v_lshlrev_b64_e64 v[24:25], v24, -1
	v_lshlrev_b64_e64 v[98:99], v96, 1
	s_delay_alu instid0(VALU_DEP_4) | instskip(NEXT) | instid1(VALU_DEP_3)
	v_lshrrev_b64 v[96:97], v21, v[30:31]
	v_bfi_b32 v25, v25, 0, 0
	s_delay_alu instid0(VALU_DEP_4) | instskip(NEXT) | instid1(VALU_DEP_1)
	v_bfi_b32 v24, v24, 0, v30
	v_cmp_eq_u64_e64 s11, v[24:25], v[98:99]
	s_delay_alu instid0(VALU_DEP_4)
	v_mov_b64_e32 v[98:99], v[96:97]
	s_and_saveexec_b32 s44, s11
; %bb.2404:                             ;   in Loop: Header=BB4_2382 Depth=2
	v_bfe_u32 v24, v96, 21, 1
	v_mov_b32_e32 v25, v39
	s_delay_alu instid0(VALU_DEP_1) | instskip(NEXT) | instid1(VALU_DEP_1)
	v_add_nc_u64_e32 v[24:25], v[96:97], v[24:25]
	v_add_nc_u64_e32 v[98:99], -1, v[24:25]
; %bb.2405:                             ;   in Loop: Header=BB4_2382 Depth=2
	s_or_b32 exec_lo, exec_lo, s44
	v_add_nc_u32_e32 v20, 0xffffff81, v20
	v_lshrrev_b32_e32 v24, 23, v96
	s_mov_b32 s11, exec_lo
	s_delay_alu instid0(VALU_DEP_2) | instskip(NEXT) | instid1(VALU_DEP_1)
	v_cndmask_b32_e64 v20, v20, 0xffffff82, vcc_lo
	v_add3_u32 v21, v21, v20, v24
	v_and_b32_e32 v20, 0x1fffff, v98
	s_delay_alu instid0(VALU_DEP_1) | instskip(NEXT) | instid1(VALU_DEP_1)
	v_dual_add_nc_u32 v30, 14, v21 :: v_dual_add_nc_u32 v38, v20, v96
                                        ; implicit-def: $vgpr96_vgpr97
                                        ; implicit-def: $vgpr20
	v_cmpx_ne_u32_e32 0, v30
	s_xor_b32 s11, exec_lo, s11
; %bb.2406:                             ;   in Loop: Header=BB4_2382 Depth=2
	s_delay_alu instid0(VALU_DEP_2) | instskip(SKIP_2) | instid1(VALU_DEP_2)
	v_cmp_lt_u64_e32 vcc_lo, 0xffffff, v[38:39]
	v_add_nc_u32_e32 v20, 15, v21
	v_cndmask_b32_e64 v21, 0, 1, vcc_lo
	v_cndmask_b32_e32 v20, v30, v20, vcc_lo
	s_delay_alu instid0(VALU_DEP_2)
	v_lshrrev_b64 v[96:97], v21, v[38:39]
; %bb.2407:                             ;   in Loop: Header=BB4_2382 Depth=2
	s_and_not1_saveexec_b32 s11, s11
; %bb.2408:                             ;   in Loop: Header=BB4_2382 Depth=2
	v_mov_b64_e32 v[96:97], v[38:39]
	v_bfe_u32 v20, v38, 23, 1
; %bb.2409:                             ;   in Loop: Header=BB4_2382 Depth=2
	s_or_b32 exec_lo, exec_lo, s11
	s_delay_alu instid0(VALU_DEP_2) | instskip(NEXT) | instid1(VALU_DEP_2)
	v_lshrrev_b64 v[24:25], 21, v[96:97]
	v_cmp_gt_i32_e32 vcc_lo, 32, v20
	v_min_i32_e32 v21, 31, v20
	v_cmp_eq_u32_e64 s11, 0, v20
	s_delay_alu instid0(VALU_DEP_4) | instskip(NEXT) | instid1(VALU_DEP_3)
	v_cndmask_b32_e32 v25, 0, v25, vcc_lo
	v_dual_cndmask_b32 v24, 3, v24 :: v_dual_lshlrev_b32 v21, 2, v21
	s_delay_alu instid0(VALU_DEP_1) | instskip(NEXT) | instid1(VALU_DEP_2)
	v_and_b32_e32 v21, 0xfc, v21
	v_cmp_eq_u64_e32 vcc_lo, 0, v[24:25]
	s_delay_alu instid0(VALU_DEP_2)
	v_and_or_b32 v20, v24, 3, v21
	s_and_b32 s11, s11, vcc_lo
	s_delay_alu instid0(VALU_DEP_1) | instid1(SALU_CYCLE_1)
	v_cndmask_b32_e64 v20, v20, 0, s11
	s_delay_alu instid0(VALU_DEP_1)
	v_or_b32_e32 v101, v20, v2
.LBB4_2410:                             ;   in Loop: Header=BB4_2382 Depth=2
	s_or_b32 exec_lo, exec_lo, s43
                                        ; implicit-def: $vgpr2
.LBB4_2411:                             ;   in Loop: Header=BB4_2382 Depth=2
	s_and_not1_saveexec_b32 s11, s42
; %bb.2412:                             ;   in Loop: Header=BB4_2382 Depth=2
	v_or_b32_e32 v101, 0x7b, v2
; %bb.2413:                             ;   in Loop: Header=BB4_2382 Depth=2
	s_or_b32 exec_lo, exec_lo, s11
                                        ; implicit-def: $vgpr30
                                        ; implicit-def: $vgpr2
.LBB4_2414:                             ;   in Loop: Header=BB4_2382 Depth=2
	s_and_not1_saveexec_b32 s11, s41
	s_cbranch_execz .LBB4_2420
; %bb.2415:                             ;   in Loop: Header=BB4_2382 Depth=2
	s_mov_b32 s41, exec_lo
                                        ; implicit-def: $vgpr101
	v_cmpx_ne_u64_e32 0, v[38:39]
	s_xor_b32 s41, exec_lo, s41
; %bb.2416:                             ;   in Loop: Header=BB4_2382 Depth=2
	v_or_b32_e32 v101, 0x7f, v2
                                        ; implicit-def: $vgpr30
; %bb.2417:                             ;   in Loop: Header=BB4_2382 Depth=2
	s_and_not1_saveexec_b32 s41, s41
; %bb.2418:                             ;   in Loop: Header=BB4_2382 Depth=2
	v_cmp_lt_i32_e32 vcc_lo, -1, v30
	v_cndmask_b32_e32 v101, 0xfc, v122, vcc_lo
; %bb.2419:                             ;   in Loop: Header=BB4_2382 Depth=2
	s_or_b32 exec_lo, exec_lo, s41
.LBB4_2420:                             ;   in Loop: Header=BB4_2382 Depth=2
	s_delay_alu instid0(SALU_CYCLE_1) | instskip(SKIP_3) | instid1(VALU_DEP_2)
	s_or_b32 exec_lo, exec_lo, s11
	v_lshrrev_b16 v96, 8, v10
	v_mov_b32_e32 v20, 0
	s_mov_b32 s11, exec_lo
	v_cmpx_ne_u16_e32 0, v96
	s_cbranch_execz .LBB4_2430
; %bb.2421:                             ;   in Loop: Header=BB4_2382 Depth=2
	v_bfrev_b32_e32 v20, 1
	s_mov_b32 s41, exec_lo
	v_cmpx_ne_u16_e32 0x80, v96
	s_cbranch_execz .LBB4_2429
; %bb.2422:                             ;   in Loop: Header=BB4_2382 Depth=2
	v_and_b32_e32 v21, 0xffff, v96
	s_delay_alu instid0(VALU_DEP_1) | instskip(SKIP_1) | instid1(VALU_DEP_2)
	v_and_b32_e32 v20, 0x7c, v21
	v_and_b32_e32 v2, 3, v21
	v_cmp_ne_u32_e32 vcc_lo, 0x7c, v20
                                        ; implicit-def: $vgpr20
	s_and_saveexec_b32 s42, vcc_lo
	s_delay_alu instid0(SALU_CYCLE_1)
	s_xor_b32 s42, exec_lo, s42
	s_cbranch_execz .LBB4_2426
; %bb.2423:                             ;   in Loop: Header=BB4_2382 Depth=2
	v_bfe_u32 v20, v21, 2, 5
	s_mov_b32 s43, exec_lo
	s_delay_alu instid0(VALU_DEP_1)
	v_cmpx_eq_u32_e32 0, v20
; %bb.2424:                             ;   in Loop: Header=BB4_2382 Depth=2
	v_clz_i32_u32_e32 v2, v2
	s_delay_alu instid0(VALU_DEP_1) | instskip(SKIP_1) | instid1(VALU_DEP_2)
	v_min_u32_e32 v2, 32, v2
	v_mov_b32_e32 v97, v39
	v_subrev_nc_u32_e32 v20, 29, v2
	s_delay_alu instid0(VALU_DEP_1) | instskip(NEXT) | instid1(VALU_DEP_1)
	v_lshlrev_b64_e32 v[24:25], v20, v[96:97]
	v_dual_sub_nc_u32 v20, 30, v2 :: v_dual_bitop2_b32 v2, 3, v24 bitop3:0x40
; %bb.2425:                             ;   in Loop: Header=BB4_2382 Depth=2
	s_or_b32 exec_lo, exec_lo, s43
	v_lshlrev_b32_e32 v21, 16, v10
	s_delay_alu instid0(VALU_DEP_1) | instskip(NEXT) | instid1(VALU_DEP_1)
	v_and_b32_e32 v21, 0x80000000, v21
	v_lshl_add_u32 v20, v20, 23, v21
	s_delay_alu instid0(VALU_DEP_1) | instskip(NEXT) | instid1(VALU_DEP_1)
	v_lshl_or_b32 v2, v2, 21, v20
	v_add_nc_u32_e32 v20, 0x38000000, v2
                                        ; implicit-def: $vgpr2
.LBB4_2426:                             ;   in Loop: Header=BB4_2382 Depth=2
	s_and_not1_saveexec_b32 s42, s42
; %bb.2427:                             ;   in Loop: Header=BB4_2382 Depth=2
	v_cmp_lt_i16_e32 vcc_lo, -1, v10
	v_cndmask_b32_e32 v20, 0xff800000, v126, vcc_lo
	v_cmp_eq_u32_e32 vcc_lo, 0, v2
	s_delay_alu instid0(VALU_DEP_2)
	v_cndmask_b32_e32 v20, 0x7f800001, v20, vcc_lo
; %bb.2428:                             ;   in Loop: Header=BB4_2382 Depth=2
	s_or_b32 exec_lo, exec_lo, s42
.LBB4_2429:                             ;   in Loop: Header=BB4_2382 Depth=2
	s_delay_alu instid0(SALU_CYCLE_1)
	s_or_b32 exec_lo, exec_lo, s41
.LBB4_2430:                             ;   in Loop: Header=BB4_2382 Depth=2
	s_delay_alu instid0(SALU_CYCLE_1) | instskip(NEXT) | instid1(VALU_DEP_1)
	s_or_b32 exec_lo, exec_lo, s11
	v_dual_mul_f32 v30, s40, v20 :: v_dual_mov_b32 v21, v39
                                        ; implicit-def: $vgpr102
	s_mov_b32 s11, exec_lo
	s_delay_alu instid0(VALU_DEP_1) | instskip(SKIP_2) | instid1(VALU_DEP_3)
	v_and_b32_e32 v20, 0x7f800000, v30
	v_and_b32_e32 v38, 0x7fffff, v30
	v_lshrrev_b32_e32 v2, 24, v30
	v_cmpx_ne_u64_e32 0x7f800000, v[20:21]
	s_xor_b32 s41, exec_lo, s11
	s_cbranch_execz .LBB4_2444
; %bb.2431:                             ;   in Loop: Header=BB4_2382 Depth=2
	v_and_b32_e32 v20, 0x7fffffff, v30
	v_mov_b32_e32 v21, v39
	v_and_b32_e32 v2, 0x80, v2
                                        ; implicit-def: $vgpr102
	s_mov_b32 s11, exec_lo
	s_delay_alu instid0(VALU_DEP_2)
	v_cmpx_gt_u64_e32 0x47600001, v[20:21]
	s_xor_b32 s42, exec_lo, s11
	s_cbranch_execz .LBB4_2441
; %bb.2432:                             ;   in Loop: Header=BB4_2382 Depth=2
	v_mov_b32_e32 v102, 0
	s_mov_b32 s43, exec_lo
	v_cmpx_ne_u32_e32 0, v30
	s_cbranch_execz .LBB4_2440
; %bb.2433:                             ;   in Loop: Header=BB4_2382 Depth=2
	v_bfe_u32 v20, v30, 23, 8
	v_or_b32_e32 v30, 0x800000, v38
	v_mov_b32_e32 v31, v39
	s_delay_alu instid0(VALU_DEP_3) | instskip(SKIP_1) | instid1(VALU_DEP_2)
	v_sub_nc_u32_e32 v21, 0x71, v20
	v_cmp_gt_u32_e32 vcc_lo, 0x72, v20
	v_cndmask_b32_e32 v21, 0, v21, vcc_lo
	v_cmp_eq_u32_e32 vcc_lo, 0, v20
	s_delay_alu instid0(VALU_DEP_2) | instskip(NEXT) | instid1(VALU_DEP_1)
	v_cndmask_b32_e64 v21, v21, 0x70, vcc_lo
	v_dual_cndmask_b32 v30, v30, v38, vcc_lo :: v_dual_add_nc_u32 v24, 21, v21
	v_add_nc_u32_e32 v96, 20, v21
	s_delay_alu instid0(VALU_DEP_2) | instskip(NEXT) | instid1(VALU_DEP_2)
	v_lshlrev_b64_e64 v[24:25], v24, -1
	v_lshlrev_b64_e64 v[98:99], v96, 1
	s_delay_alu instid0(VALU_DEP_4) | instskip(NEXT) | instid1(VALU_DEP_3)
	v_lshrrev_b64 v[96:97], v21, v[30:31]
	v_bfi_b32 v25, v25, 0, 0
	s_delay_alu instid0(VALU_DEP_4) | instskip(NEXT) | instid1(VALU_DEP_1)
	v_bfi_b32 v24, v24, 0, v30
	v_cmp_eq_u64_e64 s11, v[24:25], v[98:99]
	s_delay_alu instid0(VALU_DEP_4)
	v_mov_b64_e32 v[98:99], v[96:97]
	s_and_saveexec_b32 s44, s11
; %bb.2434:                             ;   in Loop: Header=BB4_2382 Depth=2
	v_bfe_u32 v24, v96, 21, 1
	v_mov_b32_e32 v25, v39
	s_delay_alu instid0(VALU_DEP_1) | instskip(NEXT) | instid1(VALU_DEP_1)
	v_add_nc_u64_e32 v[24:25], v[96:97], v[24:25]
	v_add_nc_u64_e32 v[98:99], -1, v[24:25]
; %bb.2435:                             ;   in Loop: Header=BB4_2382 Depth=2
	s_or_b32 exec_lo, exec_lo, s44
	v_add_nc_u32_e32 v20, 0xffffff81, v20
	v_lshrrev_b32_e32 v24, 23, v96
	s_mov_b32 s11, exec_lo
	s_delay_alu instid0(VALU_DEP_2) | instskip(NEXT) | instid1(VALU_DEP_1)
	v_cndmask_b32_e64 v20, v20, 0xffffff82, vcc_lo
	v_add3_u32 v21, v21, v20, v24
	v_and_b32_e32 v20, 0x1fffff, v98
	s_delay_alu instid0(VALU_DEP_1) | instskip(NEXT) | instid1(VALU_DEP_1)
	v_dual_add_nc_u32 v30, 14, v21 :: v_dual_add_nc_u32 v38, v20, v96
                                        ; implicit-def: $vgpr96_vgpr97
                                        ; implicit-def: $vgpr20
	v_cmpx_ne_u32_e32 0, v30
	s_xor_b32 s11, exec_lo, s11
; %bb.2436:                             ;   in Loop: Header=BB4_2382 Depth=2
	s_delay_alu instid0(VALU_DEP_2) | instskip(SKIP_2) | instid1(VALU_DEP_2)
	v_cmp_lt_u64_e32 vcc_lo, 0xffffff, v[38:39]
	v_add_nc_u32_e32 v20, 15, v21
	v_cndmask_b32_e64 v21, 0, 1, vcc_lo
	v_cndmask_b32_e32 v20, v30, v20, vcc_lo
	s_delay_alu instid0(VALU_DEP_2)
	v_lshrrev_b64 v[96:97], v21, v[38:39]
; %bb.2437:                             ;   in Loop: Header=BB4_2382 Depth=2
	s_and_not1_saveexec_b32 s11, s11
; %bb.2438:                             ;   in Loop: Header=BB4_2382 Depth=2
	v_mov_b64_e32 v[96:97], v[38:39]
	v_bfe_u32 v20, v38, 23, 1
; %bb.2439:                             ;   in Loop: Header=BB4_2382 Depth=2
	s_or_b32 exec_lo, exec_lo, s11
	s_delay_alu instid0(VALU_DEP_2) | instskip(NEXT) | instid1(VALU_DEP_2)
	v_lshrrev_b64 v[24:25], 21, v[96:97]
	v_cmp_gt_i32_e32 vcc_lo, 32, v20
	v_min_i32_e32 v21, 31, v20
	v_cmp_eq_u32_e64 s11, 0, v20
	s_delay_alu instid0(VALU_DEP_4) | instskip(NEXT) | instid1(VALU_DEP_3)
	v_cndmask_b32_e32 v25, 0, v25, vcc_lo
	v_dual_cndmask_b32 v24, 3, v24 :: v_dual_lshlrev_b32 v21, 2, v21
	s_delay_alu instid0(VALU_DEP_1) | instskip(NEXT) | instid1(VALU_DEP_2)
	v_and_b32_e32 v21, 0xfc, v21
	v_cmp_eq_u64_e32 vcc_lo, 0, v[24:25]
	s_delay_alu instid0(VALU_DEP_2)
	v_and_or_b32 v20, v24, 3, v21
	s_and_b32 s11, s11, vcc_lo
	s_delay_alu instid0(VALU_DEP_1) | instid1(SALU_CYCLE_1)
	v_cndmask_b32_e64 v20, v20, 0, s11
	s_delay_alu instid0(VALU_DEP_1)
	v_or_b32_e32 v102, v20, v2
.LBB4_2440:                             ;   in Loop: Header=BB4_2382 Depth=2
	s_or_b32 exec_lo, exec_lo, s43
                                        ; implicit-def: $vgpr2
.LBB4_2441:                             ;   in Loop: Header=BB4_2382 Depth=2
	s_and_not1_saveexec_b32 s11, s42
; %bb.2442:                             ;   in Loop: Header=BB4_2382 Depth=2
	v_or_b32_e32 v102, 0x7b, v2
; %bb.2443:                             ;   in Loop: Header=BB4_2382 Depth=2
	s_or_b32 exec_lo, exec_lo, s11
                                        ; implicit-def: $vgpr30
                                        ; implicit-def: $vgpr2
.LBB4_2444:                             ;   in Loop: Header=BB4_2382 Depth=2
	s_and_not1_saveexec_b32 s11, s41
	s_cbranch_execz .LBB4_2450
; %bb.2445:                             ;   in Loop: Header=BB4_2382 Depth=2
	s_mov_b32 s41, exec_lo
                                        ; implicit-def: $vgpr102
	v_cmpx_ne_u64_e32 0, v[38:39]
	s_xor_b32 s41, exec_lo, s41
; %bb.2446:                             ;   in Loop: Header=BB4_2382 Depth=2
	v_or_b32_e32 v102, 0x7f, v2
                                        ; implicit-def: $vgpr30
; %bb.2447:                             ;   in Loop: Header=BB4_2382 Depth=2
	s_and_not1_saveexec_b32 s41, s41
; %bb.2448:                             ;   in Loop: Header=BB4_2382 Depth=2
	v_cmp_lt_i32_e32 vcc_lo, -1, v30
	v_cndmask_b32_e32 v102, 0xfc, v122, vcc_lo
; %bb.2449:                             ;   in Loop: Header=BB4_2382 Depth=2
	s_or_b32 exec_lo, exec_lo, s41
.LBB4_2450:                             ;   in Loop: Header=BB4_2382 Depth=2
	s_delay_alu instid0(SALU_CYCLE_1) | instskip(SKIP_2) | instid1(VALU_DEP_1)
	s_or_b32 exec_lo, exec_lo, s11
	v_dual_lshrrev_b32 v30, 16, v10 :: v_dual_mov_b32 v2, 0
	s_mov_b32 s11, exec_lo
	v_and_b32_e32 v20, 0xff, v30
	s_delay_alu instid0(VALU_DEP_1)
	v_cmpx_ne_u16_e32 0, v20
	s_cbranch_execz .LBB4_2460
; %bb.2451:                             ;   in Loop: Header=BB4_2382 Depth=2
	v_bfrev_b32_e32 v2, 1
	s_mov_b32 s41, exec_lo
	v_cmpx_ne_u16_e32 0x80, v20
	s_cbranch_execz .LBB4_2459
; %bb.2452:                             ;   in Loop: Header=BB4_2382 Depth=2
	v_and_b32_e32 v2, 0x7c0000, v10
	v_bfe_u32 v20, v10, 16, 2
	s_delay_alu instid0(VALU_DEP_2) | instskip(SKIP_1) | instid1(SALU_CYCLE_1)
	v_cmp_ne_u32_e32 vcc_lo, 0x7c0000, v2
                                        ; implicit-def: $vgpr2
	s_and_saveexec_b32 s42, vcc_lo
	s_xor_b32 s42, exec_lo, s42
	s_cbranch_execz .LBB4_2456
; %bb.2453:                             ;   in Loop: Header=BB4_2382 Depth=2
	v_bfe_u32 v2, v10, 18, 5
	s_mov_b32 s43, exec_lo
	s_delay_alu instid0(VALU_DEP_1)
	v_cmpx_eq_u32_e32 0, v2
; %bb.2454:                             ;   in Loop: Header=BB4_2382 Depth=2
	v_clz_i32_u32_e32 v2, v20
	s_delay_alu instid0(VALU_DEP_1) | instskip(NEXT) | instid1(VALU_DEP_1)
	v_min_u32_e32 v2, 32, v2
	v_subrev_nc_u32_e32 v20, 29, v2
	s_delay_alu instid0(VALU_DEP_1) | instskip(NEXT) | instid1(VALU_DEP_1)
	v_lshlrev_b64_e32 v[20:21], v20, v[30:31]
	v_dual_sub_nc_u32 v2, 30, v2 :: v_dual_bitop2_b32 v20, 3, v20 bitop3:0x40
; %bb.2455:                             ;   in Loop: Header=BB4_2382 Depth=2
	s_or_b32 exec_lo, exec_lo, s43
	v_lshlrev_b32_e32 v21, 24, v30
                                        ; implicit-def: $vgpr30
	s_delay_alu instid0(VALU_DEP_1) | instskip(NEXT) | instid1(VALU_DEP_1)
	v_and_b32_e32 v21, 0x80000000, v21
	v_lshl_add_u32 v2, v2, 23, v21
	s_delay_alu instid0(VALU_DEP_1) | instskip(NEXT) | instid1(VALU_DEP_1)
	v_lshl_or_b32 v2, v20, 21, v2
                                        ; implicit-def: $vgpr20
	v_add_nc_u32_e32 v2, 0x38000000, v2
.LBB4_2456:                             ;   in Loop: Header=BB4_2382 Depth=2
	s_and_not1_saveexec_b32 s42, s42
; %bb.2457:                             ;   in Loop: Header=BB4_2382 Depth=2
	v_bfe_i32 v2, v30, 0, 8
	s_delay_alu instid0(VALU_DEP_1) | instskip(SKIP_2) | instid1(VALU_DEP_2)
	v_cmp_lt_i16_e32 vcc_lo, -1, v2
	v_cndmask_b32_e32 v2, 0xff800000, v126, vcc_lo
	v_cmp_eq_u32_e32 vcc_lo, 0, v20
	v_cndmask_b32_e32 v2, 0x7f800001, v2, vcc_lo
; %bb.2458:                             ;   in Loop: Header=BB4_2382 Depth=2
	s_or_b32 exec_lo, exec_lo, s42
.LBB4_2459:                             ;   in Loop: Header=BB4_2382 Depth=2
	s_delay_alu instid0(SALU_CYCLE_1)
	s_or_b32 exec_lo, exec_lo, s41
.LBB4_2460:                             ;   in Loop: Header=BB4_2382 Depth=2
	s_delay_alu instid0(SALU_CYCLE_1) | instskip(NEXT) | instid1(VALU_DEP_1)
	s_or_b32 exec_lo, exec_lo, s11
	v_dual_mul_f32 v30, s40, v2 :: v_dual_mov_b32 v21, v39
                                        ; implicit-def: $vgpr112
	s_mov_b32 s11, exec_lo
	s_delay_alu instid0(VALU_DEP_1) | instskip(SKIP_2) | instid1(VALU_DEP_3)
	v_and_b32_e32 v20, 0x7f800000, v30
	v_and_b32_e32 v38, 0x7fffff, v30
	v_lshrrev_b32_e32 v2, 24, v30
	v_cmpx_ne_u64_e32 0x7f800000, v[20:21]
	s_xor_b32 s41, exec_lo, s11
	s_cbranch_execz .LBB4_2474
; %bb.2461:                             ;   in Loop: Header=BB4_2382 Depth=2
	v_and_b32_e32 v20, 0x7fffffff, v30
	v_mov_b32_e32 v21, v39
	v_and_b32_e32 v2, 0x80, v2
                                        ; implicit-def: $vgpr112
	s_mov_b32 s11, exec_lo
	s_delay_alu instid0(VALU_DEP_2)
	v_cmpx_gt_u64_e32 0x47600001, v[20:21]
	s_xor_b32 s42, exec_lo, s11
	s_cbranch_execz .LBB4_2471
; %bb.2462:                             ;   in Loop: Header=BB4_2382 Depth=2
	v_mov_b32_e32 v112, 0
	s_mov_b32 s43, exec_lo
	v_cmpx_ne_u32_e32 0, v30
	s_cbranch_execz .LBB4_2470
; %bb.2463:                             ;   in Loop: Header=BB4_2382 Depth=2
	v_bfe_u32 v20, v30, 23, 8
	v_or_b32_e32 v30, 0x800000, v38
	v_mov_b32_e32 v31, v39
	s_delay_alu instid0(VALU_DEP_3) | instskip(SKIP_1) | instid1(VALU_DEP_2)
	v_sub_nc_u32_e32 v21, 0x71, v20
	v_cmp_gt_u32_e32 vcc_lo, 0x72, v20
	v_cndmask_b32_e32 v21, 0, v21, vcc_lo
	v_cmp_eq_u32_e32 vcc_lo, 0, v20
	s_delay_alu instid0(VALU_DEP_2) | instskip(NEXT) | instid1(VALU_DEP_1)
	v_cndmask_b32_e64 v21, v21, 0x70, vcc_lo
	v_dual_cndmask_b32 v30, v30, v38, vcc_lo :: v_dual_add_nc_u32 v24, 21, v21
	v_add_nc_u32_e32 v96, 20, v21
	s_delay_alu instid0(VALU_DEP_2) | instskip(NEXT) | instid1(VALU_DEP_2)
	v_lshlrev_b64_e64 v[24:25], v24, -1
	v_lshlrev_b64_e64 v[98:99], v96, 1
	s_delay_alu instid0(VALU_DEP_4) | instskip(NEXT) | instid1(VALU_DEP_3)
	v_lshrrev_b64 v[96:97], v21, v[30:31]
	v_bfi_b32 v25, v25, 0, 0
	s_delay_alu instid0(VALU_DEP_4) | instskip(NEXT) | instid1(VALU_DEP_1)
	v_bfi_b32 v24, v24, 0, v30
	v_cmp_eq_u64_e64 s11, v[24:25], v[98:99]
	s_delay_alu instid0(VALU_DEP_4)
	v_mov_b64_e32 v[98:99], v[96:97]
	s_and_saveexec_b32 s44, s11
; %bb.2464:                             ;   in Loop: Header=BB4_2382 Depth=2
	v_bfe_u32 v24, v96, 21, 1
	v_mov_b32_e32 v25, v39
	s_delay_alu instid0(VALU_DEP_1) | instskip(NEXT) | instid1(VALU_DEP_1)
	v_add_nc_u64_e32 v[24:25], v[96:97], v[24:25]
	v_add_nc_u64_e32 v[98:99], -1, v[24:25]
; %bb.2465:                             ;   in Loop: Header=BB4_2382 Depth=2
	s_or_b32 exec_lo, exec_lo, s44
	v_add_nc_u32_e32 v20, 0xffffff81, v20
	v_lshrrev_b32_e32 v24, 23, v96
	s_mov_b32 s11, exec_lo
	s_delay_alu instid0(VALU_DEP_2) | instskip(NEXT) | instid1(VALU_DEP_1)
	v_cndmask_b32_e64 v20, v20, 0xffffff82, vcc_lo
	v_add3_u32 v21, v21, v20, v24
	v_and_b32_e32 v20, 0x1fffff, v98
	s_delay_alu instid0(VALU_DEP_1) | instskip(NEXT) | instid1(VALU_DEP_1)
	v_dual_add_nc_u32 v30, 14, v21 :: v_dual_add_nc_u32 v38, v20, v96
                                        ; implicit-def: $vgpr96_vgpr97
                                        ; implicit-def: $vgpr20
	v_cmpx_ne_u32_e32 0, v30
	s_xor_b32 s11, exec_lo, s11
; %bb.2466:                             ;   in Loop: Header=BB4_2382 Depth=2
	s_delay_alu instid0(VALU_DEP_2) | instskip(SKIP_2) | instid1(VALU_DEP_2)
	v_cmp_lt_u64_e32 vcc_lo, 0xffffff, v[38:39]
	v_add_nc_u32_e32 v20, 15, v21
	v_cndmask_b32_e64 v21, 0, 1, vcc_lo
	v_cndmask_b32_e32 v20, v30, v20, vcc_lo
	s_delay_alu instid0(VALU_DEP_2)
	v_lshrrev_b64 v[96:97], v21, v[38:39]
; %bb.2467:                             ;   in Loop: Header=BB4_2382 Depth=2
	s_and_not1_saveexec_b32 s11, s11
; %bb.2468:                             ;   in Loop: Header=BB4_2382 Depth=2
	v_mov_b64_e32 v[96:97], v[38:39]
	v_bfe_u32 v20, v38, 23, 1
; %bb.2469:                             ;   in Loop: Header=BB4_2382 Depth=2
	s_or_b32 exec_lo, exec_lo, s11
	s_delay_alu instid0(VALU_DEP_2) | instskip(NEXT) | instid1(VALU_DEP_2)
	v_lshrrev_b64 v[24:25], 21, v[96:97]
	v_cmp_gt_i32_e32 vcc_lo, 32, v20
	v_min_i32_e32 v21, 31, v20
	v_cmp_eq_u32_e64 s11, 0, v20
	s_delay_alu instid0(VALU_DEP_4) | instskip(NEXT) | instid1(VALU_DEP_3)
	v_cndmask_b32_e32 v25, 0, v25, vcc_lo
	v_dual_cndmask_b32 v24, 3, v24 :: v_dual_lshlrev_b32 v21, 2, v21
	s_delay_alu instid0(VALU_DEP_1) | instskip(NEXT) | instid1(VALU_DEP_2)
	v_and_b32_e32 v21, 0xfc, v21
	v_cmp_eq_u64_e32 vcc_lo, 0, v[24:25]
	s_delay_alu instid0(VALU_DEP_2)
	v_and_or_b32 v20, v24, 3, v21
	s_and_b32 s11, s11, vcc_lo
	s_delay_alu instid0(VALU_DEP_1) | instid1(SALU_CYCLE_1)
	v_cndmask_b32_e64 v20, v20, 0, s11
	s_delay_alu instid0(VALU_DEP_1)
	v_or_b32_e32 v112, v20, v2
.LBB4_2470:                             ;   in Loop: Header=BB4_2382 Depth=2
	s_or_b32 exec_lo, exec_lo, s43
                                        ; implicit-def: $vgpr2
.LBB4_2471:                             ;   in Loop: Header=BB4_2382 Depth=2
	s_and_not1_saveexec_b32 s11, s42
; %bb.2472:                             ;   in Loop: Header=BB4_2382 Depth=2
	v_or_b32_e32 v112, 0x7b, v2
; %bb.2473:                             ;   in Loop: Header=BB4_2382 Depth=2
	s_or_b32 exec_lo, exec_lo, s11
                                        ; implicit-def: $vgpr30
                                        ; implicit-def: $vgpr2
.LBB4_2474:                             ;   in Loop: Header=BB4_2382 Depth=2
	s_and_not1_saveexec_b32 s11, s41
	s_cbranch_execz .LBB4_2480
; %bb.2475:                             ;   in Loop: Header=BB4_2382 Depth=2
	s_mov_b32 s41, exec_lo
                                        ; implicit-def: $vgpr112
	v_cmpx_ne_u64_e32 0, v[38:39]
	s_xor_b32 s41, exec_lo, s41
; %bb.2476:                             ;   in Loop: Header=BB4_2382 Depth=2
	v_or_b32_e32 v112, 0x7f, v2
                                        ; implicit-def: $vgpr30
; %bb.2477:                             ;   in Loop: Header=BB4_2382 Depth=2
	s_and_not1_saveexec_b32 s41, s41
; %bb.2478:                             ;   in Loop: Header=BB4_2382 Depth=2
	v_cmp_lt_i32_e32 vcc_lo, -1, v30
	v_cndmask_b32_e32 v112, 0xfc, v122, vcc_lo
; %bb.2479:                             ;   in Loop: Header=BB4_2382 Depth=2
	s_or_b32 exec_lo, exec_lo, s41
.LBB4_2480:                             ;   in Loop: Header=BB4_2382 Depth=2
	s_delay_alu instid0(SALU_CYCLE_1)
	s_or_b32 exec_lo, exec_lo, s11
	v_mov_b32_e32 v2, 0
	s_mov_b32 s11, exec_lo
	v_cmpx_lt_u32_e32 0xffffff, v10
	s_cbranch_execz .LBB4_2490
; %bb.2481:                             ;   in Loop: Header=BB4_2382 Depth=2
	v_lshrrev_b32_e32 v30, 24, v10
	v_bfrev_b32_e32 v2, 1
	s_mov_b32 s41, exec_lo
	s_delay_alu instid0(VALU_DEP_2)
	v_cmpx_ne_u32_e32 0x80, v30
	s_cbranch_execz .LBB4_2489
; %bb.2482:                             ;   in Loop: Header=BB4_2382 Depth=2
	v_and_b32_e32 v2, 0x7c000000, v10
	v_bfe_u32 v20, v10, 24, 2
	s_delay_alu instid0(VALU_DEP_2) | instskip(SKIP_1) | instid1(SALU_CYCLE_1)
	v_cmp_ne_u32_e32 vcc_lo, 0x7c000000, v2
                                        ; implicit-def: $vgpr2
	s_and_saveexec_b32 s42, vcc_lo
	s_xor_b32 s42, exec_lo, s42
	s_cbranch_execz .LBB4_2486
; %bb.2483:                             ;   in Loop: Header=BB4_2382 Depth=2
	v_bfe_u32 v2, v10, 26, 5
	s_mov_b32 s43, exec_lo
	s_delay_alu instid0(VALU_DEP_1)
	v_cmpx_eq_u32_e32 0, v2
; %bb.2484:                             ;   in Loop: Header=BB4_2382 Depth=2
	v_clz_i32_u32_e32 v2, v20
	s_delay_alu instid0(VALU_DEP_1) | instskip(NEXT) | instid1(VALU_DEP_1)
	v_min_u32_e32 v2, 32, v2
	v_subrev_nc_u32_e32 v20, 29, v2
	s_delay_alu instid0(VALU_DEP_1) | instskip(NEXT) | instid1(VALU_DEP_1)
	v_lshlrev_b64_e32 v[20:21], v20, v[30:31]
	v_dual_sub_nc_u32 v2, 30, v2 :: v_dual_bitop2_b32 v20, 3, v20 bitop3:0x40
; %bb.2485:                             ;   in Loop: Header=BB4_2382 Depth=2
	s_or_b32 exec_lo, exec_lo, s43
	v_and_b32_e32 v21, 0x80000000, v10
	s_delay_alu instid0(VALU_DEP_1) | instskip(NEXT) | instid1(VALU_DEP_1)
	v_lshl_add_u32 v2, v2, 23, v21
	v_lshl_or_b32 v2, v20, 21, v2
                                        ; implicit-def: $vgpr20
	s_delay_alu instid0(VALU_DEP_1)
	v_add_nc_u32_e32 v2, 0x38000000, v2
.LBB4_2486:                             ;   in Loop: Header=BB4_2382 Depth=2
	s_and_not1_saveexec_b32 s42, s42
; %bb.2487:                             ;   in Loop: Header=BB4_2382 Depth=2
	v_cmp_lt_i32_e32 vcc_lo, -1, v10
	v_cndmask_b32_e32 v2, 0xff800000, v126, vcc_lo
	v_cmp_eq_u32_e32 vcc_lo, 0, v20
	s_delay_alu instid0(VALU_DEP_2)
	v_cndmask_b32_e32 v2, 0x7f800001, v2, vcc_lo
; %bb.2488:                             ;   in Loop: Header=BB4_2382 Depth=2
	s_or_b32 exec_lo, exec_lo, s42
.LBB4_2489:                             ;   in Loop: Header=BB4_2382 Depth=2
	s_delay_alu instid0(SALU_CYCLE_1)
	s_or_b32 exec_lo, exec_lo, s41
.LBB4_2490:                             ;   in Loop: Header=BB4_2382 Depth=2
	s_delay_alu instid0(SALU_CYCLE_1) | instskip(NEXT) | instid1(VALU_DEP_1)
	s_or_b32 exec_lo, exec_lo, s11
	v_dual_mul_f32 v30, s40, v2 :: v_dual_mov_b32 v21, v39
                                        ; implicit-def: $vgpr115
	s_mov_b32 s11, exec_lo
	s_delay_alu instid0(VALU_DEP_1) | instskip(SKIP_2) | instid1(VALU_DEP_3)
	v_and_b32_e32 v20, 0x7f800000, v30
	v_and_b32_e32 v38, 0x7fffff, v30
	v_lshrrev_b32_e32 v2, 24, v30
	v_cmpx_ne_u64_e32 0x7f800000, v[20:21]
	s_xor_b32 s41, exec_lo, s11
	s_cbranch_execz .LBB4_2504
; %bb.2491:                             ;   in Loop: Header=BB4_2382 Depth=2
	v_and_b32_e32 v20, 0x7fffffff, v30
	v_mov_b32_e32 v21, v39
	v_and_b32_e32 v2, 0x80, v2
                                        ; implicit-def: $vgpr115
	s_mov_b32 s11, exec_lo
	s_delay_alu instid0(VALU_DEP_2)
	v_cmpx_gt_u64_e32 0x47600001, v[20:21]
	s_xor_b32 s42, exec_lo, s11
	s_cbranch_execz .LBB4_2501
; %bb.2492:                             ;   in Loop: Header=BB4_2382 Depth=2
	v_mov_b32_e32 v115, 0
	s_mov_b32 s43, exec_lo
	v_cmpx_ne_u32_e32 0, v30
	s_cbranch_execz .LBB4_2500
; %bb.2493:                             ;   in Loop: Header=BB4_2382 Depth=2
	v_bfe_u32 v20, v30, 23, 8
	v_or_b32_e32 v30, 0x800000, v38
	v_mov_b32_e32 v31, v39
	s_delay_alu instid0(VALU_DEP_3) | instskip(SKIP_1) | instid1(VALU_DEP_2)
	v_sub_nc_u32_e32 v21, 0x71, v20
	v_cmp_gt_u32_e32 vcc_lo, 0x72, v20
	v_cndmask_b32_e32 v21, 0, v21, vcc_lo
	v_cmp_eq_u32_e32 vcc_lo, 0, v20
	s_delay_alu instid0(VALU_DEP_2) | instskip(NEXT) | instid1(VALU_DEP_1)
	v_cndmask_b32_e64 v21, v21, 0x70, vcc_lo
	v_dual_cndmask_b32 v30, v30, v38, vcc_lo :: v_dual_add_nc_u32 v24, 21, v21
	v_add_nc_u32_e32 v96, 20, v21
	s_delay_alu instid0(VALU_DEP_2) | instskip(NEXT) | instid1(VALU_DEP_2)
	v_lshlrev_b64_e64 v[24:25], v24, -1
	v_lshlrev_b64_e64 v[98:99], v96, 1
	s_delay_alu instid0(VALU_DEP_4) | instskip(NEXT) | instid1(VALU_DEP_3)
	v_lshrrev_b64 v[96:97], v21, v[30:31]
	v_bfi_b32 v25, v25, 0, 0
	s_delay_alu instid0(VALU_DEP_4) | instskip(NEXT) | instid1(VALU_DEP_1)
	v_bfi_b32 v24, v24, 0, v30
	v_cmp_eq_u64_e64 s11, v[24:25], v[98:99]
	s_delay_alu instid0(VALU_DEP_4)
	v_mov_b64_e32 v[98:99], v[96:97]
	s_and_saveexec_b32 s44, s11
; %bb.2494:                             ;   in Loop: Header=BB4_2382 Depth=2
	v_bfe_u32 v24, v96, 21, 1
	v_mov_b32_e32 v25, v39
	s_delay_alu instid0(VALU_DEP_1) | instskip(NEXT) | instid1(VALU_DEP_1)
	v_add_nc_u64_e32 v[24:25], v[96:97], v[24:25]
	v_add_nc_u64_e32 v[98:99], -1, v[24:25]
; %bb.2495:                             ;   in Loop: Header=BB4_2382 Depth=2
	s_or_b32 exec_lo, exec_lo, s44
	v_add_nc_u32_e32 v20, 0xffffff81, v20
	v_lshrrev_b32_e32 v24, 23, v96
	s_mov_b32 s11, exec_lo
	s_delay_alu instid0(VALU_DEP_2) | instskip(NEXT) | instid1(VALU_DEP_1)
	v_cndmask_b32_e64 v20, v20, 0xffffff82, vcc_lo
	v_add3_u32 v21, v21, v20, v24
	v_and_b32_e32 v20, 0x1fffff, v98
	s_delay_alu instid0(VALU_DEP_1) | instskip(NEXT) | instid1(VALU_DEP_1)
	v_dual_add_nc_u32 v30, 14, v21 :: v_dual_add_nc_u32 v38, v20, v96
                                        ; implicit-def: $vgpr96_vgpr97
                                        ; implicit-def: $vgpr20
	v_cmpx_ne_u32_e32 0, v30
	s_xor_b32 s11, exec_lo, s11
; %bb.2496:                             ;   in Loop: Header=BB4_2382 Depth=2
	s_delay_alu instid0(VALU_DEP_2) | instskip(SKIP_2) | instid1(VALU_DEP_2)
	v_cmp_lt_u64_e32 vcc_lo, 0xffffff, v[38:39]
	v_add_nc_u32_e32 v20, 15, v21
	v_cndmask_b32_e64 v21, 0, 1, vcc_lo
	v_cndmask_b32_e32 v20, v30, v20, vcc_lo
	s_delay_alu instid0(VALU_DEP_2)
	v_lshrrev_b64 v[96:97], v21, v[38:39]
; %bb.2497:                             ;   in Loop: Header=BB4_2382 Depth=2
	s_and_not1_saveexec_b32 s11, s11
; %bb.2498:                             ;   in Loop: Header=BB4_2382 Depth=2
	v_mov_b64_e32 v[96:97], v[38:39]
	v_bfe_u32 v20, v38, 23, 1
; %bb.2499:                             ;   in Loop: Header=BB4_2382 Depth=2
	s_or_b32 exec_lo, exec_lo, s11
	s_delay_alu instid0(VALU_DEP_2) | instskip(NEXT) | instid1(VALU_DEP_2)
	v_lshrrev_b64 v[24:25], 21, v[96:97]
	v_cmp_gt_i32_e32 vcc_lo, 32, v20
	v_min_i32_e32 v21, 31, v20
	v_cmp_eq_u32_e64 s11, 0, v20
	s_delay_alu instid0(VALU_DEP_4) | instskip(NEXT) | instid1(VALU_DEP_3)
	v_cndmask_b32_e32 v25, 0, v25, vcc_lo
	v_dual_cndmask_b32 v24, 3, v24 :: v_dual_lshlrev_b32 v21, 2, v21
	s_delay_alu instid0(VALU_DEP_1) | instskip(NEXT) | instid1(VALU_DEP_2)
	v_and_b32_e32 v21, 0xfc, v21
	v_cmp_eq_u64_e32 vcc_lo, 0, v[24:25]
	s_delay_alu instid0(VALU_DEP_2)
	v_and_or_b32 v20, v24, 3, v21
	s_and_b32 s11, s11, vcc_lo
	s_delay_alu instid0(VALU_DEP_1) | instid1(SALU_CYCLE_1)
	v_cndmask_b32_e64 v20, v20, 0, s11
	s_delay_alu instid0(VALU_DEP_1)
	v_or_b32_e32 v115, v20, v2
.LBB4_2500:                             ;   in Loop: Header=BB4_2382 Depth=2
	s_or_b32 exec_lo, exec_lo, s43
                                        ; implicit-def: $vgpr2
.LBB4_2501:                             ;   in Loop: Header=BB4_2382 Depth=2
	s_and_not1_saveexec_b32 s11, s42
; %bb.2502:                             ;   in Loop: Header=BB4_2382 Depth=2
	v_or_b32_e32 v115, 0x7b, v2
; %bb.2503:                             ;   in Loop: Header=BB4_2382 Depth=2
	s_or_b32 exec_lo, exec_lo, s11
                                        ; implicit-def: $vgpr30
                                        ; implicit-def: $vgpr2
.LBB4_2504:                             ;   in Loop: Header=BB4_2382 Depth=2
	s_and_not1_saveexec_b32 s11, s41
	s_cbranch_execz .LBB4_2510
; %bb.2505:                             ;   in Loop: Header=BB4_2382 Depth=2
	s_mov_b32 s41, exec_lo
                                        ; implicit-def: $vgpr115
	v_cmpx_ne_u64_e32 0, v[38:39]
	s_xor_b32 s41, exec_lo, s41
; %bb.2506:                             ;   in Loop: Header=BB4_2382 Depth=2
	v_or_b32_e32 v115, 0x7f, v2
                                        ; implicit-def: $vgpr30
; %bb.2507:                             ;   in Loop: Header=BB4_2382 Depth=2
	s_and_not1_saveexec_b32 s41, s41
; %bb.2508:                             ;   in Loop: Header=BB4_2382 Depth=2
	v_cmp_lt_i32_e32 vcc_lo, -1, v30
	v_cndmask_b32_e32 v115, 0xfc, v122, vcc_lo
; %bb.2509:                             ;   in Loop: Header=BB4_2382 Depth=2
	s_or_b32 exec_lo, exec_lo, s41
.LBB4_2510:                             ;   in Loop: Header=BB4_2382 Depth=2
	s_delay_alu instid0(SALU_CYCLE_1) | instskip(SKIP_3) | instid1(VALU_DEP_2)
	s_or_b32 exec_lo, exec_lo, s11
	v_and_b32_e32 v20, 0xff, v11
	v_dual_mov_b32 v38, v11 :: v_dual_mov_b32 v2, 0
	s_mov_b32 s11, exec_lo
	v_cmpx_ne_u16_e32 0, v20
	s_cbranch_execz .LBB4_2520
; %bb.2511:                             ;   in Loop: Header=BB4_2382 Depth=2
	v_bfrev_b32_e32 v2, 1
	s_mov_b32 s41, exec_lo
	v_cmpx_ne_u16_e32 0x80, v20
	s_cbranch_execz .LBB4_2519
; %bb.2512:                             ;   in Loop: Header=BB4_2382 Depth=2
	v_and_b32_e32 v2, 0x7c, v11
	v_and_b32_e32 v20, 3, v11
	s_delay_alu instid0(VALU_DEP_2) | instskip(SKIP_1) | instid1(SALU_CYCLE_1)
	v_cmp_ne_u32_e32 vcc_lo, 0x7c, v2
                                        ; implicit-def: $vgpr2
	s_and_saveexec_b32 s42, vcc_lo
	s_xor_b32 s42, exec_lo, s42
	s_cbranch_execz .LBB4_2516
; %bb.2513:                             ;   in Loop: Header=BB4_2382 Depth=2
	v_bfe_u32 v2, v11, 2, 5
	s_mov_b32 s43, exec_lo
	s_delay_alu instid0(VALU_DEP_1)
	v_cmpx_eq_u32_e32 0, v2
; %bb.2514:                             ;   in Loop: Header=BB4_2382 Depth=2
	v_clz_i32_u32_e32 v2, v20
	s_delay_alu instid0(VALU_DEP_1) | instskip(NEXT) | instid1(VALU_DEP_1)
	v_min_u32_e32 v2, 32, v2
	v_subrev_nc_u32_e32 v20, 29, v2
	s_delay_alu instid0(VALU_DEP_1) | instskip(NEXT) | instid1(VALU_DEP_1)
	v_lshlrev_b64_e32 v[20:21], v20, v[38:39]
	v_dual_sub_nc_u32 v2, 30, v2 :: v_dual_bitop2_b32 v20, 3, v20 bitop3:0x40
; %bb.2515:                             ;   in Loop: Header=BB4_2382 Depth=2
	s_or_b32 exec_lo, exec_lo, s43
	v_lshlrev_b32_e32 v21, 24, v11
	s_delay_alu instid0(VALU_DEP_1) | instskip(NEXT) | instid1(VALU_DEP_1)
	v_and_b32_e32 v21, 0x80000000, v21
	v_lshl_add_u32 v2, v2, 23, v21
	s_delay_alu instid0(VALU_DEP_1) | instskip(NEXT) | instid1(VALU_DEP_1)
	v_lshl_or_b32 v2, v20, 21, v2
                                        ; implicit-def: $vgpr20
	v_add_nc_u32_e32 v2, 0x38000000, v2
.LBB4_2516:                             ;   in Loop: Header=BB4_2382 Depth=2
	s_and_not1_saveexec_b32 s42, s42
; %bb.2517:                             ;   in Loop: Header=BB4_2382 Depth=2
	v_bfe_i32 v2, v11, 0, 8
	s_delay_alu instid0(VALU_DEP_1) | instskip(SKIP_2) | instid1(VALU_DEP_2)
	v_cmp_lt_i16_e32 vcc_lo, -1, v2
	v_cndmask_b32_e32 v2, 0xff800000, v126, vcc_lo
	v_cmp_eq_u32_e32 vcc_lo, 0, v20
	v_cndmask_b32_e32 v2, 0x7f800001, v2, vcc_lo
; %bb.2518:                             ;   in Loop: Header=BB4_2382 Depth=2
	s_or_b32 exec_lo, exec_lo, s42
.LBB4_2519:                             ;   in Loop: Header=BB4_2382 Depth=2
	s_delay_alu instid0(SALU_CYCLE_1)
	s_or_b32 exec_lo, exec_lo, s41
.LBB4_2520:                             ;   in Loop: Header=BB4_2382 Depth=2
	s_delay_alu instid0(SALU_CYCLE_1) | instskip(NEXT) | instid1(VALU_DEP_1)
	s_or_b32 exec_lo, exec_lo, s11
	v_dual_mul_f32 v30, s40, v2 :: v_dual_mov_b32 v21, v39
	v_mov_b32_e32 v97, v39
                                        ; implicit-def: $vgpr100
	s_mov_b32 s11, exec_lo
	s_delay_alu instid0(VALU_DEP_2) | instskip(SKIP_2) | instid1(VALU_DEP_3)
	v_and_b32_e32 v20, 0x7f800000, v30
	v_and_b32_e32 v96, 0x7fffff, v30
	v_lshrrev_b32_e32 v2, 24, v30
	v_cmpx_ne_u64_e32 0x7f800000, v[20:21]
	s_xor_b32 s41, exec_lo, s11
	s_cbranch_execz .LBB4_2534
; %bb.2521:                             ;   in Loop: Header=BB4_2382 Depth=2
	v_and_b32_e32 v20, 0x7fffffff, v30
	v_mov_b32_e32 v21, v39
	v_and_b32_e32 v2, 0x80, v2
                                        ; implicit-def: $vgpr100
	s_mov_b32 s11, exec_lo
	s_delay_alu instid0(VALU_DEP_2)
	v_cmpx_gt_u64_e32 0x47600001, v[20:21]
	s_xor_b32 s42, exec_lo, s11
	s_cbranch_execz .LBB4_2531
; %bb.2522:                             ;   in Loop: Header=BB4_2382 Depth=2
	v_mov_b32_e32 v100, 0
	s_mov_b32 s43, exec_lo
	v_cmpx_ne_u32_e32 0, v30
	s_cbranch_execz .LBB4_2530
; %bb.2523:                             ;   in Loop: Header=BB4_2382 Depth=2
	v_bfe_u32 v20, v30, 23, 8
	v_or_b32_e32 v30, 0x800000, v96
	s_mov_b32 s44, exec_lo
	s_delay_alu instid0(VALU_DEP_2) | instskip(SKIP_1) | instid1(VALU_DEP_2)
	v_sub_nc_u32_e32 v21, 0x71, v20
	v_cmp_gt_u32_e32 vcc_lo, 0x72, v20
	v_cndmask_b32_e32 v21, 0, v21, vcc_lo
	v_cmp_eq_u32_e32 vcc_lo, 0, v20
	v_cndmask_b32_e32 v96, v30, v96, vcc_lo
	s_delay_alu instid0(VALU_DEP_3) | instskip(NEXT) | instid1(VALU_DEP_1)
	v_cndmask_b32_e64 v21, v21, 0x70, vcc_lo
	v_dual_add_nc_u32 v24, 21, v21 :: v_dual_add_nc_u32 v31, 20, v21
	s_delay_alu instid0(VALU_DEP_1) | instskip(NEXT) | instid1(VALU_DEP_2)
	v_lshlrev_b64_e64 v[24:25], v24, -1
	v_lshlrev_b64_e64 v[30:31], v31, 1
	s_delay_alu instid0(VALU_DEP_2) | instskip(SKIP_1) | instid1(VALU_DEP_4)
	v_bfi_b32 v24, v24, 0, v96
	v_lshrrev_b64 v[96:97], v21, v[96:97]
	v_bfi_b32 v25, v25, 0, 0
	s_delay_alu instid0(VALU_DEP_2) | instskip(NEXT) | instid1(VALU_DEP_2)
	v_mov_b64_e32 v[98:99], v[96:97]
	v_cmpx_eq_u64_e64 v[24:25], v[30:31]
; %bb.2524:                             ;   in Loop: Header=BB4_2382 Depth=2
	v_bfe_u32 v24, v96, 21, 1
	v_mov_b32_e32 v25, v39
	s_delay_alu instid0(VALU_DEP_1) | instskip(NEXT) | instid1(VALU_DEP_1)
	v_add_nc_u64_e32 v[24:25], v[96:97], v[24:25]
	v_add_nc_u64_e32 v[98:99], -1, v[24:25]
; %bb.2525:                             ;   in Loop: Header=BB4_2382 Depth=2
	s_or_b32 exec_lo, exec_lo, s44
	v_dual_mov_b32 v97, v39 :: v_dual_add_nc_u32 v20, 0xffffff81, v20
	v_lshrrev_b32_e32 v24, 23, v96
	s_mov_b32 s11, exec_lo
	s_delay_alu instid0(VALU_DEP_2) | instskip(NEXT) | instid1(VALU_DEP_1)
	v_cndmask_b32_e64 v20, v20, 0xffffff82, vcc_lo
	v_add3_u32 v21, v21, v20, v24
	v_and_b32_e32 v20, 0x1fffff, v98
	s_delay_alu instid0(VALU_DEP_1) | instskip(NEXT) | instid1(VALU_DEP_1)
	v_dual_add_nc_u32 v30, 14, v21 :: v_dual_add_nc_u32 v96, v20, v96
                                        ; implicit-def: $vgpr20
	v_cmpx_ne_u32_e32 0, v30
	s_xor_b32 s11, exec_lo, s11
; %bb.2526:                             ;   in Loop: Header=BB4_2382 Depth=2
	s_delay_alu instid0(VALU_DEP_2) | instskip(SKIP_2) | instid1(VALU_DEP_2)
	v_cmp_lt_u64_e32 vcc_lo, 0xffffff, v[96:97]
	v_add_nc_u32_e32 v20, 15, v21
	v_cndmask_b32_e64 v21, 0, 1, vcc_lo
	v_cndmask_b32_e32 v20, v30, v20, vcc_lo
	s_delay_alu instid0(VALU_DEP_2)
	v_lshrrev_b64 v[96:97], v21, v[96:97]
; %bb.2527:                             ;   in Loop: Header=BB4_2382 Depth=2
	s_and_not1_saveexec_b32 s11, s11
; %bb.2528:                             ;   in Loop: Header=BB4_2382 Depth=2
	s_delay_alu instid0(VALU_DEP_1)
	v_bfe_u32 v20, v96, 23, 1
; %bb.2529:                             ;   in Loop: Header=BB4_2382 Depth=2
	s_or_b32 exec_lo, exec_lo, s11
	s_delay_alu instid0(VALU_DEP_2) | instskip(NEXT) | instid1(VALU_DEP_2)
	v_lshrrev_b64 v[24:25], 21, v[96:97]
	v_cmp_gt_i32_e32 vcc_lo, 32, v20
	v_min_i32_e32 v21, 31, v20
	v_cmp_eq_u32_e64 s11, 0, v20
	s_delay_alu instid0(VALU_DEP_4) | instskip(NEXT) | instid1(VALU_DEP_3)
	v_cndmask_b32_e32 v25, 0, v25, vcc_lo
	v_dual_cndmask_b32 v24, 3, v24 :: v_dual_lshlrev_b32 v21, 2, v21
	s_delay_alu instid0(VALU_DEP_1) | instskip(NEXT) | instid1(VALU_DEP_2)
	v_and_b32_e32 v21, 0xfc, v21
	v_cmp_eq_u64_e32 vcc_lo, 0, v[24:25]
	s_delay_alu instid0(VALU_DEP_2)
	v_and_or_b32 v20, v24, 3, v21
	s_and_b32 s11, s11, vcc_lo
	s_delay_alu instid0(VALU_DEP_1) | instid1(SALU_CYCLE_1)
	v_cndmask_b32_e64 v20, v20, 0, s11
	s_delay_alu instid0(VALU_DEP_1)
	v_or_b32_e32 v100, v20, v2
.LBB4_2530:                             ;   in Loop: Header=BB4_2382 Depth=2
	s_or_b32 exec_lo, exec_lo, s43
                                        ; implicit-def: $vgpr2
.LBB4_2531:                             ;   in Loop: Header=BB4_2382 Depth=2
	s_and_not1_saveexec_b32 s11, s42
; %bb.2532:                             ;   in Loop: Header=BB4_2382 Depth=2
	v_or_b32_e32 v100, 0x7b, v2
; %bb.2533:                             ;   in Loop: Header=BB4_2382 Depth=2
	s_or_b32 exec_lo, exec_lo, s11
                                        ; implicit-def: $vgpr30
                                        ; implicit-def: $vgpr96_vgpr97
                                        ; implicit-def: $vgpr2
.LBB4_2534:                             ;   in Loop: Header=BB4_2382 Depth=2
	s_and_not1_saveexec_b32 s11, s41
	s_cbranch_execz .LBB4_2540
; %bb.2535:                             ;   in Loop: Header=BB4_2382 Depth=2
	s_mov_b32 s41, exec_lo
                                        ; implicit-def: $vgpr100
	v_cmpx_ne_u64_e32 0, v[96:97]
	s_xor_b32 s41, exec_lo, s41
; %bb.2536:                             ;   in Loop: Header=BB4_2382 Depth=2
	v_or_b32_e32 v100, 0x7f, v2
                                        ; implicit-def: $vgpr30
; %bb.2537:                             ;   in Loop: Header=BB4_2382 Depth=2
	s_and_not1_saveexec_b32 s41, s41
; %bb.2538:                             ;   in Loop: Header=BB4_2382 Depth=2
	v_cmp_lt_i32_e32 vcc_lo, -1, v30
	v_cndmask_b32_e32 v100, 0xfc, v122, vcc_lo
; %bb.2539:                             ;   in Loop: Header=BB4_2382 Depth=2
	s_or_b32 exec_lo, exec_lo, s41
.LBB4_2540:                             ;   in Loop: Header=BB4_2382 Depth=2
	s_delay_alu instid0(SALU_CYCLE_1) | instskip(SKIP_3) | instid1(VALU_DEP_2)
	s_or_b32 exec_lo, exec_lo, s11
	v_lshrrev_b16 v96, 8, v38
	v_mov_b32_e32 v20, 0
	s_mov_b32 s11, exec_lo
	v_cmpx_ne_u16_e32 0, v96
	s_cbranch_execz .LBB4_2550
; %bb.2541:                             ;   in Loop: Header=BB4_2382 Depth=2
	v_bfrev_b32_e32 v20, 1
	s_mov_b32 s41, exec_lo
	v_cmpx_ne_u16_e32 0x80, v96
	s_cbranch_execz .LBB4_2549
; %bb.2542:                             ;   in Loop: Header=BB4_2382 Depth=2
	v_and_b32_e32 v21, 0xffff, v96
	s_delay_alu instid0(VALU_DEP_1) | instskip(SKIP_1) | instid1(VALU_DEP_2)
	v_and_b32_e32 v20, 0x7c, v21
	v_and_b32_e32 v2, 3, v21
	v_cmp_ne_u32_e32 vcc_lo, 0x7c, v20
                                        ; implicit-def: $vgpr20
	s_and_saveexec_b32 s42, vcc_lo
	s_delay_alu instid0(SALU_CYCLE_1)
	s_xor_b32 s42, exec_lo, s42
	s_cbranch_execz .LBB4_2546
; %bb.2543:                             ;   in Loop: Header=BB4_2382 Depth=2
	v_bfe_u32 v20, v21, 2, 5
	s_mov_b32 s43, exec_lo
	s_delay_alu instid0(VALU_DEP_1)
	v_cmpx_eq_u32_e32 0, v20
; %bb.2544:                             ;   in Loop: Header=BB4_2382 Depth=2
	v_clz_i32_u32_e32 v2, v2
	s_delay_alu instid0(VALU_DEP_1) | instskip(SKIP_1) | instid1(VALU_DEP_2)
	v_min_u32_e32 v2, 32, v2
	v_mov_b32_e32 v97, v39
	v_subrev_nc_u32_e32 v20, 29, v2
	s_delay_alu instid0(VALU_DEP_1) | instskip(NEXT) | instid1(VALU_DEP_1)
	v_lshlrev_b64_e32 v[24:25], v20, v[96:97]
	v_dual_sub_nc_u32 v20, 30, v2 :: v_dual_bitop2_b32 v2, 3, v24 bitop3:0x40
; %bb.2545:                             ;   in Loop: Header=BB4_2382 Depth=2
	s_or_b32 exec_lo, exec_lo, s43
	v_lshlrev_b32_e32 v21, 16, v38
	s_delay_alu instid0(VALU_DEP_1) | instskip(NEXT) | instid1(VALU_DEP_1)
	v_and_b32_e32 v21, 0x80000000, v21
	v_lshl_add_u32 v20, v20, 23, v21
	s_delay_alu instid0(VALU_DEP_1) | instskip(NEXT) | instid1(VALU_DEP_1)
	v_lshl_or_b32 v2, v2, 21, v20
	v_add_nc_u32_e32 v20, 0x38000000, v2
                                        ; implicit-def: $vgpr2
.LBB4_2546:                             ;   in Loop: Header=BB4_2382 Depth=2
	s_and_not1_saveexec_b32 s42, s42
; %bb.2547:                             ;   in Loop: Header=BB4_2382 Depth=2
	v_cmp_lt_i16_e32 vcc_lo, -1, v38
	v_cndmask_b32_e32 v20, 0xff800000, v126, vcc_lo
	v_cmp_eq_u32_e32 vcc_lo, 0, v2
	s_delay_alu instid0(VALU_DEP_2)
	v_cndmask_b32_e32 v20, 0x7f800001, v20, vcc_lo
; %bb.2548:                             ;   in Loop: Header=BB4_2382 Depth=2
	s_or_b32 exec_lo, exec_lo, s42
.LBB4_2549:                             ;   in Loop: Header=BB4_2382 Depth=2
	s_delay_alu instid0(SALU_CYCLE_1)
	s_or_b32 exec_lo, exec_lo, s41
.LBB4_2550:                             ;   in Loop: Header=BB4_2382 Depth=2
	s_delay_alu instid0(SALU_CYCLE_1) | instskip(NEXT) | instid1(VALU_DEP_1)
	s_or_b32 exec_lo, exec_lo, s11
	v_dual_mul_f32 v30, s40, v20 :: v_dual_mov_b32 v21, v39
                                        ; implicit-def: $vgpr41
	s_mov_b32 s11, exec_lo
	s_delay_alu instid0(VALU_DEP_1) | instskip(SKIP_2) | instid1(VALU_DEP_3)
	v_and_b32_e32 v20, 0x7f800000, v30
	v_and_b32_e32 v38, 0x7fffff, v30
	v_lshrrev_b32_e32 v2, 24, v30
	v_cmpx_ne_u64_e32 0x7f800000, v[20:21]
	s_xor_b32 s41, exec_lo, s11
	s_cbranch_execz .LBB4_2564
; %bb.2551:                             ;   in Loop: Header=BB4_2382 Depth=2
	v_and_b32_e32 v20, 0x7fffffff, v30
	v_mov_b32_e32 v21, v39
	v_and_b32_e32 v2, 0x80, v2
                                        ; implicit-def: $vgpr41
	s_mov_b32 s11, exec_lo
	s_delay_alu instid0(VALU_DEP_2)
	v_cmpx_gt_u64_e32 0x47600001, v[20:21]
	s_xor_b32 s42, exec_lo, s11
	s_cbranch_execz .LBB4_2561
; %bb.2552:                             ;   in Loop: Header=BB4_2382 Depth=2
	v_mov_b32_e32 v41, 0
	s_mov_b32 s43, exec_lo
	v_cmpx_ne_u32_e32 0, v30
	s_cbranch_execz .LBB4_2560
; %bb.2553:                             ;   in Loop: Header=BB4_2382 Depth=2
	v_bfe_u32 v20, v30, 23, 8
	v_or_b32_e32 v30, 0x800000, v38
	v_mov_b32_e32 v31, v39
	s_delay_alu instid0(VALU_DEP_3) | instskip(SKIP_1) | instid1(VALU_DEP_2)
	v_sub_nc_u32_e32 v21, 0x71, v20
	v_cmp_gt_u32_e32 vcc_lo, 0x72, v20
	v_cndmask_b32_e32 v21, 0, v21, vcc_lo
	v_cmp_eq_u32_e32 vcc_lo, 0, v20
	s_delay_alu instid0(VALU_DEP_2) | instskip(NEXT) | instid1(VALU_DEP_1)
	v_cndmask_b32_e64 v21, v21, 0x70, vcc_lo
	v_dual_cndmask_b32 v30, v30, v38, vcc_lo :: v_dual_add_nc_u32 v24, 21, v21
	v_add_nc_u32_e32 v96, 20, v21
	s_delay_alu instid0(VALU_DEP_2) | instskip(NEXT) | instid1(VALU_DEP_2)
	v_lshlrev_b64_e64 v[24:25], v24, -1
	v_lshlrev_b64_e64 v[98:99], v96, 1
	s_delay_alu instid0(VALU_DEP_4) | instskip(NEXT) | instid1(VALU_DEP_3)
	v_lshrrev_b64 v[96:97], v21, v[30:31]
	v_bfi_b32 v25, v25, 0, 0
	s_delay_alu instid0(VALU_DEP_4) | instskip(NEXT) | instid1(VALU_DEP_1)
	v_bfi_b32 v24, v24, 0, v30
	v_cmp_eq_u64_e64 s11, v[24:25], v[98:99]
	s_delay_alu instid0(VALU_DEP_4)
	v_mov_b64_e32 v[98:99], v[96:97]
	s_and_saveexec_b32 s44, s11
; %bb.2554:                             ;   in Loop: Header=BB4_2382 Depth=2
	v_bfe_u32 v24, v96, 21, 1
	v_mov_b32_e32 v25, v39
	s_delay_alu instid0(VALU_DEP_1) | instskip(NEXT) | instid1(VALU_DEP_1)
	v_add_nc_u64_e32 v[24:25], v[96:97], v[24:25]
	v_add_nc_u64_e32 v[98:99], -1, v[24:25]
; %bb.2555:                             ;   in Loop: Header=BB4_2382 Depth=2
	s_or_b32 exec_lo, exec_lo, s44
	v_add_nc_u32_e32 v20, 0xffffff81, v20
	v_lshrrev_b32_e32 v24, 23, v96
	s_mov_b32 s11, exec_lo
	s_delay_alu instid0(VALU_DEP_2) | instskip(NEXT) | instid1(VALU_DEP_1)
	v_cndmask_b32_e64 v20, v20, 0xffffff82, vcc_lo
	v_add3_u32 v21, v21, v20, v24
	v_and_b32_e32 v20, 0x1fffff, v98
	s_delay_alu instid0(VALU_DEP_1) | instskip(NEXT) | instid1(VALU_DEP_1)
	v_dual_add_nc_u32 v30, 14, v21 :: v_dual_add_nc_u32 v38, v20, v96
                                        ; implicit-def: $vgpr96_vgpr97
                                        ; implicit-def: $vgpr20
	v_cmpx_ne_u32_e32 0, v30
	s_xor_b32 s11, exec_lo, s11
; %bb.2556:                             ;   in Loop: Header=BB4_2382 Depth=2
	s_delay_alu instid0(VALU_DEP_2) | instskip(SKIP_2) | instid1(VALU_DEP_2)
	v_cmp_lt_u64_e32 vcc_lo, 0xffffff, v[38:39]
	v_add_nc_u32_e32 v20, 15, v21
	v_cndmask_b32_e64 v21, 0, 1, vcc_lo
	v_cndmask_b32_e32 v20, v30, v20, vcc_lo
	s_delay_alu instid0(VALU_DEP_2)
	v_lshrrev_b64 v[96:97], v21, v[38:39]
; %bb.2557:                             ;   in Loop: Header=BB4_2382 Depth=2
	s_and_not1_saveexec_b32 s11, s11
; %bb.2558:                             ;   in Loop: Header=BB4_2382 Depth=2
	v_mov_b64_e32 v[96:97], v[38:39]
	v_bfe_u32 v20, v38, 23, 1
; %bb.2559:                             ;   in Loop: Header=BB4_2382 Depth=2
	s_or_b32 exec_lo, exec_lo, s11
	s_delay_alu instid0(VALU_DEP_2) | instskip(NEXT) | instid1(VALU_DEP_2)
	v_lshrrev_b64 v[24:25], 21, v[96:97]
	v_cmp_gt_i32_e32 vcc_lo, 32, v20
	v_min_i32_e32 v21, 31, v20
	v_cmp_eq_u32_e64 s11, 0, v20
	s_delay_alu instid0(VALU_DEP_4) | instskip(NEXT) | instid1(VALU_DEP_3)
	v_cndmask_b32_e32 v25, 0, v25, vcc_lo
	v_dual_cndmask_b32 v24, 3, v24 :: v_dual_lshlrev_b32 v21, 2, v21
	s_delay_alu instid0(VALU_DEP_1) | instskip(NEXT) | instid1(VALU_DEP_2)
	v_and_b32_e32 v21, 0xfc, v21
	v_cmp_eq_u64_e32 vcc_lo, 0, v[24:25]
	s_delay_alu instid0(VALU_DEP_2)
	v_and_or_b32 v20, v24, 3, v21
	s_and_b32 s11, s11, vcc_lo
	s_delay_alu instid0(VALU_DEP_1) | instid1(SALU_CYCLE_1)
	v_cndmask_b32_e64 v20, v20, 0, s11
	s_delay_alu instid0(VALU_DEP_1)
	v_or_b32_e32 v41, v20, v2
.LBB4_2560:                             ;   in Loop: Header=BB4_2382 Depth=2
	s_or_b32 exec_lo, exec_lo, s43
                                        ; implicit-def: $vgpr2
.LBB4_2561:                             ;   in Loop: Header=BB4_2382 Depth=2
	s_and_not1_saveexec_b32 s11, s42
; %bb.2562:                             ;   in Loop: Header=BB4_2382 Depth=2
	v_or_b32_e32 v41, 0x7b, v2
; %bb.2563:                             ;   in Loop: Header=BB4_2382 Depth=2
	s_or_b32 exec_lo, exec_lo, s11
                                        ; implicit-def: $vgpr30
                                        ; implicit-def: $vgpr2
.LBB4_2564:                             ;   in Loop: Header=BB4_2382 Depth=2
	s_and_not1_saveexec_b32 s11, s41
	s_cbranch_execz .LBB4_2570
; %bb.2565:                             ;   in Loop: Header=BB4_2382 Depth=2
	s_mov_b32 s41, exec_lo
                                        ; implicit-def: $vgpr41
	v_cmpx_ne_u64_e32 0, v[38:39]
	s_xor_b32 s41, exec_lo, s41
; %bb.2566:                             ;   in Loop: Header=BB4_2382 Depth=2
	v_or_b32_e32 v41, 0x7f, v2
                                        ; implicit-def: $vgpr30
; %bb.2567:                             ;   in Loop: Header=BB4_2382 Depth=2
	s_and_not1_saveexec_b32 s41, s41
; %bb.2568:                             ;   in Loop: Header=BB4_2382 Depth=2
	v_cmp_lt_i32_e32 vcc_lo, -1, v30
	v_cndmask_b32_e32 v41, 0xfc, v122, vcc_lo
; %bb.2569:                             ;   in Loop: Header=BB4_2382 Depth=2
	s_or_b32 exec_lo, exec_lo, s41
.LBB4_2570:                             ;   in Loop: Header=BB4_2382 Depth=2
	s_delay_alu instid0(SALU_CYCLE_1) | instskip(SKIP_2) | instid1(VALU_DEP_1)
	s_or_b32 exec_lo, exec_lo, s11
	v_dual_lshrrev_b32 v30, 16, v11 :: v_dual_mov_b32 v2, 0
	s_mov_b32 s11, exec_lo
	v_and_b32_e32 v20, 0xff, v30
	s_delay_alu instid0(VALU_DEP_1)
	v_cmpx_ne_u16_e32 0, v20
	s_cbranch_execz .LBB4_2580
; %bb.2571:                             ;   in Loop: Header=BB4_2382 Depth=2
	v_bfrev_b32_e32 v2, 1
	s_mov_b32 s41, exec_lo
	v_cmpx_ne_u16_e32 0x80, v20
	s_cbranch_execz .LBB4_2579
; %bb.2572:                             ;   in Loop: Header=BB4_2382 Depth=2
	v_and_b32_e32 v2, 0x7c0000, v11
	v_bfe_u32 v20, v11, 16, 2
	s_delay_alu instid0(VALU_DEP_2) | instskip(SKIP_1) | instid1(SALU_CYCLE_1)
	v_cmp_ne_u32_e32 vcc_lo, 0x7c0000, v2
                                        ; implicit-def: $vgpr2
	s_and_saveexec_b32 s42, vcc_lo
	s_xor_b32 s42, exec_lo, s42
	s_cbranch_execz .LBB4_2576
; %bb.2573:                             ;   in Loop: Header=BB4_2382 Depth=2
	v_bfe_u32 v2, v11, 18, 5
	s_mov_b32 s43, exec_lo
	s_delay_alu instid0(VALU_DEP_1)
	v_cmpx_eq_u32_e32 0, v2
; %bb.2574:                             ;   in Loop: Header=BB4_2382 Depth=2
	v_clz_i32_u32_e32 v2, v20
	s_delay_alu instid0(VALU_DEP_1) | instskip(NEXT) | instid1(VALU_DEP_1)
	v_min_u32_e32 v2, 32, v2
	v_subrev_nc_u32_e32 v20, 29, v2
	s_delay_alu instid0(VALU_DEP_1) | instskip(NEXT) | instid1(VALU_DEP_1)
	v_lshlrev_b64_e32 v[20:21], v20, v[30:31]
	v_dual_sub_nc_u32 v2, 30, v2 :: v_dual_bitop2_b32 v20, 3, v20 bitop3:0x40
; %bb.2575:                             ;   in Loop: Header=BB4_2382 Depth=2
	s_or_b32 exec_lo, exec_lo, s43
	v_lshlrev_b32_e32 v21, 24, v30
                                        ; implicit-def: $vgpr30
	s_delay_alu instid0(VALU_DEP_1) | instskip(NEXT) | instid1(VALU_DEP_1)
	v_and_b32_e32 v21, 0x80000000, v21
	v_lshl_add_u32 v2, v2, 23, v21
	s_delay_alu instid0(VALU_DEP_1) | instskip(NEXT) | instid1(VALU_DEP_1)
	v_lshl_or_b32 v2, v20, 21, v2
                                        ; implicit-def: $vgpr20
	v_add_nc_u32_e32 v2, 0x38000000, v2
.LBB4_2576:                             ;   in Loop: Header=BB4_2382 Depth=2
	s_and_not1_saveexec_b32 s42, s42
; %bb.2577:                             ;   in Loop: Header=BB4_2382 Depth=2
	v_bfe_i32 v2, v30, 0, 8
	s_delay_alu instid0(VALU_DEP_1) | instskip(SKIP_2) | instid1(VALU_DEP_2)
	v_cmp_lt_i16_e32 vcc_lo, -1, v2
	v_cndmask_b32_e32 v2, 0xff800000, v126, vcc_lo
	v_cmp_eq_u32_e32 vcc_lo, 0, v20
	v_cndmask_b32_e32 v2, 0x7f800001, v2, vcc_lo
; %bb.2578:                             ;   in Loop: Header=BB4_2382 Depth=2
	s_or_b32 exec_lo, exec_lo, s42
.LBB4_2579:                             ;   in Loop: Header=BB4_2382 Depth=2
	s_delay_alu instid0(SALU_CYCLE_1)
	s_or_b32 exec_lo, exec_lo, s41
.LBB4_2580:                             ;   in Loop: Header=BB4_2382 Depth=2
	s_delay_alu instid0(SALU_CYCLE_1) | instskip(NEXT) | instid1(VALU_DEP_1)
	s_or_b32 exec_lo, exec_lo, s11
	v_dual_mul_f32 v30, s40, v2 :: v_dual_mov_b32 v21, v39
                                        ; implicit-def: $vgpr43
	s_mov_b32 s11, exec_lo
	s_delay_alu instid0(VALU_DEP_1) | instskip(SKIP_2) | instid1(VALU_DEP_3)
	v_and_b32_e32 v20, 0x7f800000, v30
	v_and_b32_e32 v38, 0x7fffff, v30
	v_lshrrev_b32_e32 v2, 24, v30
	v_cmpx_ne_u64_e32 0x7f800000, v[20:21]
	s_xor_b32 s41, exec_lo, s11
	s_cbranch_execz .LBB4_2594
; %bb.2581:                             ;   in Loop: Header=BB4_2382 Depth=2
	v_and_b32_e32 v20, 0x7fffffff, v30
	v_mov_b32_e32 v21, v39
	v_and_b32_e32 v2, 0x80, v2
                                        ; implicit-def: $vgpr43
	s_mov_b32 s11, exec_lo
	s_delay_alu instid0(VALU_DEP_2)
	v_cmpx_gt_u64_e32 0x47600001, v[20:21]
	s_xor_b32 s42, exec_lo, s11
	s_cbranch_execz .LBB4_2591
; %bb.2582:                             ;   in Loop: Header=BB4_2382 Depth=2
	v_mov_b32_e32 v43, 0
	s_mov_b32 s43, exec_lo
	v_cmpx_ne_u32_e32 0, v30
	s_cbranch_execz .LBB4_2590
; %bb.2583:                             ;   in Loop: Header=BB4_2382 Depth=2
	v_bfe_u32 v20, v30, 23, 8
	v_or_b32_e32 v30, 0x800000, v38
	v_mov_b32_e32 v31, v39
	s_delay_alu instid0(VALU_DEP_3) | instskip(SKIP_1) | instid1(VALU_DEP_2)
	v_sub_nc_u32_e32 v21, 0x71, v20
	v_cmp_gt_u32_e32 vcc_lo, 0x72, v20
	v_cndmask_b32_e32 v21, 0, v21, vcc_lo
	v_cmp_eq_u32_e32 vcc_lo, 0, v20
	s_delay_alu instid0(VALU_DEP_2) | instskip(NEXT) | instid1(VALU_DEP_1)
	v_cndmask_b32_e64 v21, v21, 0x70, vcc_lo
	v_dual_cndmask_b32 v30, v30, v38, vcc_lo :: v_dual_add_nc_u32 v24, 21, v21
	v_add_nc_u32_e32 v96, 20, v21
	s_delay_alu instid0(VALU_DEP_2) | instskip(NEXT) | instid1(VALU_DEP_2)
	v_lshlrev_b64_e64 v[24:25], v24, -1
	v_lshlrev_b64_e64 v[98:99], v96, 1
	s_delay_alu instid0(VALU_DEP_4) | instskip(NEXT) | instid1(VALU_DEP_3)
	v_lshrrev_b64 v[96:97], v21, v[30:31]
	v_bfi_b32 v25, v25, 0, 0
	s_delay_alu instid0(VALU_DEP_4) | instskip(NEXT) | instid1(VALU_DEP_1)
	v_bfi_b32 v24, v24, 0, v30
	v_cmp_eq_u64_e64 s11, v[24:25], v[98:99]
	s_delay_alu instid0(VALU_DEP_4)
	v_mov_b64_e32 v[98:99], v[96:97]
	s_and_saveexec_b32 s44, s11
; %bb.2584:                             ;   in Loop: Header=BB4_2382 Depth=2
	v_bfe_u32 v24, v96, 21, 1
	v_mov_b32_e32 v25, v39
	s_delay_alu instid0(VALU_DEP_1) | instskip(NEXT) | instid1(VALU_DEP_1)
	v_add_nc_u64_e32 v[24:25], v[96:97], v[24:25]
	v_add_nc_u64_e32 v[98:99], -1, v[24:25]
; %bb.2585:                             ;   in Loop: Header=BB4_2382 Depth=2
	s_or_b32 exec_lo, exec_lo, s44
	v_add_nc_u32_e32 v20, 0xffffff81, v20
	v_lshrrev_b32_e32 v24, 23, v96
	s_mov_b32 s11, exec_lo
	s_delay_alu instid0(VALU_DEP_2) | instskip(NEXT) | instid1(VALU_DEP_1)
	v_cndmask_b32_e64 v20, v20, 0xffffff82, vcc_lo
	v_add3_u32 v21, v21, v20, v24
	v_and_b32_e32 v20, 0x1fffff, v98
	s_delay_alu instid0(VALU_DEP_1) | instskip(NEXT) | instid1(VALU_DEP_1)
	v_dual_add_nc_u32 v30, 14, v21 :: v_dual_add_nc_u32 v38, v20, v96
                                        ; implicit-def: $vgpr96_vgpr97
                                        ; implicit-def: $vgpr20
	v_cmpx_ne_u32_e32 0, v30
	s_xor_b32 s11, exec_lo, s11
; %bb.2586:                             ;   in Loop: Header=BB4_2382 Depth=2
	s_delay_alu instid0(VALU_DEP_2) | instskip(SKIP_2) | instid1(VALU_DEP_2)
	v_cmp_lt_u64_e32 vcc_lo, 0xffffff, v[38:39]
	v_add_nc_u32_e32 v20, 15, v21
	v_cndmask_b32_e64 v21, 0, 1, vcc_lo
	v_cndmask_b32_e32 v20, v30, v20, vcc_lo
	s_delay_alu instid0(VALU_DEP_2)
	v_lshrrev_b64 v[96:97], v21, v[38:39]
; %bb.2587:                             ;   in Loop: Header=BB4_2382 Depth=2
	s_and_not1_saveexec_b32 s11, s11
; %bb.2588:                             ;   in Loop: Header=BB4_2382 Depth=2
	v_mov_b64_e32 v[96:97], v[38:39]
	v_bfe_u32 v20, v38, 23, 1
; %bb.2589:                             ;   in Loop: Header=BB4_2382 Depth=2
	s_or_b32 exec_lo, exec_lo, s11
	s_delay_alu instid0(VALU_DEP_2) | instskip(NEXT) | instid1(VALU_DEP_2)
	v_lshrrev_b64 v[24:25], 21, v[96:97]
	v_cmp_gt_i32_e32 vcc_lo, 32, v20
	v_min_i32_e32 v21, 31, v20
	v_cmp_eq_u32_e64 s11, 0, v20
	s_delay_alu instid0(VALU_DEP_4) | instskip(NEXT) | instid1(VALU_DEP_3)
	v_cndmask_b32_e32 v25, 0, v25, vcc_lo
	v_dual_cndmask_b32 v24, 3, v24 :: v_dual_lshlrev_b32 v21, 2, v21
	s_delay_alu instid0(VALU_DEP_1) | instskip(NEXT) | instid1(VALU_DEP_2)
	v_and_b32_e32 v21, 0xfc, v21
	v_cmp_eq_u64_e32 vcc_lo, 0, v[24:25]
	s_delay_alu instid0(VALU_DEP_2)
	v_and_or_b32 v20, v24, 3, v21
	s_and_b32 s11, s11, vcc_lo
	s_delay_alu instid0(VALU_DEP_1) | instid1(SALU_CYCLE_1)
	v_cndmask_b32_e64 v20, v20, 0, s11
	s_delay_alu instid0(VALU_DEP_1)
	v_or_b32_e32 v43, v20, v2
.LBB4_2590:                             ;   in Loop: Header=BB4_2382 Depth=2
	s_or_b32 exec_lo, exec_lo, s43
                                        ; implicit-def: $vgpr2
.LBB4_2591:                             ;   in Loop: Header=BB4_2382 Depth=2
	s_and_not1_saveexec_b32 s11, s42
; %bb.2592:                             ;   in Loop: Header=BB4_2382 Depth=2
	v_or_b32_e32 v43, 0x7b, v2
; %bb.2593:                             ;   in Loop: Header=BB4_2382 Depth=2
	s_or_b32 exec_lo, exec_lo, s11
                                        ; implicit-def: $vgpr30
                                        ; implicit-def: $vgpr2
.LBB4_2594:                             ;   in Loop: Header=BB4_2382 Depth=2
	s_and_not1_saveexec_b32 s11, s41
	s_cbranch_execz .LBB4_2600
; %bb.2595:                             ;   in Loop: Header=BB4_2382 Depth=2
	s_mov_b32 s41, exec_lo
                                        ; implicit-def: $vgpr43
	v_cmpx_ne_u64_e32 0, v[38:39]
	s_xor_b32 s41, exec_lo, s41
; %bb.2596:                             ;   in Loop: Header=BB4_2382 Depth=2
	v_or_b32_e32 v43, 0x7f, v2
                                        ; implicit-def: $vgpr30
; %bb.2597:                             ;   in Loop: Header=BB4_2382 Depth=2
	s_and_not1_saveexec_b32 s41, s41
; %bb.2598:                             ;   in Loop: Header=BB4_2382 Depth=2
	v_cmp_lt_i32_e32 vcc_lo, -1, v30
	v_cndmask_b32_e32 v43, 0xfc, v122, vcc_lo
; %bb.2599:                             ;   in Loop: Header=BB4_2382 Depth=2
	s_or_b32 exec_lo, exec_lo, s41
.LBB4_2600:                             ;   in Loop: Header=BB4_2382 Depth=2
	s_delay_alu instid0(SALU_CYCLE_1)
	s_or_b32 exec_lo, exec_lo, s11
	v_mov_b32_e32 v2, 0
	s_mov_b32 s11, exec_lo
	v_cmpx_lt_u64_e64 s[12:13], v[10:11]
	s_cbranch_execz .LBB4_2610
; %bb.2601:                             ;   in Loop: Header=BB4_2382 Depth=2
	v_lshrrev_b32_e32 v30, 24, v11
	v_bfrev_b32_e32 v2, 1
	s_mov_b32 s41, exec_lo
	s_delay_alu instid0(VALU_DEP_2)
	v_cmpx_ne_u32_e32 0x80, v30
	s_cbranch_execz .LBB4_2609
; %bb.2602:                             ;   in Loop: Header=BB4_2382 Depth=2
	v_and_b32_e32 v2, 0x7c000000, v11
	v_bfe_u32 v20, v11, 24, 2
	s_delay_alu instid0(VALU_DEP_2) | instskip(SKIP_1) | instid1(SALU_CYCLE_1)
	v_cmp_ne_u32_e32 vcc_lo, 0x7c000000, v2
                                        ; implicit-def: $vgpr2
	s_and_saveexec_b32 s42, vcc_lo
	s_xor_b32 s42, exec_lo, s42
	s_cbranch_execz .LBB4_2606
; %bb.2603:                             ;   in Loop: Header=BB4_2382 Depth=2
	v_bfe_u32 v2, v11, 26, 5
	s_mov_b32 s43, exec_lo
	s_delay_alu instid0(VALU_DEP_1)
	v_cmpx_eq_u32_e32 0, v2
; %bb.2604:                             ;   in Loop: Header=BB4_2382 Depth=2
	v_clz_i32_u32_e32 v2, v20
	s_delay_alu instid0(VALU_DEP_1) | instskip(NEXT) | instid1(VALU_DEP_1)
	v_min_u32_e32 v2, 32, v2
	v_subrev_nc_u32_e32 v20, 29, v2
	s_delay_alu instid0(VALU_DEP_1) | instskip(NEXT) | instid1(VALU_DEP_1)
	v_lshlrev_b64_e32 v[20:21], v20, v[30:31]
	v_dual_sub_nc_u32 v2, 30, v2 :: v_dual_bitop2_b32 v20, 3, v20 bitop3:0x40
; %bb.2605:                             ;   in Loop: Header=BB4_2382 Depth=2
	s_or_b32 exec_lo, exec_lo, s43
	v_and_b32_e32 v21, 0x80000000, v11
	s_delay_alu instid0(VALU_DEP_1) | instskip(NEXT) | instid1(VALU_DEP_1)
	v_lshl_add_u32 v2, v2, 23, v21
	v_lshl_or_b32 v2, v20, 21, v2
                                        ; implicit-def: $vgpr20
	s_delay_alu instid0(VALU_DEP_1)
	v_add_nc_u32_e32 v2, 0x38000000, v2
.LBB4_2606:                             ;   in Loop: Header=BB4_2382 Depth=2
	s_and_not1_saveexec_b32 s42, s42
; %bb.2607:                             ;   in Loop: Header=BB4_2382 Depth=2
	v_cmp_lt_i64_e32 vcc_lo, -1, v[10:11]
	v_cndmask_b32_e32 v2, 0xff800000, v126, vcc_lo
	v_cmp_eq_u32_e32 vcc_lo, 0, v20
	s_delay_alu instid0(VALU_DEP_2)
	v_cndmask_b32_e32 v2, 0x7f800001, v2, vcc_lo
; %bb.2608:                             ;   in Loop: Header=BB4_2382 Depth=2
	s_or_b32 exec_lo, exec_lo, s42
.LBB4_2609:                             ;   in Loop: Header=BB4_2382 Depth=2
	s_delay_alu instid0(SALU_CYCLE_1)
	s_or_b32 exec_lo, exec_lo, s41
.LBB4_2610:                             ;   in Loop: Header=BB4_2382 Depth=2
	s_delay_alu instid0(SALU_CYCLE_1) | instskip(NEXT) | instid1(VALU_DEP_1)
	s_or_b32 exec_lo, exec_lo, s11
	v_dual_mul_f32 v10, s40, v2 :: v_dual_mov_b32 v21, v39
                                        ; implicit-def: $vgpr44
	s_mov_b32 s11, exec_lo
	s_delay_alu instid0(VALU_DEP_1) | instskip(SKIP_2) | instid1(VALU_DEP_3)
	v_and_b32_e32 v20, 0x7f800000, v10
	v_and_b32_e32 v38, 0x7fffff, v10
	v_lshrrev_b32_e32 v2, 24, v10
	v_cmpx_ne_u64_e32 0x7f800000, v[20:21]
	s_xor_b32 s41, exec_lo, s11
	s_cbranch_execz .LBB4_2624
; %bb.2611:                             ;   in Loop: Header=BB4_2382 Depth=2
	v_and_b32_e32 v20, 0x7fffffff, v10
	v_mov_b32_e32 v21, v39
	v_and_b32_e32 v2, 0x80, v2
                                        ; implicit-def: $vgpr44
	s_mov_b32 s11, exec_lo
	s_delay_alu instid0(VALU_DEP_2)
	v_cmpx_gt_u64_e32 0x47600001, v[20:21]
	s_xor_b32 s42, exec_lo, s11
	s_cbranch_execz .LBB4_2621
; %bb.2612:                             ;   in Loop: Header=BB4_2382 Depth=2
	v_mov_b32_e32 v44, 0
	s_mov_b32 s43, exec_lo
	v_cmpx_ne_u32_e32 0, v10
	s_cbranch_execz .LBB4_2620
; %bb.2613:                             ;   in Loop: Header=BB4_2382 Depth=2
	v_bfe_u32 v20, v10, 23, 8
	v_or_b32_e32 v24, 0x800000, v38
	s_delay_alu instid0(VALU_DEP_2) | instskip(SKIP_1) | instid1(VALU_DEP_2)
	v_dual_mov_b32 v25, v39 :: v_dual_sub_nc_u32 v10, 0x71, v20
	v_cmp_gt_u32_e32 vcc_lo, 0x72, v20
	v_cndmask_b32_e32 v10, 0, v10, vcc_lo
	v_cmp_eq_u32_e32 vcc_lo, 0, v20
	s_delay_alu instid0(VALU_DEP_2) | instskip(NEXT) | instid1(VALU_DEP_1)
	v_cndmask_b32_e64 v21, v10, 0x70, vcc_lo
	v_dual_cndmask_b32 v24, v24, v38, vcc_lo :: v_dual_add_nc_u32 v10, 21, v21
	v_add_nc_u32_e32 v30, 20, v21
	s_delay_alu instid0(VALU_DEP_2) | instskip(NEXT) | instid1(VALU_DEP_2)
	v_lshlrev_b64_e64 v[10:11], v10, -1
	v_lshlrev_b64_e64 v[30:31], v30, 1
	s_delay_alu instid0(VALU_DEP_2) | instskip(NEXT) | instid1(VALU_DEP_3)
	v_bfi_b32 v97, v11, 0, 0
	v_bfi_b32 v96, v10, 0, v24
	v_lshrrev_b64 v[10:11], v21, v[24:25]
	s_delay_alu instid0(VALU_DEP_2) | instskip(NEXT) | instid1(VALU_DEP_2)
	v_cmp_eq_u64_e64 s11, v[96:97], v[30:31]
	v_mov_b64_e32 v[96:97], v[10:11]
	s_and_saveexec_b32 s44, s11
; %bb.2614:                             ;   in Loop: Header=BB4_2382 Depth=2
	v_bfe_u32 v24, v10, 21, 1
	v_mov_b32_e32 v25, v39
	s_delay_alu instid0(VALU_DEP_1) | instskip(NEXT) | instid1(VALU_DEP_1)
	v_add_nc_u64_e32 v[24:25], v[10:11], v[24:25]
	v_add_nc_u64_e32 v[96:97], -1, v[24:25]
; %bb.2615:                             ;   in Loop: Header=BB4_2382 Depth=2
	s_or_b32 exec_lo, exec_lo, s44
	v_add_nc_u32_e32 v11, 0xffffff81, v20
	v_lshrrev_b32_e32 v20, 23, v10
	s_mov_b32 s11, exec_lo
	s_delay_alu instid0(VALU_DEP_2) | instskip(NEXT) | instid1(VALU_DEP_1)
	v_cndmask_b32_e64 v11, v11, 0xffffff82, vcc_lo
	v_add3_u32 v21, v21, v11, v20
	v_and_b32_e32 v11, 0x1fffff, v96
                                        ; implicit-def: $vgpr20
	s_delay_alu instid0(VALU_DEP_1) | instskip(NEXT) | instid1(VALU_DEP_1)
	v_dual_add_nc_u32 v30, 14, v21 :: v_dual_add_nc_u32 v38, v11, v10
                                        ; implicit-def: $vgpr10_vgpr11
	v_cmpx_ne_u32_e32 0, v30
	s_xor_b32 s11, exec_lo, s11
; %bb.2616:                             ;   in Loop: Header=BB4_2382 Depth=2
	s_delay_alu instid0(VALU_DEP_2) | instskip(SKIP_1) | instid1(VALU_DEP_1)
	v_cmp_lt_u64_e32 vcc_lo, 0xffffff, v[38:39]
	v_add_nc_u32_e32 v10, 15, v21
	v_cndmask_b32_e32 v20, v30, v10, vcc_lo
	v_cndmask_b32_e64 v10, 0, 1, vcc_lo
	s_delay_alu instid0(VALU_DEP_1)
	v_lshrrev_b64 v[10:11], v10, v[38:39]
; %bb.2617:                             ;   in Loop: Header=BB4_2382 Depth=2
	s_and_not1_saveexec_b32 s11, s11
; %bb.2618:                             ;   in Loop: Header=BB4_2382 Depth=2
	v_mov_b64_e32 v[10:11], v[38:39]
	v_bfe_u32 v20, v38, 23, 1
; %bb.2619:                             ;   in Loop: Header=BB4_2382 Depth=2
	s_or_b32 exec_lo, exec_lo, s11
	s_delay_alu instid0(VALU_DEP_2) | instskip(NEXT) | instid1(VALU_DEP_2)
	v_lshrrev_b64 v[10:11], 21, v[10:11]
	v_cmp_gt_i32_e32 vcc_lo, 32, v20
	v_min_i32_e32 v21, 31, v20
	v_cmp_eq_u32_e64 s11, 0, v20
	s_delay_alu instid0(VALU_DEP_2) | instskip(SKIP_1) | instid1(VALU_DEP_2)
	v_dual_cndmask_b32 v11, 0, v11, vcc_lo :: v_dual_lshlrev_b32 v21, 2, v21
	v_cndmask_b32_e32 v10, 3, v10, vcc_lo
	v_and_b32_e32 v21, 0xfc, v21
	s_delay_alu instid0(VALU_DEP_2) | instskip(NEXT) | instid1(VALU_DEP_2)
	v_cmp_eq_u64_e32 vcc_lo, 0, v[10:11]
	v_and_or_b32 v10, v10, 3, v21
	s_and_b32 s11, s11, vcc_lo
	s_delay_alu instid0(VALU_DEP_1) | instid1(SALU_CYCLE_1)
	v_cndmask_b32_e64 v10, v10, 0, s11
	s_delay_alu instid0(VALU_DEP_1)
	v_or_b32_e32 v44, v10, v2
.LBB4_2620:                             ;   in Loop: Header=BB4_2382 Depth=2
	s_or_b32 exec_lo, exec_lo, s43
                                        ; implicit-def: $vgpr2
.LBB4_2621:                             ;   in Loop: Header=BB4_2382 Depth=2
	s_and_not1_saveexec_b32 s11, s42
; %bb.2622:                             ;   in Loop: Header=BB4_2382 Depth=2
	v_or_b32_e32 v44, 0x7b, v2
; %bb.2623:                             ;   in Loop: Header=BB4_2382 Depth=2
	s_or_b32 exec_lo, exec_lo, s11
                                        ; implicit-def: $vgpr10
                                        ; implicit-def: $vgpr2
.LBB4_2624:                             ;   in Loop: Header=BB4_2382 Depth=2
	s_and_not1_saveexec_b32 s11, s41
	s_cbranch_execz .LBB4_2630
; %bb.2625:                             ;   in Loop: Header=BB4_2382 Depth=2
	s_mov_b32 s41, exec_lo
                                        ; implicit-def: $vgpr44
	v_cmpx_ne_u64_e32 0, v[38:39]
	s_xor_b32 s41, exec_lo, s41
; %bb.2626:                             ;   in Loop: Header=BB4_2382 Depth=2
	v_or_b32_e32 v44, 0x7f, v2
                                        ; implicit-def: $vgpr10
; %bb.2627:                             ;   in Loop: Header=BB4_2382 Depth=2
	s_and_not1_saveexec_b32 s41, s41
; %bb.2628:                             ;   in Loop: Header=BB4_2382 Depth=2
	v_cmp_lt_i32_e32 vcc_lo, -1, v10
	v_cndmask_b32_e32 v44, 0xfc, v122, vcc_lo
; %bb.2629:                             ;   in Loop: Header=BB4_2382 Depth=2
	s_or_b32 exec_lo, exec_lo, s41
.LBB4_2630:                             ;   in Loop: Header=BB4_2382 Depth=2
	s_delay_alu instid0(SALU_CYCLE_1) | instskip(SKIP_1) | instid1(VALU_DEP_1)
	s_or_b32 exec_lo, exec_lo, s11
	v_and_b32_e32 v2, 0xff, v12
	v_cmp_ne_u16_e32 vcc_lo, 0, v2
	v_mov_b32_e32 v2, 0
	s_and_saveexec_b32 s11, vcc_lo
	s_cbranch_execz .LBB4_2640
; %bb.2631:                             ;   in Loop: Header=BB4_2382 Depth=2
	v_bfe_i32 v11, v12, 0, 8
	v_bfrev_b32_e32 v2, 1
	s_mov_b32 s41, exec_lo
	s_delay_alu instid0(VALU_DEP_2)
	v_cmpx_ne_u16_e32 0xff80, v11
	s_cbranch_execz .LBB4_2639
; %bb.2632:                             ;   in Loop: Header=BB4_2382 Depth=2
	v_and_b32_e32 v2, 0x7c, v12
	v_and_b32_e32 v10, 3, v12
	s_delay_alu instid0(VALU_DEP_2) | instskip(SKIP_1) | instid1(SALU_CYCLE_1)
	v_cmp_ne_u32_e32 vcc_lo, 0x7c, v2
                                        ; implicit-def: $vgpr2
	s_and_saveexec_b32 s42, vcc_lo
	s_xor_b32 s42, exec_lo, s42
	s_cbranch_execz .LBB4_2636
; %bb.2633:                             ;   in Loop: Header=BB4_2382 Depth=2
	v_bfe_u32 v2, v12, 2, 5
	s_mov_b32 s43, exec_lo
	s_delay_alu instid0(VALU_DEP_1)
	v_cmpx_eq_u32_e32 0, v2
; %bb.2634:                             ;   in Loop: Header=BB4_2382 Depth=2
	v_clz_i32_u32_e32 v2, v10
	s_delay_alu instid0(VALU_DEP_1) | instskip(NEXT) | instid1(VALU_DEP_1)
	v_min_u32_e32 v2, 32, v2
	v_subrev_nc_u32_e32 v10, 29, v2
	v_sub_nc_u32_e32 v2, 30, v2
	s_delay_alu instid0(VALU_DEP_2) | instskip(NEXT) | instid1(VALU_DEP_1)
	v_lshlrev_b64_e32 v[10:11], v10, v[12:13]
	v_and_b32_e32 v10, 3, v10
; %bb.2635:                             ;   in Loop: Header=BB4_2382 Depth=2
	s_or_b32 exec_lo, exec_lo, s43
	v_lshlrev_b32_e32 v11, 24, v12
	s_delay_alu instid0(VALU_DEP_1) | instskip(NEXT) | instid1(VALU_DEP_1)
	v_and_b32_e32 v11, 0x80000000, v11
	v_lshl_add_u32 v2, v2, 23, v11
                                        ; implicit-def: $vgpr11
	s_delay_alu instid0(VALU_DEP_1) | instskip(NEXT) | instid1(VALU_DEP_1)
	v_lshl_or_b32 v2, v10, 21, v2
                                        ; implicit-def: $vgpr10
	v_add_nc_u32_e32 v2, 0x38000000, v2
.LBB4_2636:                             ;   in Loop: Header=BB4_2382 Depth=2
	s_and_not1_saveexec_b32 s42, s42
; %bb.2637:                             ;   in Loop: Header=BB4_2382 Depth=2
	v_cmp_lt_i16_e32 vcc_lo, -1, v11
	v_cndmask_b32_e32 v2, 0xff800000, v126, vcc_lo
	v_cmp_eq_u32_e32 vcc_lo, 0, v10
	s_delay_alu instid0(VALU_DEP_2)
	v_cndmask_b32_e32 v2, 0x7f800001, v2, vcc_lo
; %bb.2638:                             ;   in Loop: Header=BB4_2382 Depth=2
	s_or_b32 exec_lo, exec_lo, s42
.LBB4_2639:                             ;   in Loop: Header=BB4_2382 Depth=2
	s_delay_alu instid0(SALU_CYCLE_1)
	s_or_b32 exec_lo, exec_lo, s41
.LBB4_2640:                             ;   in Loop: Header=BB4_2382 Depth=2
	s_delay_alu instid0(SALU_CYCLE_1) | instskip(NEXT) | instid1(VALU_DEP_1)
	s_or_b32 exec_lo, exec_lo, s11
	v_dual_mul_f32 v10, s40, v2 :: v_dual_mov_b32 v21, v39
                                        ; implicit-def: $vgpr113
	s_mov_b32 s11, exec_lo
	s_delay_alu instid0(VALU_DEP_1) | instskip(SKIP_2) | instid1(VALU_DEP_3)
	v_and_b32_e32 v20, 0x7f800000, v10
	v_and_b32_e32 v38, 0x7fffff, v10
	v_lshrrev_b32_e32 v2, 24, v10
	v_cmpx_ne_u64_e32 0x7f800000, v[20:21]
	s_xor_b32 s41, exec_lo, s11
	s_cbranch_execz .LBB4_2654
; %bb.2641:                             ;   in Loop: Header=BB4_2382 Depth=2
	v_and_b32_e32 v20, 0x7fffffff, v10
	v_mov_b32_e32 v21, v39
	v_and_b32_e32 v2, 0x80, v2
                                        ; implicit-def: $vgpr113
	s_mov_b32 s11, exec_lo
	s_delay_alu instid0(VALU_DEP_2)
	v_cmpx_gt_u64_e32 0x47600001, v[20:21]
	s_xor_b32 s42, exec_lo, s11
	s_cbranch_execz .LBB4_2651
; %bb.2642:                             ;   in Loop: Header=BB4_2382 Depth=2
	v_mov_b32_e32 v113, 0
	s_mov_b32 s43, exec_lo
	v_cmpx_ne_u32_e32 0, v10
	s_cbranch_execz .LBB4_2650
; %bb.2643:                             ;   in Loop: Header=BB4_2382 Depth=2
	v_bfe_u32 v20, v10, 23, 8
	v_or_b32_e32 v24, 0x800000, v38
	s_delay_alu instid0(VALU_DEP_2) | instskip(SKIP_1) | instid1(VALU_DEP_2)
	v_dual_mov_b32 v25, v39 :: v_dual_sub_nc_u32 v10, 0x71, v20
	v_cmp_gt_u32_e32 vcc_lo, 0x72, v20
	v_cndmask_b32_e32 v10, 0, v10, vcc_lo
	v_cmp_eq_u32_e32 vcc_lo, 0, v20
	s_delay_alu instid0(VALU_DEP_2) | instskip(NEXT) | instid1(VALU_DEP_1)
	v_cndmask_b32_e64 v21, v10, 0x70, vcc_lo
	v_dual_cndmask_b32 v24, v24, v38, vcc_lo :: v_dual_add_nc_u32 v10, 21, v21
	v_add_nc_u32_e32 v30, 20, v21
	s_delay_alu instid0(VALU_DEP_2) | instskip(NEXT) | instid1(VALU_DEP_2)
	v_lshlrev_b64_e64 v[10:11], v10, -1
	v_lshlrev_b64_e64 v[30:31], v30, 1
	s_delay_alu instid0(VALU_DEP_2) | instskip(NEXT) | instid1(VALU_DEP_3)
	v_bfi_b32 v97, v11, 0, 0
	v_bfi_b32 v96, v10, 0, v24
	v_lshrrev_b64 v[10:11], v21, v[24:25]
	s_delay_alu instid0(VALU_DEP_2) | instskip(NEXT) | instid1(VALU_DEP_2)
	v_cmp_eq_u64_e64 s11, v[96:97], v[30:31]
	v_mov_b64_e32 v[96:97], v[10:11]
	s_and_saveexec_b32 s44, s11
; %bb.2644:                             ;   in Loop: Header=BB4_2382 Depth=2
	v_bfe_u32 v24, v10, 21, 1
	v_mov_b32_e32 v25, v39
	s_delay_alu instid0(VALU_DEP_1) | instskip(NEXT) | instid1(VALU_DEP_1)
	v_add_nc_u64_e32 v[24:25], v[10:11], v[24:25]
	v_add_nc_u64_e32 v[96:97], -1, v[24:25]
; %bb.2645:                             ;   in Loop: Header=BB4_2382 Depth=2
	s_or_b32 exec_lo, exec_lo, s44
	v_add_nc_u32_e32 v11, 0xffffff81, v20
	v_lshrrev_b32_e32 v20, 23, v10
	s_mov_b32 s11, exec_lo
	s_delay_alu instid0(VALU_DEP_2) | instskip(NEXT) | instid1(VALU_DEP_1)
	v_cndmask_b32_e64 v11, v11, 0xffffff82, vcc_lo
	v_add3_u32 v21, v21, v11, v20
	v_and_b32_e32 v11, 0x1fffff, v96
                                        ; implicit-def: $vgpr20
	s_delay_alu instid0(VALU_DEP_1) | instskip(NEXT) | instid1(VALU_DEP_1)
	v_dual_add_nc_u32 v30, 14, v21 :: v_dual_add_nc_u32 v38, v11, v10
                                        ; implicit-def: $vgpr10_vgpr11
	v_cmpx_ne_u32_e32 0, v30
	s_xor_b32 s11, exec_lo, s11
; %bb.2646:                             ;   in Loop: Header=BB4_2382 Depth=2
	s_delay_alu instid0(VALU_DEP_2) | instskip(SKIP_1) | instid1(VALU_DEP_1)
	v_cmp_lt_u64_e32 vcc_lo, 0xffffff, v[38:39]
	v_add_nc_u32_e32 v10, 15, v21
	v_cndmask_b32_e32 v20, v30, v10, vcc_lo
	v_cndmask_b32_e64 v10, 0, 1, vcc_lo
	s_delay_alu instid0(VALU_DEP_1)
	v_lshrrev_b64 v[10:11], v10, v[38:39]
; %bb.2647:                             ;   in Loop: Header=BB4_2382 Depth=2
	s_and_not1_saveexec_b32 s11, s11
; %bb.2648:                             ;   in Loop: Header=BB4_2382 Depth=2
	v_mov_b64_e32 v[10:11], v[38:39]
	v_bfe_u32 v20, v38, 23, 1
; %bb.2649:                             ;   in Loop: Header=BB4_2382 Depth=2
	s_or_b32 exec_lo, exec_lo, s11
	s_delay_alu instid0(VALU_DEP_2) | instskip(NEXT) | instid1(VALU_DEP_2)
	v_lshrrev_b64 v[10:11], 21, v[10:11]
	v_cmp_gt_i32_e32 vcc_lo, 32, v20
	v_min_i32_e32 v21, 31, v20
	v_cmp_eq_u32_e64 s11, 0, v20
	s_delay_alu instid0(VALU_DEP_2) | instskip(SKIP_1) | instid1(VALU_DEP_2)
	v_dual_cndmask_b32 v11, 0, v11, vcc_lo :: v_dual_lshlrev_b32 v21, 2, v21
	v_cndmask_b32_e32 v10, 3, v10, vcc_lo
	v_and_b32_e32 v21, 0xfc, v21
	s_delay_alu instid0(VALU_DEP_2) | instskip(NEXT) | instid1(VALU_DEP_2)
	v_cmp_eq_u64_e32 vcc_lo, 0, v[10:11]
	v_and_or_b32 v10, v10, 3, v21
	s_and_b32 s11, s11, vcc_lo
	s_delay_alu instid0(VALU_DEP_1) | instid1(SALU_CYCLE_1)
	v_cndmask_b32_e64 v10, v10, 0, s11
	s_delay_alu instid0(VALU_DEP_1)
	v_or_b32_e32 v113, v10, v2
.LBB4_2650:                             ;   in Loop: Header=BB4_2382 Depth=2
	s_or_b32 exec_lo, exec_lo, s43
                                        ; implicit-def: $vgpr2
.LBB4_2651:                             ;   in Loop: Header=BB4_2382 Depth=2
	s_and_not1_saveexec_b32 s11, s42
; %bb.2652:                             ;   in Loop: Header=BB4_2382 Depth=2
	v_or_b32_e32 v113, 0x7b, v2
; %bb.2653:                             ;   in Loop: Header=BB4_2382 Depth=2
	s_or_b32 exec_lo, exec_lo, s11
                                        ; implicit-def: $vgpr10
                                        ; implicit-def: $vgpr2
.LBB4_2654:                             ;   in Loop: Header=BB4_2382 Depth=2
	s_and_not1_saveexec_b32 s11, s41
	s_cbranch_execz .LBB4_2660
; %bb.2655:                             ;   in Loop: Header=BB4_2382 Depth=2
	s_mov_b32 s41, exec_lo
                                        ; implicit-def: $vgpr113
	v_cmpx_ne_u64_e32 0, v[38:39]
	s_xor_b32 s41, exec_lo, s41
; %bb.2656:                             ;   in Loop: Header=BB4_2382 Depth=2
	v_or_b32_e32 v113, 0x7f, v2
                                        ; implicit-def: $vgpr10
; %bb.2657:                             ;   in Loop: Header=BB4_2382 Depth=2
	s_and_not1_saveexec_b32 s41, s41
; %bb.2658:                             ;   in Loop: Header=BB4_2382 Depth=2
	v_cmp_lt_i32_e32 vcc_lo, -1, v10
	v_cndmask_b32_e32 v113, 0xfc, v122, vcc_lo
; %bb.2659:                             ;   in Loop: Header=BB4_2382 Depth=2
	s_or_b32 exec_lo, exec_lo, s41
.LBB4_2660:                             ;   in Loop: Header=BB4_2382 Depth=2
	s_delay_alu instid0(SALU_CYCLE_1) | instskip(SKIP_3) | instid1(VALU_DEP_2)
	s_or_b32 exec_lo, exec_lo, s11
	v_lshrrev_b16 v10, 8, v12
	v_mov_b32_e32 v11, 0
	s_mov_b32 s11, exec_lo
	v_cmpx_ne_u16_e32 0, v10
	s_cbranch_execz .LBB4_2670
; %bb.2661:                             ;   in Loop: Header=BB4_2382 Depth=2
	v_bfrev_b32_e32 v11, 1
	s_mov_b32 s41, exec_lo
	v_cmpx_ne_u16_e32 0x80, v10
	s_cbranch_execz .LBB4_2669
; %bb.2662:                             ;   in Loop: Header=BB4_2382 Depth=2
	v_and_b32_e32 v20, 0xffff, v10
	s_delay_alu instid0(VALU_DEP_1) | instskip(SKIP_1) | instid1(VALU_DEP_2)
	v_and_b32_e32 v11, 0x7c, v20
	v_and_b32_e32 v2, 3, v20
	v_cmp_ne_u32_e32 vcc_lo, 0x7c, v11
                                        ; implicit-def: $vgpr11
	s_and_saveexec_b32 s42, vcc_lo
	s_delay_alu instid0(SALU_CYCLE_1)
	s_xor_b32 s42, exec_lo, s42
	s_cbranch_execz .LBB4_2666
; %bb.2663:                             ;   in Loop: Header=BB4_2382 Depth=2
	v_bfe_u32 v11, v20, 2, 5
	s_mov_b32 s43, exec_lo
	s_delay_alu instid0(VALU_DEP_1)
	v_cmpx_eq_u32_e32 0, v11
	s_cbranch_execz .LBB4_2665
; %bb.2664:                             ;   in Loop: Header=BB4_2382 Depth=2
	v_clz_i32_u32_e32 v2, v2
	v_mov_b32_e32 v11, v39
	s_delay_alu instid0(VALU_DEP_2) | instskip(NEXT) | instid1(VALU_DEP_1)
	v_min_u32_e32 v2, 32, v2
	v_subrev_nc_u32_e32 v20, 29, v2
	s_delay_alu instid0(VALU_DEP_1) | instskip(SKIP_1) | instid1(VALU_DEP_2)
	v_lshlrev_b64_e32 v[10:11], v20, v[10:11]
	v_sub_nc_u32_e32 v11, 30, v2
	v_and_b32_e32 v2, 3, v10
.LBB4_2665:                             ;   in Loop: Header=BB4_2382 Depth=2
	s_or_b32 exec_lo, exec_lo, s43
	v_lshlrev_b32_e32 v10, 16, v12
	s_delay_alu instid0(VALU_DEP_1) | instskip(NEXT) | instid1(VALU_DEP_1)
	v_and_b32_e32 v10, 0x80000000, v10
	v_lshl_add_u32 v10, v11, 23, v10
	s_delay_alu instid0(VALU_DEP_1) | instskip(NEXT) | instid1(VALU_DEP_1)
	v_lshl_or_b32 v2, v2, 21, v10
	v_add_nc_u32_e32 v11, 0x38000000, v2
                                        ; implicit-def: $vgpr2
.LBB4_2666:                             ;   in Loop: Header=BB4_2382 Depth=2
	s_and_not1_saveexec_b32 s42, s42
; %bb.2667:                             ;   in Loop: Header=BB4_2382 Depth=2
	v_cmp_lt_i16_e32 vcc_lo, -1, v12
	v_cndmask_b32_e32 v10, 0xff800000, v126, vcc_lo
	v_cmp_eq_u32_e32 vcc_lo, 0, v2
	s_delay_alu instid0(VALU_DEP_2)
	v_cndmask_b32_e32 v11, 0x7f800001, v10, vcc_lo
; %bb.2668:                             ;   in Loop: Header=BB4_2382 Depth=2
	s_or_b32 exec_lo, exec_lo, s42
.LBB4_2669:                             ;   in Loop: Header=BB4_2382 Depth=2
	s_delay_alu instid0(SALU_CYCLE_1)
	s_or_b32 exec_lo, exec_lo, s41
.LBB4_2670:                             ;   in Loop: Header=BB4_2382 Depth=2
	s_delay_alu instid0(SALU_CYCLE_1) | instskip(NEXT) | instid1(VALU_DEP_1)
	s_or_b32 exec_lo, exec_lo, s11
	v_dual_mul_f32 v10, s40, v11 :: v_dual_mov_b32 v21, v39
                                        ; implicit-def: $vgpr117
	s_mov_b32 s11, exec_lo
	s_delay_alu instid0(VALU_DEP_1) | instskip(SKIP_2) | instid1(VALU_DEP_3)
	v_and_b32_e32 v20, 0x7f800000, v10
	v_and_b32_e32 v38, 0x7fffff, v10
	v_lshrrev_b32_e32 v2, 24, v10
	v_cmpx_ne_u64_e32 0x7f800000, v[20:21]
	s_xor_b32 s41, exec_lo, s11
	s_cbranch_execz .LBB4_2684
; %bb.2671:                             ;   in Loop: Header=BB4_2382 Depth=2
	v_and_b32_e32 v20, 0x7fffffff, v10
	v_mov_b32_e32 v21, v39
	v_and_b32_e32 v2, 0x80, v2
                                        ; implicit-def: $vgpr117
	s_mov_b32 s11, exec_lo
	s_delay_alu instid0(VALU_DEP_2)
	v_cmpx_gt_u64_e32 0x47600001, v[20:21]
	s_xor_b32 s42, exec_lo, s11
	s_cbranch_execz .LBB4_2681
; %bb.2672:                             ;   in Loop: Header=BB4_2382 Depth=2
	v_mov_b32_e32 v117, 0
	s_mov_b32 s43, exec_lo
	v_cmpx_ne_u32_e32 0, v10
	s_cbranch_execz .LBB4_2680
; %bb.2673:                             ;   in Loop: Header=BB4_2382 Depth=2
	v_bfe_u32 v20, v10, 23, 8
	v_or_b32_e32 v24, 0x800000, v38
	s_delay_alu instid0(VALU_DEP_2) | instskip(SKIP_1) | instid1(VALU_DEP_2)
	v_dual_mov_b32 v25, v39 :: v_dual_sub_nc_u32 v10, 0x71, v20
	v_cmp_gt_u32_e32 vcc_lo, 0x72, v20
	v_cndmask_b32_e32 v10, 0, v10, vcc_lo
	v_cmp_eq_u32_e32 vcc_lo, 0, v20
	s_delay_alu instid0(VALU_DEP_2) | instskip(NEXT) | instid1(VALU_DEP_1)
	v_cndmask_b32_e64 v21, v10, 0x70, vcc_lo
	v_dual_cndmask_b32 v24, v24, v38, vcc_lo :: v_dual_add_nc_u32 v10, 21, v21
	v_add_nc_u32_e32 v30, 20, v21
	s_delay_alu instid0(VALU_DEP_2) | instskip(NEXT) | instid1(VALU_DEP_2)
	v_lshlrev_b64_e64 v[10:11], v10, -1
	v_lshlrev_b64_e64 v[30:31], v30, 1
	s_delay_alu instid0(VALU_DEP_2) | instskip(NEXT) | instid1(VALU_DEP_3)
	v_bfi_b32 v97, v11, 0, 0
	v_bfi_b32 v96, v10, 0, v24
	v_lshrrev_b64 v[10:11], v21, v[24:25]
	s_delay_alu instid0(VALU_DEP_2) | instskip(NEXT) | instid1(VALU_DEP_2)
	v_cmp_eq_u64_e64 s11, v[96:97], v[30:31]
	v_mov_b64_e32 v[96:97], v[10:11]
	s_and_saveexec_b32 s44, s11
; %bb.2674:                             ;   in Loop: Header=BB4_2382 Depth=2
	v_bfe_u32 v24, v10, 21, 1
	v_mov_b32_e32 v25, v39
	s_delay_alu instid0(VALU_DEP_1) | instskip(NEXT) | instid1(VALU_DEP_1)
	v_add_nc_u64_e32 v[24:25], v[10:11], v[24:25]
	v_add_nc_u64_e32 v[96:97], -1, v[24:25]
; %bb.2675:                             ;   in Loop: Header=BB4_2382 Depth=2
	s_or_b32 exec_lo, exec_lo, s44
	v_add_nc_u32_e32 v11, 0xffffff81, v20
	v_lshrrev_b32_e32 v20, 23, v10
	s_mov_b32 s11, exec_lo
	s_delay_alu instid0(VALU_DEP_2) | instskip(NEXT) | instid1(VALU_DEP_1)
	v_cndmask_b32_e64 v11, v11, 0xffffff82, vcc_lo
	v_add3_u32 v21, v21, v11, v20
	v_and_b32_e32 v11, 0x1fffff, v96
                                        ; implicit-def: $vgpr20
	s_delay_alu instid0(VALU_DEP_1) | instskip(NEXT) | instid1(VALU_DEP_1)
	v_dual_add_nc_u32 v30, 14, v21 :: v_dual_add_nc_u32 v38, v11, v10
                                        ; implicit-def: $vgpr10_vgpr11
	v_cmpx_ne_u32_e32 0, v30
	s_xor_b32 s11, exec_lo, s11
; %bb.2676:                             ;   in Loop: Header=BB4_2382 Depth=2
	s_delay_alu instid0(VALU_DEP_2) | instskip(SKIP_1) | instid1(VALU_DEP_1)
	v_cmp_lt_u64_e32 vcc_lo, 0xffffff, v[38:39]
	v_add_nc_u32_e32 v10, 15, v21
	v_cndmask_b32_e32 v20, v30, v10, vcc_lo
	v_cndmask_b32_e64 v10, 0, 1, vcc_lo
	s_delay_alu instid0(VALU_DEP_1)
	v_lshrrev_b64 v[10:11], v10, v[38:39]
; %bb.2677:                             ;   in Loop: Header=BB4_2382 Depth=2
	s_and_not1_saveexec_b32 s11, s11
; %bb.2678:                             ;   in Loop: Header=BB4_2382 Depth=2
	v_mov_b64_e32 v[10:11], v[38:39]
	v_bfe_u32 v20, v38, 23, 1
; %bb.2679:                             ;   in Loop: Header=BB4_2382 Depth=2
	s_or_b32 exec_lo, exec_lo, s11
	s_delay_alu instid0(VALU_DEP_2) | instskip(NEXT) | instid1(VALU_DEP_2)
	v_lshrrev_b64 v[10:11], 21, v[10:11]
	v_cmp_gt_i32_e32 vcc_lo, 32, v20
	v_min_i32_e32 v21, 31, v20
	v_cmp_eq_u32_e64 s11, 0, v20
	s_delay_alu instid0(VALU_DEP_2) | instskip(SKIP_1) | instid1(VALU_DEP_2)
	v_dual_cndmask_b32 v11, 0, v11, vcc_lo :: v_dual_lshlrev_b32 v21, 2, v21
	v_cndmask_b32_e32 v10, 3, v10, vcc_lo
	v_and_b32_e32 v21, 0xfc, v21
	s_delay_alu instid0(VALU_DEP_2) | instskip(NEXT) | instid1(VALU_DEP_2)
	v_cmp_eq_u64_e32 vcc_lo, 0, v[10:11]
	v_and_or_b32 v10, v10, 3, v21
	s_and_b32 s11, s11, vcc_lo
	s_delay_alu instid0(VALU_DEP_1) | instid1(SALU_CYCLE_1)
	v_cndmask_b32_e64 v10, v10, 0, s11
	s_delay_alu instid0(VALU_DEP_1)
	v_or_b32_e32 v117, v10, v2
.LBB4_2680:                             ;   in Loop: Header=BB4_2382 Depth=2
	s_or_b32 exec_lo, exec_lo, s43
                                        ; implicit-def: $vgpr2
.LBB4_2681:                             ;   in Loop: Header=BB4_2382 Depth=2
	s_and_not1_saveexec_b32 s11, s42
; %bb.2682:                             ;   in Loop: Header=BB4_2382 Depth=2
	v_or_b32_e32 v117, 0x7b, v2
; %bb.2683:                             ;   in Loop: Header=BB4_2382 Depth=2
	s_or_b32 exec_lo, exec_lo, s11
                                        ; implicit-def: $vgpr10
                                        ; implicit-def: $vgpr2
.LBB4_2684:                             ;   in Loop: Header=BB4_2382 Depth=2
	s_and_not1_saveexec_b32 s11, s41
	s_cbranch_execz .LBB4_2690
; %bb.2685:                             ;   in Loop: Header=BB4_2382 Depth=2
	s_mov_b32 s41, exec_lo
                                        ; implicit-def: $vgpr117
	v_cmpx_ne_u64_e32 0, v[38:39]
	s_xor_b32 s41, exec_lo, s41
; %bb.2686:                             ;   in Loop: Header=BB4_2382 Depth=2
	v_or_b32_e32 v117, 0x7f, v2
                                        ; implicit-def: $vgpr10
; %bb.2687:                             ;   in Loop: Header=BB4_2382 Depth=2
	s_and_not1_saveexec_b32 s41, s41
; %bb.2688:                             ;   in Loop: Header=BB4_2382 Depth=2
	v_cmp_lt_i32_e32 vcc_lo, -1, v10
	v_cndmask_b32_e32 v117, 0xfc, v122, vcc_lo
; %bb.2689:                             ;   in Loop: Header=BB4_2382 Depth=2
	s_or_b32 exec_lo, exec_lo, s41
.LBB4_2690:                             ;   in Loop: Header=BB4_2382 Depth=2
	s_delay_alu instid0(SALU_CYCLE_1) | instskip(SKIP_2) | instid1(VALU_DEP_1)
	s_or_b32 exec_lo, exec_lo, s11
	v_dual_lshrrev_b32 v10, 16, v12 :: v_dual_mov_b32 v2, 0
	s_mov_b32 s11, exec_lo
	v_and_b32_e32 v11, 0xff, v10
	s_delay_alu instid0(VALU_DEP_1)
	v_cmpx_ne_u16_e32 0, v11
	s_cbranch_execz .LBB4_2700
; %bb.2691:                             ;   in Loop: Header=BB4_2382 Depth=2
	v_bfrev_b32_e32 v2, 1
	s_mov_b32 s41, exec_lo
	v_cmpx_ne_u16_e32 0x80, v11
	s_cbranch_execz .LBB4_2699
; %bb.2692:                             ;   in Loop: Header=BB4_2382 Depth=2
	v_and_b32_e32 v2, 0x7c0000, v12
	v_bfe_u32 v11, v12, 16, 2
	s_delay_alu instid0(VALU_DEP_2) | instskip(SKIP_1) | instid1(SALU_CYCLE_1)
	v_cmp_ne_u32_e32 vcc_lo, 0x7c0000, v2
                                        ; implicit-def: $vgpr2
	s_and_saveexec_b32 s42, vcc_lo
	s_xor_b32 s42, exec_lo, s42
	s_cbranch_execz .LBB4_2696
; %bb.2693:                             ;   in Loop: Header=BB4_2382 Depth=2
	v_bfe_u32 v2, v12, 18, 5
	s_mov_b32 s43, exec_lo
	s_delay_alu instid0(VALU_DEP_1)
	v_cmpx_eq_u32_e32 0, v2
; %bb.2694:                             ;   in Loop: Header=BB4_2382 Depth=2
	v_clz_i32_u32_e32 v2, v11
	s_delay_alu instid0(VALU_DEP_1) | instskip(NEXT) | instid1(VALU_DEP_1)
	v_min_u32_e32 v2, 32, v2
	v_subrev_nc_u32_e32 v11, 29, v2
	s_delay_alu instid0(VALU_DEP_1) | instskip(NEXT) | instid1(VALU_DEP_1)
	v_lshlrev_b64_e32 v[20:21], v11, v[10:11]
	v_dual_sub_nc_u32 v2, 30, v2 :: v_dual_bitop2_b32 v11, 3, v20 bitop3:0x40
; %bb.2695:                             ;   in Loop: Header=BB4_2382 Depth=2
	s_or_b32 exec_lo, exec_lo, s43
	v_lshlrev_b32_e32 v10, 24, v10
	s_delay_alu instid0(VALU_DEP_1) | instskip(NEXT) | instid1(VALU_DEP_1)
	v_and_b32_e32 v10, 0x80000000, v10
	v_lshl_add_u32 v2, v2, 23, v10
                                        ; implicit-def: $vgpr10
	s_delay_alu instid0(VALU_DEP_1) | instskip(NEXT) | instid1(VALU_DEP_1)
	v_lshl_or_b32 v2, v11, 21, v2
                                        ; implicit-def: $vgpr11
	v_add_nc_u32_e32 v2, 0x38000000, v2
.LBB4_2696:                             ;   in Loop: Header=BB4_2382 Depth=2
	s_and_not1_saveexec_b32 s42, s42
; %bb.2697:                             ;   in Loop: Header=BB4_2382 Depth=2
	v_bfe_i32 v2, v10, 0, 8
	s_delay_alu instid0(VALU_DEP_1) | instskip(SKIP_2) | instid1(VALU_DEP_2)
	v_cmp_lt_i16_e32 vcc_lo, -1, v2
	v_cndmask_b32_e32 v2, 0xff800000, v126, vcc_lo
	v_cmp_eq_u32_e32 vcc_lo, 0, v11
	v_cndmask_b32_e32 v2, 0x7f800001, v2, vcc_lo
; %bb.2698:                             ;   in Loop: Header=BB4_2382 Depth=2
	s_or_b32 exec_lo, exec_lo, s42
.LBB4_2699:                             ;   in Loop: Header=BB4_2382 Depth=2
	s_delay_alu instid0(SALU_CYCLE_1)
	s_or_b32 exec_lo, exec_lo, s41
.LBB4_2700:                             ;   in Loop: Header=BB4_2382 Depth=2
	s_delay_alu instid0(SALU_CYCLE_1) | instskip(NEXT) | instid1(VALU_DEP_1)
	s_or_b32 exec_lo, exec_lo, s11
	v_dual_mul_f32 v10, s40, v2 :: v_dual_mov_b32 v21, v39
                                        ; implicit-def: $vgpr40
	s_mov_b32 s11, exec_lo
	s_delay_alu instid0(VALU_DEP_1) | instskip(SKIP_2) | instid1(VALU_DEP_3)
	v_and_b32_e32 v20, 0x7f800000, v10
	v_and_b32_e32 v38, 0x7fffff, v10
	v_lshrrev_b32_e32 v2, 24, v10
	v_cmpx_ne_u64_e32 0x7f800000, v[20:21]
	s_xor_b32 s41, exec_lo, s11
	s_cbranch_execz .LBB4_2714
; %bb.2701:                             ;   in Loop: Header=BB4_2382 Depth=2
	v_and_b32_e32 v20, 0x7fffffff, v10
	v_mov_b32_e32 v21, v39
	v_and_b32_e32 v2, 0x80, v2
                                        ; implicit-def: $vgpr40
	s_mov_b32 s11, exec_lo
	s_delay_alu instid0(VALU_DEP_2)
	v_cmpx_gt_u64_e32 0x47600001, v[20:21]
	s_xor_b32 s42, exec_lo, s11
	s_cbranch_execz .LBB4_2711
; %bb.2702:                             ;   in Loop: Header=BB4_2382 Depth=2
	v_mov_b32_e32 v40, 0
	s_mov_b32 s43, exec_lo
	v_cmpx_ne_u32_e32 0, v10
	s_cbranch_execz .LBB4_2710
; %bb.2703:                             ;   in Loop: Header=BB4_2382 Depth=2
	v_bfe_u32 v20, v10, 23, 8
	v_or_b32_e32 v24, 0x800000, v38
	s_delay_alu instid0(VALU_DEP_2) | instskip(SKIP_1) | instid1(VALU_DEP_2)
	v_dual_mov_b32 v25, v39 :: v_dual_sub_nc_u32 v10, 0x71, v20
	v_cmp_gt_u32_e32 vcc_lo, 0x72, v20
	v_cndmask_b32_e32 v10, 0, v10, vcc_lo
	v_cmp_eq_u32_e32 vcc_lo, 0, v20
	s_delay_alu instid0(VALU_DEP_2) | instskip(NEXT) | instid1(VALU_DEP_1)
	v_cndmask_b32_e64 v21, v10, 0x70, vcc_lo
	v_dual_cndmask_b32 v24, v24, v38, vcc_lo :: v_dual_add_nc_u32 v10, 21, v21
	v_add_nc_u32_e32 v30, 20, v21
	s_delay_alu instid0(VALU_DEP_2) | instskip(NEXT) | instid1(VALU_DEP_2)
	v_lshlrev_b64_e64 v[10:11], v10, -1
	v_lshlrev_b64_e64 v[30:31], v30, 1
	s_delay_alu instid0(VALU_DEP_2) | instskip(NEXT) | instid1(VALU_DEP_3)
	v_bfi_b32 v97, v11, 0, 0
	v_bfi_b32 v96, v10, 0, v24
	v_lshrrev_b64 v[10:11], v21, v[24:25]
	s_delay_alu instid0(VALU_DEP_2) | instskip(NEXT) | instid1(VALU_DEP_2)
	v_cmp_eq_u64_e64 s11, v[96:97], v[30:31]
	v_mov_b64_e32 v[96:97], v[10:11]
	s_and_saveexec_b32 s44, s11
; %bb.2704:                             ;   in Loop: Header=BB4_2382 Depth=2
	v_bfe_u32 v24, v10, 21, 1
	v_mov_b32_e32 v25, v39
	s_delay_alu instid0(VALU_DEP_1) | instskip(NEXT) | instid1(VALU_DEP_1)
	v_add_nc_u64_e32 v[24:25], v[10:11], v[24:25]
	v_add_nc_u64_e32 v[96:97], -1, v[24:25]
; %bb.2705:                             ;   in Loop: Header=BB4_2382 Depth=2
	s_or_b32 exec_lo, exec_lo, s44
	v_add_nc_u32_e32 v11, 0xffffff81, v20
	v_lshrrev_b32_e32 v20, 23, v10
	s_mov_b32 s11, exec_lo
	s_delay_alu instid0(VALU_DEP_2) | instskip(NEXT) | instid1(VALU_DEP_1)
	v_cndmask_b32_e64 v11, v11, 0xffffff82, vcc_lo
	v_add3_u32 v21, v21, v11, v20
	v_and_b32_e32 v11, 0x1fffff, v96
                                        ; implicit-def: $vgpr20
	s_delay_alu instid0(VALU_DEP_1) | instskip(NEXT) | instid1(VALU_DEP_1)
	v_dual_add_nc_u32 v30, 14, v21 :: v_dual_add_nc_u32 v38, v11, v10
                                        ; implicit-def: $vgpr10_vgpr11
	v_cmpx_ne_u32_e32 0, v30
	s_xor_b32 s11, exec_lo, s11
; %bb.2706:                             ;   in Loop: Header=BB4_2382 Depth=2
	s_delay_alu instid0(VALU_DEP_2) | instskip(SKIP_1) | instid1(VALU_DEP_1)
	v_cmp_lt_u64_e32 vcc_lo, 0xffffff, v[38:39]
	v_add_nc_u32_e32 v10, 15, v21
	v_cndmask_b32_e32 v20, v30, v10, vcc_lo
	v_cndmask_b32_e64 v10, 0, 1, vcc_lo
	s_delay_alu instid0(VALU_DEP_1)
	v_lshrrev_b64 v[10:11], v10, v[38:39]
; %bb.2707:                             ;   in Loop: Header=BB4_2382 Depth=2
	s_and_not1_saveexec_b32 s11, s11
; %bb.2708:                             ;   in Loop: Header=BB4_2382 Depth=2
	v_mov_b64_e32 v[10:11], v[38:39]
	v_bfe_u32 v20, v38, 23, 1
; %bb.2709:                             ;   in Loop: Header=BB4_2382 Depth=2
	s_or_b32 exec_lo, exec_lo, s11
	s_delay_alu instid0(VALU_DEP_2) | instskip(NEXT) | instid1(VALU_DEP_2)
	v_lshrrev_b64 v[10:11], 21, v[10:11]
	v_cmp_gt_i32_e32 vcc_lo, 32, v20
	v_min_i32_e32 v21, 31, v20
	v_cmp_eq_u32_e64 s11, 0, v20
	s_delay_alu instid0(VALU_DEP_2) | instskip(SKIP_1) | instid1(VALU_DEP_2)
	v_dual_cndmask_b32 v11, 0, v11, vcc_lo :: v_dual_lshlrev_b32 v21, 2, v21
	v_cndmask_b32_e32 v10, 3, v10, vcc_lo
	v_and_b32_e32 v21, 0xfc, v21
	s_delay_alu instid0(VALU_DEP_2) | instskip(NEXT) | instid1(VALU_DEP_2)
	v_cmp_eq_u64_e32 vcc_lo, 0, v[10:11]
	v_and_or_b32 v10, v10, 3, v21
	s_and_b32 s11, s11, vcc_lo
	s_delay_alu instid0(VALU_DEP_1) | instid1(SALU_CYCLE_1)
	v_cndmask_b32_e64 v10, v10, 0, s11
	s_delay_alu instid0(VALU_DEP_1)
	v_or_b32_e32 v40, v10, v2
.LBB4_2710:                             ;   in Loop: Header=BB4_2382 Depth=2
	s_or_b32 exec_lo, exec_lo, s43
                                        ; implicit-def: $vgpr2
.LBB4_2711:                             ;   in Loop: Header=BB4_2382 Depth=2
	s_and_not1_saveexec_b32 s11, s42
; %bb.2712:                             ;   in Loop: Header=BB4_2382 Depth=2
	v_or_b32_e32 v40, 0x7b, v2
; %bb.2713:                             ;   in Loop: Header=BB4_2382 Depth=2
	s_or_b32 exec_lo, exec_lo, s11
                                        ; implicit-def: $vgpr10
                                        ; implicit-def: $vgpr2
.LBB4_2714:                             ;   in Loop: Header=BB4_2382 Depth=2
	s_and_not1_saveexec_b32 s11, s41
	s_cbranch_execz .LBB4_2720
; %bb.2715:                             ;   in Loop: Header=BB4_2382 Depth=2
	s_mov_b32 s41, exec_lo
                                        ; implicit-def: $vgpr40
	v_cmpx_ne_u64_e32 0, v[38:39]
	s_xor_b32 s41, exec_lo, s41
; %bb.2716:                             ;   in Loop: Header=BB4_2382 Depth=2
	v_or_b32_e32 v40, 0x7f, v2
                                        ; implicit-def: $vgpr10
; %bb.2717:                             ;   in Loop: Header=BB4_2382 Depth=2
	s_and_not1_saveexec_b32 s41, s41
; %bb.2718:                             ;   in Loop: Header=BB4_2382 Depth=2
	v_cmp_lt_i32_e32 vcc_lo, -1, v10
	v_cndmask_b32_e32 v40, 0xfc, v122, vcc_lo
; %bb.2719:                             ;   in Loop: Header=BB4_2382 Depth=2
	s_or_b32 exec_lo, exec_lo, s41
.LBB4_2720:                             ;   in Loop: Header=BB4_2382 Depth=2
	s_delay_alu instid0(SALU_CYCLE_1)
	s_or_b32 exec_lo, exec_lo, s11
	v_mov_b32_e32 v2, 0
	s_mov_b32 s11, exec_lo
	v_cmpx_lt_u32_e32 0xffffff, v12
	s_cbranch_execz .LBB4_2730
; %bb.2721:                             ;   in Loop: Header=BB4_2382 Depth=2
	v_lshrrev_b32_e32 v10, 24, v12
	v_bfrev_b32_e32 v2, 1
	s_mov_b32 s41, exec_lo
	s_delay_alu instid0(VALU_DEP_2)
	v_cmpx_ne_u32_e32 0x80, v10
	s_cbranch_execz .LBB4_2729
; %bb.2722:                             ;   in Loop: Header=BB4_2382 Depth=2
	v_and_b32_e32 v2, 0x7c000000, v12
	v_bfe_u32 v11, v12, 24, 2
	s_delay_alu instid0(VALU_DEP_2) | instskip(SKIP_1) | instid1(SALU_CYCLE_1)
	v_cmp_ne_u32_e32 vcc_lo, 0x7c000000, v2
                                        ; implicit-def: $vgpr2
	s_and_saveexec_b32 s42, vcc_lo
	s_xor_b32 s42, exec_lo, s42
	s_cbranch_execz .LBB4_2726
; %bb.2723:                             ;   in Loop: Header=BB4_2382 Depth=2
	v_bfe_u32 v2, v12, 26, 5
	s_mov_b32 s43, exec_lo
	s_delay_alu instid0(VALU_DEP_1)
	v_cmpx_eq_u32_e32 0, v2
; %bb.2724:                             ;   in Loop: Header=BB4_2382 Depth=2
	v_clz_i32_u32_e32 v2, v11
	s_delay_alu instid0(VALU_DEP_1) | instskip(NEXT) | instid1(VALU_DEP_1)
	v_min_u32_e32 v2, 32, v2
	v_subrev_nc_u32_e32 v11, 29, v2
	v_sub_nc_u32_e32 v2, 30, v2
	s_delay_alu instid0(VALU_DEP_2) | instskip(NEXT) | instid1(VALU_DEP_1)
	v_lshlrev_b64_e32 v[10:11], v11, v[10:11]
	v_and_b32_e32 v11, 3, v10
; %bb.2725:                             ;   in Loop: Header=BB4_2382 Depth=2
	s_or_b32 exec_lo, exec_lo, s43
	v_and_b32_e32 v10, 0x80000000, v12
	s_delay_alu instid0(VALU_DEP_1) | instskip(NEXT) | instid1(VALU_DEP_1)
	v_lshl_add_u32 v2, v2, 23, v10
	v_lshl_or_b32 v2, v11, 21, v2
                                        ; implicit-def: $vgpr11
	s_delay_alu instid0(VALU_DEP_1)
	v_add_nc_u32_e32 v2, 0x38000000, v2
.LBB4_2726:                             ;   in Loop: Header=BB4_2382 Depth=2
	s_and_not1_saveexec_b32 s42, s42
; %bb.2727:                             ;   in Loop: Header=BB4_2382 Depth=2
	v_cmp_lt_i32_e32 vcc_lo, -1, v12
	v_cndmask_b32_e32 v2, 0xff800000, v126, vcc_lo
	v_cmp_eq_u32_e32 vcc_lo, 0, v11
	s_delay_alu instid0(VALU_DEP_2)
	v_cndmask_b32_e32 v2, 0x7f800001, v2, vcc_lo
; %bb.2728:                             ;   in Loop: Header=BB4_2382 Depth=2
	s_or_b32 exec_lo, exec_lo, s42
.LBB4_2729:                             ;   in Loop: Header=BB4_2382 Depth=2
	s_delay_alu instid0(SALU_CYCLE_1)
	s_or_b32 exec_lo, exec_lo, s41
.LBB4_2730:                             ;   in Loop: Header=BB4_2382 Depth=2
	s_delay_alu instid0(SALU_CYCLE_1) | instskip(NEXT) | instid1(VALU_DEP_1)
	s_or_b32 exec_lo, exec_lo, s11
	v_dual_mul_f32 v10, s40, v2 :: v_dual_mov_b32 v21, v39
                                        ; implicit-def: $vgpr42
	s_mov_b32 s11, exec_lo
	s_delay_alu instid0(VALU_DEP_1) | instskip(SKIP_2) | instid1(VALU_DEP_3)
	v_and_b32_e32 v20, 0x7f800000, v10
	v_and_b32_e32 v38, 0x7fffff, v10
	v_lshrrev_b32_e32 v2, 24, v10
	v_cmpx_ne_u64_e32 0x7f800000, v[20:21]
	s_xor_b32 s41, exec_lo, s11
	s_cbranch_execz .LBB4_2744
; %bb.2731:                             ;   in Loop: Header=BB4_2382 Depth=2
	v_and_b32_e32 v20, 0x7fffffff, v10
	v_mov_b32_e32 v21, v39
	v_and_b32_e32 v2, 0x80, v2
                                        ; implicit-def: $vgpr42
	s_mov_b32 s11, exec_lo
	s_delay_alu instid0(VALU_DEP_2)
	v_cmpx_gt_u64_e32 0x47600001, v[20:21]
	s_xor_b32 s42, exec_lo, s11
	s_cbranch_execz .LBB4_2741
; %bb.2732:                             ;   in Loop: Header=BB4_2382 Depth=2
	v_mov_b32_e32 v42, 0
	s_mov_b32 s43, exec_lo
	v_cmpx_ne_u32_e32 0, v10
	s_cbranch_execz .LBB4_2740
; %bb.2733:                             ;   in Loop: Header=BB4_2382 Depth=2
	v_bfe_u32 v20, v10, 23, 8
	v_or_b32_e32 v24, 0x800000, v38
	s_delay_alu instid0(VALU_DEP_2) | instskip(SKIP_1) | instid1(VALU_DEP_2)
	v_dual_mov_b32 v25, v39 :: v_dual_sub_nc_u32 v10, 0x71, v20
	v_cmp_gt_u32_e32 vcc_lo, 0x72, v20
	v_cndmask_b32_e32 v10, 0, v10, vcc_lo
	v_cmp_eq_u32_e32 vcc_lo, 0, v20
	s_delay_alu instid0(VALU_DEP_2) | instskip(NEXT) | instid1(VALU_DEP_1)
	v_cndmask_b32_e64 v21, v10, 0x70, vcc_lo
	v_dual_cndmask_b32 v24, v24, v38, vcc_lo :: v_dual_add_nc_u32 v10, 21, v21
	v_add_nc_u32_e32 v30, 20, v21
	s_delay_alu instid0(VALU_DEP_2) | instskip(NEXT) | instid1(VALU_DEP_2)
	v_lshlrev_b64_e64 v[10:11], v10, -1
	v_lshlrev_b64_e64 v[30:31], v30, 1
	s_delay_alu instid0(VALU_DEP_2) | instskip(NEXT) | instid1(VALU_DEP_3)
	v_bfi_b32 v97, v11, 0, 0
	v_bfi_b32 v96, v10, 0, v24
	v_lshrrev_b64 v[10:11], v21, v[24:25]
	s_delay_alu instid0(VALU_DEP_2) | instskip(NEXT) | instid1(VALU_DEP_2)
	v_cmp_eq_u64_e64 s11, v[96:97], v[30:31]
	v_mov_b64_e32 v[96:97], v[10:11]
	s_and_saveexec_b32 s44, s11
; %bb.2734:                             ;   in Loop: Header=BB4_2382 Depth=2
	v_bfe_u32 v24, v10, 21, 1
	v_mov_b32_e32 v25, v39
	s_delay_alu instid0(VALU_DEP_1) | instskip(NEXT) | instid1(VALU_DEP_1)
	v_add_nc_u64_e32 v[24:25], v[10:11], v[24:25]
	v_add_nc_u64_e32 v[96:97], -1, v[24:25]
; %bb.2735:                             ;   in Loop: Header=BB4_2382 Depth=2
	s_or_b32 exec_lo, exec_lo, s44
	v_add_nc_u32_e32 v11, 0xffffff81, v20
	v_lshrrev_b32_e32 v20, 23, v10
	s_mov_b32 s11, exec_lo
	s_delay_alu instid0(VALU_DEP_2) | instskip(NEXT) | instid1(VALU_DEP_1)
	v_cndmask_b32_e64 v11, v11, 0xffffff82, vcc_lo
	v_add3_u32 v21, v21, v11, v20
	v_and_b32_e32 v11, 0x1fffff, v96
                                        ; implicit-def: $vgpr20
	s_delay_alu instid0(VALU_DEP_1) | instskip(NEXT) | instid1(VALU_DEP_1)
	v_dual_add_nc_u32 v30, 14, v21 :: v_dual_add_nc_u32 v38, v11, v10
                                        ; implicit-def: $vgpr10_vgpr11
	v_cmpx_ne_u32_e32 0, v30
	s_xor_b32 s11, exec_lo, s11
; %bb.2736:                             ;   in Loop: Header=BB4_2382 Depth=2
	s_delay_alu instid0(VALU_DEP_2) | instskip(SKIP_1) | instid1(VALU_DEP_1)
	v_cmp_lt_u64_e32 vcc_lo, 0xffffff, v[38:39]
	v_add_nc_u32_e32 v10, 15, v21
	v_cndmask_b32_e32 v20, v30, v10, vcc_lo
	v_cndmask_b32_e64 v10, 0, 1, vcc_lo
	s_delay_alu instid0(VALU_DEP_1)
	v_lshrrev_b64 v[10:11], v10, v[38:39]
; %bb.2737:                             ;   in Loop: Header=BB4_2382 Depth=2
	s_and_not1_saveexec_b32 s11, s11
; %bb.2738:                             ;   in Loop: Header=BB4_2382 Depth=2
	v_mov_b64_e32 v[10:11], v[38:39]
	v_bfe_u32 v20, v38, 23, 1
; %bb.2739:                             ;   in Loop: Header=BB4_2382 Depth=2
	s_or_b32 exec_lo, exec_lo, s11
	s_delay_alu instid0(VALU_DEP_2) | instskip(NEXT) | instid1(VALU_DEP_2)
	v_lshrrev_b64 v[10:11], 21, v[10:11]
	v_cmp_gt_i32_e32 vcc_lo, 32, v20
	v_min_i32_e32 v21, 31, v20
	v_cmp_eq_u32_e64 s11, 0, v20
	s_delay_alu instid0(VALU_DEP_2) | instskip(SKIP_1) | instid1(VALU_DEP_2)
	v_dual_cndmask_b32 v11, 0, v11, vcc_lo :: v_dual_lshlrev_b32 v21, 2, v21
	v_cndmask_b32_e32 v10, 3, v10, vcc_lo
	v_and_b32_e32 v21, 0xfc, v21
	s_delay_alu instid0(VALU_DEP_2) | instskip(NEXT) | instid1(VALU_DEP_2)
	v_cmp_eq_u64_e32 vcc_lo, 0, v[10:11]
	v_and_or_b32 v10, v10, 3, v21
	s_and_b32 s11, s11, vcc_lo
	s_delay_alu instid0(VALU_DEP_1) | instid1(SALU_CYCLE_1)
	v_cndmask_b32_e64 v10, v10, 0, s11
	s_delay_alu instid0(VALU_DEP_1)
	v_or_b32_e32 v42, v10, v2
.LBB4_2740:                             ;   in Loop: Header=BB4_2382 Depth=2
	s_or_b32 exec_lo, exec_lo, s43
                                        ; implicit-def: $vgpr2
.LBB4_2741:                             ;   in Loop: Header=BB4_2382 Depth=2
	s_and_not1_saveexec_b32 s11, s42
; %bb.2742:                             ;   in Loop: Header=BB4_2382 Depth=2
	v_or_b32_e32 v42, 0x7b, v2
; %bb.2743:                             ;   in Loop: Header=BB4_2382 Depth=2
	s_or_b32 exec_lo, exec_lo, s11
                                        ; implicit-def: $vgpr10
                                        ; implicit-def: $vgpr2
.LBB4_2744:                             ;   in Loop: Header=BB4_2382 Depth=2
	s_and_not1_saveexec_b32 s11, s41
	s_cbranch_execz .LBB4_2750
; %bb.2745:                             ;   in Loop: Header=BB4_2382 Depth=2
	s_mov_b32 s41, exec_lo
                                        ; implicit-def: $vgpr42
	v_cmpx_ne_u64_e32 0, v[38:39]
	s_xor_b32 s41, exec_lo, s41
; %bb.2746:                             ;   in Loop: Header=BB4_2382 Depth=2
	v_or_b32_e32 v42, 0x7f, v2
                                        ; implicit-def: $vgpr10
; %bb.2747:                             ;   in Loop: Header=BB4_2382 Depth=2
	s_and_not1_saveexec_b32 s41, s41
; %bb.2748:                             ;   in Loop: Header=BB4_2382 Depth=2
	v_cmp_lt_i32_e32 vcc_lo, -1, v10
	v_cndmask_b32_e32 v42, 0xfc, v122, vcc_lo
; %bb.2749:                             ;   in Loop: Header=BB4_2382 Depth=2
	s_or_b32 exec_lo, exec_lo, s41
.LBB4_2750:                             ;   in Loop: Header=BB4_2382 Depth=2
	s_delay_alu instid0(SALU_CYCLE_1) | instskip(SKIP_3) | instid1(VALU_DEP_2)
	s_or_b32 exec_lo, exec_lo, s11
	v_and_b32_e32 v10, 0xff, v13
	v_dual_mov_b32 v38, v13 :: v_dual_mov_b32 v2, 0
	s_mov_b32 s11, exec_lo
	v_cmpx_ne_u16_e32 0, v10
	s_cbranch_execz .LBB4_2760
; %bb.2751:                             ;   in Loop: Header=BB4_2382 Depth=2
	v_bfrev_b32_e32 v2, 1
	s_mov_b32 s41, exec_lo
	v_cmpx_ne_u16_e32 0x80, v10
	s_cbranch_execz .LBB4_2759
; %bb.2752:                             ;   in Loop: Header=BB4_2382 Depth=2
	v_and_b32_e32 v2, 0x7c, v13
	v_and_b32_e32 v10, 3, v13
	s_delay_alu instid0(VALU_DEP_2) | instskip(SKIP_1) | instid1(SALU_CYCLE_1)
	v_cmp_ne_u32_e32 vcc_lo, 0x7c, v2
                                        ; implicit-def: $vgpr2
	s_and_saveexec_b32 s42, vcc_lo
	s_xor_b32 s42, exec_lo, s42
	s_cbranch_execz .LBB4_2756
; %bb.2753:                             ;   in Loop: Header=BB4_2382 Depth=2
	v_bfe_u32 v2, v13, 2, 5
	s_mov_b32 s43, exec_lo
	s_delay_alu instid0(VALU_DEP_1)
	v_cmpx_eq_u32_e32 0, v2
; %bb.2754:                             ;   in Loop: Header=BB4_2382 Depth=2
	v_clz_i32_u32_e32 v2, v10
	s_delay_alu instid0(VALU_DEP_1) | instskip(NEXT) | instid1(VALU_DEP_1)
	v_min_u32_e32 v2, 32, v2
	v_subrev_nc_u32_e32 v10, 29, v2
	v_sub_nc_u32_e32 v2, 30, v2
	s_delay_alu instid0(VALU_DEP_2) | instskip(NEXT) | instid1(VALU_DEP_1)
	v_lshlrev_b64_e32 v[10:11], v10, v[38:39]
	v_and_b32_e32 v10, 3, v10
; %bb.2755:                             ;   in Loop: Header=BB4_2382 Depth=2
	s_or_b32 exec_lo, exec_lo, s43
	v_lshlrev_b32_e32 v11, 24, v13
	s_delay_alu instid0(VALU_DEP_1) | instskip(NEXT) | instid1(VALU_DEP_1)
	v_and_b32_e32 v11, 0x80000000, v11
	v_lshl_add_u32 v2, v2, 23, v11
	s_delay_alu instid0(VALU_DEP_1) | instskip(NEXT) | instid1(VALU_DEP_1)
	v_lshl_or_b32 v2, v10, 21, v2
                                        ; implicit-def: $vgpr10
	v_add_nc_u32_e32 v2, 0x38000000, v2
.LBB4_2756:                             ;   in Loop: Header=BB4_2382 Depth=2
	s_and_not1_saveexec_b32 s42, s42
; %bb.2757:                             ;   in Loop: Header=BB4_2382 Depth=2
	v_bfe_i32 v2, v13, 0, 8
	s_delay_alu instid0(VALU_DEP_1) | instskip(SKIP_2) | instid1(VALU_DEP_2)
	v_cmp_lt_i16_e32 vcc_lo, -1, v2
	v_cndmask_b32_e32 v2, 0xff800000, v126, vcc_lo
	v_cmp_eq_u32_e32 vcc_lo, 0, v10
	v_cndmask_b32_e32 v2, 0x7f800001, v2, vcc_lo
; %bb.2758:                             ;   in Loop: Header=BB4_2382 Depth=2
	s_or_b32 exec_lo, exec_lo, s42
.LBB4_2759:                             ;   in Loop: Header=BB4_2382 Depth=2
	s_delay_alu instid0(SALU_CYCLE_1)
	s_or_b32 exec_lo, exec_lo, s41
.LBB4_2760:                             ;   in Loop: Header=BB4_2382 Depth=2
	s_delay_alu instid0(SALU_CYCLE_1) | instskip(NEXT) | instid1(VALU_DEP_1)
	s_or_b32 exec_lo, exec_lo, s11
	v_dual_mul_f32 v30, s40, v2 :: v_dual_mov_b32 v21, v39
	v_mov_b32_e32 v11, v39
                                        ; implicit-def: $vgpr103
	s_mov_b32 s11, exec_lo
	s_delay_alu instid0(VALU_DEP_2) | instskip(SKIP_2) | instid1(VALU_DEP_3)
	v_and_b32_e32 v20, 0x7f800000, v30
	v_and_b32_e32 v10, 0x7fffff, v30
	v_lshrrev_b32_e32 v2, 24, v30
	v_cmpx_ne_u64_e32 0x7f800000, v[20:21]
	s_xor_b32 s41, exec_lo, s11
	s_cbranch_execz .LBB4_2774
; %bb.2761:                             ;   in Loop: Header=BB4_2382 Depth=2
	v_and_b32_e32 v20, 0x7fffffff, v30
	v_mov_b32_e32 v21, v39
	v_and_b32_e32 v2, 0x80, v2
                                        ; implicit-def: $vgpr103
	s_mov_b32 s11, exec_lo
	s_delay_alu instid0(VALU_DEP_2)
	v_cmpx_gt_u64_e32 0x47600001, v[20:21]
	s_xor_b32 s42, exec_lo, s11
	s_cbranch_execz .LBB4_2771
; %bb.2762:                             ;   in Loop: Header=BB4_2382 Depth=2
	v_mov_b32_e32 v103, 0
	s_mov_b32 s43, exec_lo
	v_cmpx_ne_u32_e32 0, v30
	s_cbranch_execz .LBB4_2770
; %bb.2763:                             ;   in Loop: Header=BB4_2382 Depth=2
	v_bfe_u32 v20, v30, 23, 8
	v_or_b32_e32 v30, 0x800000, v10
	s_mov_b32 s44, exec_lo
	s_delay_alu instid0(VALU_DEP_2) | instskip(SKIP_1) | instid1(VALU_DEP_2)
	v_sub_nc_u32_e32 v21, 0x71, v20
	v_cmp_gt_u32_e32 vcc_lo, 0x72, v20
	v_cndmask_b32_e32 v21, 0, v21, vcc_lo
	v_cmp_eq_u32_e32 vcc_lo, 0, v20
	s_delay_alu instid0(VALU_DEP_2) | instskip(NEXT) | instid1(VALU_DEP_1)
	v_cndmask_b32_e64 v21, v21, 0x70, vcc_lo
	v_dual_cndmask_b32 v10, v30, v10, vcc_lo :: v_dual_add_nc_u32 v24, 21, v21
	v_add_nc_u32_e32 v31, 20, v21
	s_delay_alu instid0(VALU_DEP_2) | instskip(NEXT) | instid1(VALU_DEP_2)
	v_lshlrev_b64_e64 v[24:25], v24, -1
	v_lshlrev_b64_e64 v[30:31], v31, 1
	s_delay_alu instid0(VALU_DEP_2) | instskip(SKIP_1) | instid1(VALU_DEP_4)
	v_bfi_b32 v24, v24, 0, v10
	v_lshrrev_b64 v[10:11], v21, v[10:11]
	v_bfi_b32 v25, v25, 0, 0
	s_delay_alu instid0(VALU_DEP_2) | instskip(NEXT) | instid1(VALU_DEP_2)
	v_mov_b64_e32 v[96:97], v[10:11]
	v_cmpx_eq_u64_e64 v[24:25], v[30:31]
; %bb.2764:                             ;   in Loop: Header=BB4_2382 Depth=2
	v_bfe_u32 v24, v10, 21, 1
	v_mov_b32_e32 v25, v39
	s_delay_alu instid0(VALU_DEP_1) | instskip(NEXT) | instid1(VALU_DEP_1)
	v_add_nc_u64_e32 v[24:25], v[10:11], v[24:25]
	v_add_nc_u64_e32 v[96:97], -1, v[24:25]
; %bb.2765:                             ;   in Loop: Header=BB4_2382 Depth=2
	s_or_b32 exec_lo, exec_lo, s44
	v_add_nc_u32_e32 v11, 0xffffff81, v20
	v_lshrrev_b32_e32 v20, 23, v10
	s_mov_b32 s11, exec_lo
	s_delay_alu instid0(VALU_DEP_2) | instskip(NEXT) | instid1(VALU_DEP_1)
	v_cndmask_b32_e64 v11, v11, 0xffffff82, vcc_lo
	v_add3_u32 v21, v21, v11, v20
	v_and_b32_e32 v11, 0x1fffff, v96
                                        ; implicit-def: $vgpr20
	s_delay_alu instid0(VALU_DEP_1) | instskip(SKIP_1) | instid1(VALU_DEP_2)
	v_dual_add_nc_u32 v30, 14, v21 :: v_dual_add_nc_u32 v10, v11, v10
	v_mov_b32_e32 v11, v39
	v_cmpx_ne_u32_e32 0, v30
	s_xor_b32 s11, exec_lo, s11
; %bb.2766:                             ;   in Loop: Header=BB4_2382 Depth=2
	s_delay_alu instid0(VALU_DEP_2) | instskip(SKIP_2) | instid1(VALU_DEP_2)
	v_cmp_lt_u64_e32 vcc_lo, 0xffffff, v[10:11]
	v_add_nc_u32_e32 v20, 15, v21
	v_cndmask_b32_e64 v21, 0, 1, vcc_lo
	v_cndmask_b32_e32 v20, v30, v20, vcc_lo
	s_delay_alu instid0(VALU_DEP_2)
	v_lshrrev_b64 v[10:11], v21, v[10:11]
; %bb.2767:                             ;   in Loop: Header=BB4_2382 Depth=2
	s_and_not1_saveexec_b32 s11, s11
; %bb.2768:                             ;   in Loop: Header=BB4_2382 Depth=2
	s_delay_alu instid0(VALU_DEP_1)
	v_bfe_u32 v20, v10, 23, 1
; %bb.2769:                             ;   in Loop: Header=BB4_2382 Depth=2
	s_or_b32 exec_lo, exec_lo, s11
	s_delay_alu instid0(VALU_DEP_2) | instskip(NEXT) | instid1(VALU_DEP_2)
	v_lshrrev_b64 v[10:11], 21, v[10:11]
	v_cmp_gt_i32_e32 vcc_lo, 32, v20
	v_min_i32_e32 v21, 31, v20
	v_cmp_eq_u32_e64 s11, 0, v20
	s_delay_alu instid0(VALU_DEP_2) | instskip(SKIP_1) | instid1(VALU_DEP_2)
	v_dual_cndmask_b32 v11, 0, v11, vcc_lo :: v_dual_lshlrev_b32 v21, 2, v21
	v_cndmask_b32_e32 v10, 3, v10, vcc_lo
	v_and_b32_e32 v21, 0xfc, v21
	s_delay_alu instid0(VALU_DEP_2) | instskip(NEXT) | instid1(VALU_DEP_2)
	v_cmp_eq_u64_e32 vcc_lo, 0, v[10:11]
	v_and_or_b32 v10, v10, 3, v21
	s_and_b32 s11, s11, vcc_lo
	s_delay_alu instid0(VALU_DEP_1) | instid1(SALU_CYCLE_1)
	v_cndmask_b32_e64 v10, v10, 0, s11
	s_delay_alu instid0(VALU_DEP_1)
	v_or_b32_e32 v103, v10, v2
.LBB4_2770:                             ;   in Loop: Header=BB4_2382 Depth=2
	s_or_b32 exec_lo, exec_lo, s43
                                        ; implicit-def: $vgpr2
.LBB4_2771:                             ;   in Loop: Header=BB4_2382 Depth=2
	s_and_not1_saveexec_b32 s11, s42
; %bb.2772:                             ;   in Loop: Header=BB4_2382 Depth=2
	v_or_b32_e32 v103, 0x7b, v2
; %bb.2773:                             ;   in Loop: Header=BB4_2382 Depth=2
	s_or_b32 exec_lo, exec_lo, s11
                                        ; implicit-def: $vgpr30
                                        ; implicit-def: $vgpr10_vgpr11
                                        ; implicit-def: $vgpr2
.LBB4_2774:                             ;   in Loop: Header=BB4_2382 Depth=2
	s_and_not1_saveexec_b32 s11, s41
	s_cbranch_execz .LBB4_2780
; %bb.2775:                             ;   in Loop: Header=BB4_2382 Depth=2
	s_mov_b32 s41, exec_lo
                                        ; implicit-def: $vgpr103
	v_cmpx_ne_u64_e32 0, v[10:11]
	s_xor_b32 s41, exec_lo, s41
; %bb.2776:                             ;   in Loop: Header=BB4_2382 Depth=2
	v_or_b32_e32 v103, 0x7f, v2
                                        ; implicit-def: $vgpr30
; %bb.2777:                             ;   in Loop: Header=BB4_2382 Depth=2
	s_and_not1_saveexec_b32 s41, s41
; %bb.2778:                             ;   in Loop: Header=BB4_2382 Depth=2
	v_cmp_lt_i32_e32 vcc_lo, -1, v30
	v_cndmask_b32_e32 v103, 0xfc, v122, vcc_lo
; %bb.2779:                             ;   in Loop: Header=BB4_2382 Depth=2
	s_or_b32 exec_lo, exec_lo, s41
.LBB4_2780:                             ;   in Loop: Header=BB4_2382 Depth=2
	s_delay_alu instid0(SALU_CYCLE_1) | instskip(SKIP_3) | instid1(VALU_DEP_2)
	s_or_b32 exec_lo, exec_lo, s11
	v_lshrrev_b16 v10, 8, v38
	v_mov_b32_e32 v11, 0
	s_mov_b32 s11, exec_lo
	v_cmpx_ne_u16_e32 0, v10
	s_cbranch_execz .LBB4_2790
; %bb.2781:                             ;   in Loop: Header=BB4_2382 Depth=2
	v_bfrev_b32_e32 v11, 1
	s_mov_b32 s41, exec_lo
	v_cmpx_ne_u16_e32 0x80, v10
	s_cbranch_execz .LBB4_2789
; %bb.2782:                             ;   in Loop: Header=BB4_2382 Depth=2
	v_and_b32_e32 v20, 0xffff, v10
	s_delay_alu instid0(VALU_DEP_1) | instskip(SKIP_1) | instid1(VALU_DEP_2)
	v_and_b32_e32 v11, 0x7c, v20
	v_and_b32_e32 v2, 3, v20
	v_cmp_ne_u32_e32 vcc_lo, 0x7c, v11
                                        ; implicit-def: $vgpr11
	s_and_saveexec_b32 s42, vcc_lo
	s_delay_alu instid0(SALU_CYCLE_1)
	s_xor_b32 s42, exec_lo, s42
	s_cbranch_execz .LBB4_2786
; %bb.2783:                             ;   in Loop: Header=BB4_2382 Depth=2
	v_bfe_u32 v11, v20, 2, 5
	s_mov_b32 s43, exec_lo
	s_delay_alu instid0(VALU_DEP_1)
	v_cmpx_eq_u32_e32 0, v11
	s_cbranch_execz .LBB4_2785
; %bb.2784:                             ;   in Loop: Header=BB4_2382 Depth=2
	v_clz_i32_u32_e32 v2, v2
	v_mov_b32_e32 v11, v39
	s_delay_alu instid0(VALU_DEP_2) | instskip(NEXT) | instid1(VALU_DEP_1)
	v_min_u32_e32 v2, 32, v2
	v_subrev_nc_u32_e32 v20, 29, v2
	s_delay_alu instid0(VALU_DEP_1) | instskip(SKIP_1) | instid1(VALU_DEP_2)
	v_lshlrev_b64_e32 v[10:11], v20, v[10:11]
	v_sub_nc_u32_e32 v11, 30, v2
	v_and_b32_e32 v2, 3, v10
.LBB4_2785:                             ;   in Loop: Header=BB4_2382 Depth=2
	s_or_b32 exec_lo, exec_lo, s43
	v_lshlrev_b32_e32 v10, 16, v38
	s_delay_alu instid0(VALU_DEP_1) | instskip(NEXT) | instid1(VALU_DEP_1)
	v_and_b32_e32 v10, 0x80000000, v10
	v_lshl_add_u32 v10, v11, 23, v10
	s_delay_alu instid0(VALU_DEP_1) | instskip(NEXT) | instid1(VALU_DEP_1)
	v_lshl_or_b32 v2, v2, 21, v10
	v_add_nc_u32_e32 v11, 0x38000000, v2
                                        ; implicit-def: $vgpr2
.LBB4_2786:                             ;   in Loop: Header=BB4_2382 Depth=2
	s_and_not1_saveexec_b32 s42, s42
; %bb.2787:                             ;   in Loop: Header=BB4_2382 Depth=2
	v_cmp_lt_i16_e32 vcc_lo, -1, v38
	v_cndmask_b32_e32 v10, 0xff800000, v126, vcc_lo
	v_cmp_eq_u32_e32 vcc_lo, 0, v2
	s_delay_alu instid0(VALU_DEP_2)
	v_cndmask_b32_e32 v11, 0x7f800001, v10, vcc_lo
; %bb.2788:                             ;   in Loop: Header=BB4_2382 Depth=2
	s_or_b32 exec_lo, exec_lo, s42
.LBB4_2789:                             ;   in Loop: Header=BB4_2382 Depth=2
	s_delay_alu instid0(SALU_CYCLE_1)
	s_or_b32 exec_lo, exec_lo, s41
.LBB4_2790:                             ;   in Loop: Header=BB4_2382 Depth=2
	s_delay_alu instid0(SALU_CYCLE_1) | instskip(NEXT) | instid1(VALU_DEP_1)
	s_or_b32 exec_lo, exec_lo, s11
	v_dual_mul_f32 v10, s40, v11 :: v_dual_mov_b32 v21, v39
                                        ; implicit-def: $vgpr114
	s_mov_b32 s11, exec_lo
	s_delay_alu instid0(VALU_DEP_1) | instskip(SKIP_2) | instid1(VALU_DEP_3)
	v_and_b32_e32 v20, 0x7f800000, v10
	v_and_b32_e32 v38, 0x7fffff, v10
	v_lshrrev_b32_e32 v2, 24, v10
	v_cmpx_ne_u64_e32 0x7f800000, v[20:21]
	s_xor_b32 s41, exec_lo, s11
	s_cbranch_execz .LBB4_2804
; %bb.2791:                             ;   in Loop: Header=BB4_2382 Depth=2
	v_and_b32_e32 v20, 0x7fffffff, v10
	v_mov_b32_e32 v21, v39
	v_and_b32_e32 v2, 0x80, v2
                                        ; implicit-def: $vgpr114
	s_mov_b32 s11, exec_lo
	s_delay_alu instid0(VALU_DEP_2)
	v_cmpx_gt_u64_e32 0x47600001, v[20:21]
	s_xor_b32 s42, exec_lo, s11
	s_cbranch_execz .LBB4_2801
; %bb.2792:                             ;   in Loop: Header=BB4_2382 Depth=2
	v_mov_b32_e32 v114, 0
	s_mov_b32 s43, exec_lo
	v_cmpx_ne_u32_e32 0, v10
	s_cbranch_execz .LBB4_2800
; %bb.2793:                             ;   in Loop: Header=BB4_2382 Depth=2
	v_bfe_u32 v20, v10, 23, 8
	v_or_b32_e32 v24, 0x800000, v38
	s_delay_alu instid0(VALU_DEP_2) | instskip(SKIP_1) | instid1(VALU_DEP_2)
	v_dual_mov_b32 v25, v39 :: v_dual_sub_nc_u32 v10, 0x71, v20
	v_cmp_gt_u32_e32 vcc_lo, 0x72, v20
	v_cndmask_b32_e32 v10, 0, v10, vcc_lo
	v_cmp_eq_u32_e32 vcc_lo, 0, v20
	s_delay_alu instid0(VALU_DEP_2) | instskip(NEXT) | instid1(VALU_DEP_1)
	v_cndmask_b32_e64 v21, v10, 0x70, vcc_lo
	v_dual_cndmask_b32 v24, v24, v38, vcc_lo :: v_dual_add_nc_u32 v10, 21, v21
	v_add_nc_u32_e32 v30, 20, v21
	s_delay_alu instid0(VALU_DEP_2) | instskip(NEXT) | instid1(VALU_DEP_2)
	v_lshlrev_b64_e64 v[10:11], v10, -1
	v_lshlrev_b64_e64 v[30:31], v30, 1
	s_delay_alu instid0(VALU_DEP_2) | instskip(NEXT) | instid1(VALU_DEP_3)
	v_bfi_b32 v97, v11, 0, 0
	v_bfi_b32 v96, v10, 0, v24
	v_lshrrev_b64 v[10:11], v21, v[24:25]
	s_delay_alu instid0(VALU_DEP_2) | instskip(NEXT) | instid1(VALU_DEP_2)
	v_cmp_eq_u64_e64 s11, v[96:97], v[30:31]
	v_mov_b64_e32 v[96:97], v[10:11]
	s_and_saveexec_b32 s44, s11
; %bb.2794:                             ;   in Loop: Header=BB4_2382 Depth=2
	v_bfe_u32 v24, v10, 21, 1
	v_mov_b32_e32 v25, v39
	s_delay_alu instid0(VALU_DEP_1) | instskip(NEXT) | instid1(VALU_DEP_1)
	v_add_nc_u64_e32 v[24:25], v[10:11], v[24:25]
	v_add_nc_u64_e32 v[96:97], -1, v[24:25]
; %bb.2795:                             ;   in Loop: Header=BB4_2382 Depth=2
	s_or_b32 exec_lo, exec_lo, s44
	v_add_nc_u32_e32 v11, 0xffffff81, v20
	v_lshrrev_b32_e32 v20, 23, v10
	s_mov_b32 s11, exec_lo
	s_delay_alu instid0(VALU_DEP_2) | instskip(NEXT) | instid1(VALU_DEP_1)
	v_cndmask_b32_e64 v11, v11, 0xffffff82, vcc_lo
	v_add3_u32 v21, v21, v11, v20
	v_and_b32_e32 v11, 0x1fffff, v96
                                        ; implicit-def: $vgpr20
	s_delay_alu instid0(VALU_DEP_1) | instskip(NEXT) | instid1(VALU_DEP_1)
	v_dual_add_nc_u32 v30, 14, v21 :: v_dual_add_nc_u32 v38, v11, v10
                                        ; implicit-def: $vgpr10_vgpr11
	v_cmpx_ne_u32_e32 0, v30
	s_xor_b32 s11, exec_lo, s11
; %bb.2796:                             ;   in Loop: Header=BB4_2382 Depth=2
	s_delay_alu instid0(VALU_DEP_2) | instskip(SKIP_1) | instid1(VALU_DEP_1)
	v_cmp_lt_u64_e32 vcc_lo, 0xffffff, v[38:39]
	v_add_nc_u32_e32 v10, 15, v21
	v_cndmask_b32_e32 v20, v30, v10, vcc_lo
	v_cndmask_b32_e64 v10, 0, 1, vcc_lo
	s_delay_alu instid0(VALU_DEP_1)
	v_lshrrev_b64 v[10:11], v10, v[38:39]
; %bb.2797:                             ;   in Loop: Header=BB4_2382 Depth=2
	s_and_not1_saveexec_b32 s11, s11
; %bb.2798:                             ;   in Loop: Header=BB4_2382 Depth=2
	v_mov_b64_e32 v[10:11], v[38:39]
	v_bfe_u32 v20, v38, 23, 1
; %bb.2799:                             ;   in Loop: Header=BB4_2382 Depth=2
	s_or_b32 exec_lo, exec_lo, s11
	s_delay_alu instid0(VALU_DEP_2) | instskip(NEXT) | instid1(VALU_DEP_2)
	v_lshrrev_b64 v[10:11], 21, v[10:11]
	v_cmp_gt_i32_e32 vcc_lo, 32, v20
	v_min_i32_e32 v21, 31, v20
	v_cmp_eq_u32_e64 s11, 0, v20
	s_delay_alu instid0(VALU_DEP_2) | instskip(SKIP_1) | instid1(VALU_DEP_2)
	v_dual_cndmask_b32 v11, 0, v11, vcc_lo :: v_dual_lshlrev_b32 v21, 2, v21
	v_cndmask_b32_e32 v10, 3, v10, vcc_lo
	v_and_b32_e32 v21, 0xfc, v21
	s_delay_alu instid0(VALU_DEP_2) | instskip(NEXT) | instid1(VALU_DEP_2)
	v_cmp_eq_u64_e32 vcc_lo, 0, v[10:11]
	v_and_or_b32 v10, v10, 3, v21
	s_and_b32 s11, s11, vcc_lo
	s_delay_alu instid0(VALU_DEP_1) | instid1(SALU_CYCLE_1)
	v_cndmask_b32_e64 v10, v10, 0, s11
	s_delay_alu instid0(VALU_DEP_1)
	v_or_b32_e32 v114, v10, v2
.LBB4_2800:                             ;   in Loop: Header=BB4_2382 Depth=2
	s_or_b32 exec_lo, exec_lo, s43
                                        ; implicit-def: $vgpr2
.LBB4_2801:                             ;   in Loop: Header=BB4_2382 Depth=2
	s_and_not1_saveexec_b32 s11, s42
; %bb.2802:                             ;   in Loop: Header=BB4_2382 Depth=2
	v_or_b32_e32 v114, 0x7b, v2
; %bb.2803:                             ;   in Loop: Header=BB4_2382 Depth=2
	s_or_b32 exec_lo, exec_lo, s11
                                        ; implicit-def: $vgpr10
                                        ; implicit-def: $vgpr2
.LBB4_2804:                             ;   in Loop: Header=BB4_2382 Depth=2
	s_and_not1_saveexec_b32 s11, s41
	s_cbranch_execz .LBB4_2810
; %bb.2805:                             ;   in Loop: Header=BB4_2382 Depth=2
	s_mov_b32 s41, exec_lo
                                        ; implicit-def: $vgpr114
	v_cmpx_ne_u64_e32 0, v[38:39]
	s_xor_b32 s41, exec_lo, s41
; %bb.2806:                             ;   in Loop: Header=BB4_2382 Depth=2
	v_or_b32_e32 v114, 0x7f, v2
                                        ; implicit-def: $vgpr10
; %bb.2807:                             ;   in Loop: Header=BB4_2382 Depth=2
	s_and_not1_saveexec_b32 s41, s41
; %bb.2808:                             ;   in Loop: Header=BB4_2382 Depth=2
	v_cmp_lt_i32_e32 vcc_lo, -1, v10
	v_cndmask_b32_e32 v114, 0xfc, v122, vcc_lo
; %bb.2809:                             ;   in Loop: Header=BB4_2382 Depth=2
	s_or_b32 exec_lo, exec_lo, s41
.LBB4_2810:                             ;   in Loop: Header=BB4_2382 Depth=2
	s_delay_alu instid0(SALU_CYCLE_1) | instskip(SKIP_2) | instid1(VALU_DEP_1)
	s_or_b32 exec_lo, exec_lo, s11
	v_dual_lshrrev_b32 v10, 16, v13 :: v_dual_mov_b32 v2, 0
	s_mov_b32 s11, exec_lo
	v_and_b32_e32 v11, 0xff, v10
	s_delay_alu instid0(VALU_DEP_1)
	v_cmpx_ne_u16_e32 0, v11
	s_cbranch_execz .LBB4_2820
; %bb.2811:                             ;   in Loop: Header=BB4_2382 Depth=2
	v_bfrev_b32_e32 v2, 1
	s_mov_b32 s41, exec_lo
	v_cmpx_ne_u16_e32 0x80, v11
	s_cbranch_execz .LBB4_2819
; %bb.2812:                             ;   in Loop: Header=BB4_2382 Depth=2
	v_and_b32_e32 v2, 0x7c0000, v13
	v_bfe_u32 v11, v13, 16, 2
	s_delay_alu instid0(VALU_DEP_2) | instskip(SKIP_1) | instid1(SALU_CYCLE_1)
	v_cmp_ne_u32_e32 vcc_lo, 0x7c0000, v2
                                        ; implicit-def: $vgpr2
	s_and_saveexec_b32 s42, vcc_lo
	s_xor_b32 s42, exec_lo, s42
	s_cbranch_execz .LBB4_2816
; %bb.2813:                             ;   in Loop: Header=BB4_2382 Depth=2
	v_bfe_u32 v2, v13, 18, 5
	s_mov_b32 s43, exec_lo
	s_delay_alu instid0(VALU_DEP_1)
	v_cmpx_eq_u32_e32 0, v2
; %bb.2814:                             ;   in Loop: Header=BB4_2382 Depth=2
	v_clz_i32_u32_e32 v2, v11
	s_delay_alu instid0(VALU_DEP_1) | instskip(NEXT) | instid1(VALU_DEP_1)
	v_min_u32_e32 v2, 32, v2
	v_subrev_nc_u32_e32 v11, 29, v2
	s_delay_alu instid0(VALU_DEP_1) | instskip(NEXT) | instid1(VALU_DEP_1)
	v_lshlrev_b64_e32 v[20:21], v11, v[10:11]
	v_dual_sub_nc_u32 v2, 30, v2 :: v_dual_bitop2_b32 v11, 3, v20 bitop3:0x40
; %bb.2815:                             ;   in Loop: Header=BB4_2382 Depth=2
	s_or_b32 exec_lo, exec_lo, s43
	v_lshlrev_b32_e32 v10, 24, v10
	s_delay_alu instid0(VALU_DEP_1) | instskip(NEXT) | instid1(VALU_DEP_1)
	v_and_b32_e32 v10, 0x80000000, v10
	v_lshl_add_u32 v2, v2, 23, v10
                                        ; implicit-def: $vgpr10
	s_delay_alu instid0(VALU_DEP_1) | instskip(NEXT) | instid1(VALU_DEP_1)
	v_lshl_or_b32 v2, v11, 21, v2
                                        ; implicit-def: $vgpr11
	v_add_nc_u32_e32 v2, 0x38000000, v2
.LBB4_2816:                             ;   in Loop: Header=BB4_2382 Depth=2
	s_and_not1_saveexec_b32 s42, s42
; %bb.2817:                             ;   in Loop: Header=BB4_2382 Depth=2
	v_bfe_i32 v2, v10, 0, 8
	s_delay_alu instid0(VALU_DEP_1) | instskip(SKIP_2) | instid1(VALU_DEP_2)
	v_cmp_lt_i16_e32 vcc_lo, -1, v2
	v_cndmask_b32_e32 v2, 0xff800000, v126, vcc_lo
	v_cmp_eq_u32_e32 vcc_lo, 0, v11
	v_cndmask_b32_e32 v2, 0x7f800001, v2, vcc_lo
; %bb.2818:                             ;   in Loop: Header=BB4_2382 Depth=2
	s_or_b32 exec_lo, exec_lo, s42
.LBB4_2819:                             ;   in Loop: Header=BB4_2382 Depth=2
	s_delay_alu instid0(SALU_CYCLE_1)
	s_or_b32 exec_lo, exec_lo, s41
.LBB4_2820:                             ;   in Loop: Header=BB4_2382 Depth=2
	s_delay_alu instid0(SALU_CYCLE_1) | instskip(NEXT) | instid1(VALU_DEP_1)
	s_or_b32 exec_lo, exec_lo, s11
	v_dual_mul_f32 v10, s40, v2 :: v_dual_mov_b32 v21, v39
                                        ; implicit-def: $vgpr116
	s_mov_b32 s11, exec_lo
	s_delay_alu instid0(VALU_DEP_1) | instskip(SKIP_2) | instid1(VALU_DEP_3)
	v_and_b32_e32 v20, 0x7f800000, v10
	v_and_b32_e32 v38, 0x7fffff, v10
	v_lshrrev_b32_e32 v2, 24, v10
	v_cmpx_ne_u64_e32 0x7f800000, v[20:21]
	s_xor_b32 s41, exec_lo, s11
	s_cbranch_execz .LBB4_2834
; %bb.2821:                             ;   in Loop: Header=BB4_2382 Depth=2
	v_and_b32_e32 v20, 0x7fffffff, v10
	v_mov_b32_e32 v21, v39
	v_and_b32_e32 v2, 0x80, v2
                                        ; implicit-def: $vgpr116
	s_mov_b32 s11, exec_lo
	s_delay_alu instid0(VALU_DEP_2)
	v_cmpx_gt_u64_e32 0x47600001, v[20:21]
	s_xor_b32 s42, exec_lo, s11
	s_cbranch_execz .LBB4_2831
; %bb.2822:                             ;   in Loop: Header=BB4_2382 Depth=2
	v_mov_b32_e32 v116, 0
	s_mov_b32 s43, exec_lo
	v_cmpx_ne_u32_e32 0, v10
	s_cbranch_execz .LBB4_2830
; %bb.2823:                             ;   in Loop: Header=BB4_2382 Depth=2
	v_bfe_u32 v20, v10, 23, 8
	v_or_b32_e32 v24, 0x800000, v38
	s_delay_alu instid0(VALU_DEP_2) | instskip(SKIP_1) | instid1(VALU_DEP_2)
	v_dual_mov_b32 v25, v39 :: v_dual_sub_nc_u32 v10, 0x71, v20
	v_cmp_gt_u32_e32 vcc_lo, 0x72, v20
	v_cndmask_b32_e32 v10, 0, v10, vcc_lo
	v_cmp_eq_u32_e32 vcc_lo, 0, v20
	s_delay_alu instid0(VALU_DEP_2) | instskip(NEXT) | instid1(VALU_DEP_1)
	v_cndmask_b32_e64 v21, v10, 0x70, vcc_lo
	v_dual_cndmask_b32 v24, v24, v38, vcc_lo :: v_dual_add_nc_u32 v10, 21, v21
	v_add_nc_u32_e32 v30, 20, v21
	s_delay_alu instid0(VALU_DEP_2) | instskip(NEXT) | instid1(VALU_DEP_2)
	v_lshlrev_b64_e64 v[10:11], v10, -1
	v_lshlrev_b64_e64 v[30:31], v30, 1
	s_delay_alu instid0(VALU_DEP_2) | instskip(NEXT) | instid1(VALU_DEP_3)
	v_bfi_b32 v97, v11, 0, 0
	v_bfi_b32 v96, v10, 0, v24
	v_lshrrev_b64 v[10:11], v21, v[24:25]
	s_delay_alu instid0(VALU_DEP_2) | instskip(NEXT) | instid1(VALU_DEP_2)
	v_cmp_eq_u64_e64 s11, v[96:97], v[30:31]
	v_mov_b64_e32 v[96:97], v[10:11]
	s_and_saveexec_b32 s44, s11
; %bb.2824:                             ;   in Loop: Header=BB4_2382 Depth=2
	v_bfe_u32 v24, v10, 21, 1
	v_mov_b32_e32 v25, v39
	s_delay_alu instid0(VALU_DEP_1) | instskip(NEXT) | instid1(VALU_DEP_1)
	v_add_nc_u64_e32 v[24:25], v[10:11], v[24:25]
	v_add_nc_u64_e32 v[96:97], -1, v[24:25]
; %bb.2825:                             ;   in Loop: Header=BB4_2382 Depth=2
	s_or_b32 exec_lo, exec_lo, s44
	v_add_nc_u32_e32 v11, 0xffffff81, v20
	v_lshrrev_b32_e32 v20, 23, v10
	s_mov_b32 s11, exec_lo
	s_delay_alu instid0(VALU_DEP_2) | instskip(NEXT) | instid1(VALU_DEP_1)
	v_cndmask_b32_e64 v11, v11, 0xffffff82, vcc_lo
	v_add3_u32 v21, v21, v11, v20
	v_and_b32_e32 v11, 0x1fffff, v96
                                        ; implicit-def: $vgpr20
	s_delay_alu instid0(VALU_DEP_1) | instskip(NEXT) | instid1(VALU_DEP_1)
	v_dual_add_nc_u32 v30, 14, v21 :: v_dual_add_nc_u32 v38, v11, v10
                                        ; implicit-def: $vgpr10_vgpr11
	v_cmpx_ne_u32_e32 0, v30
	s_xor_b32 s11, exec_lo, s11
; %bb.2826:                             ;   in Loop: Header=BB4_2382 Depth=2
	s_delay_alu instid0(VALU_DEP_2) | instskip(SKIP_1) | instid1(VALU_DEP_1)
	v_cmp_lt_u64_e32 vcc_lo, 0xffffff, v[38:39]
	v_add_nc_u32_e32 v10, 15, v21
	v_cndmask_b32_e32 v20, v30, v10, vcc_lo
	v_cndmask_b32_e64 v10, 0, 1, vcc_lo
	s_delay_alu instid0(VALU_DEP_1)
	v_lshrrev_b64 v[10:11], v10, v[38:39]
; %bb.2827:                             ;   in Loop: Header=BB4_2382 Depth=2
	s_and_not1_saveexec_b32 s11, s11
; %bb.2828:                             ;   in Loop: Header=BB4_2382 Depth=2
	v_mov_b64_e32 v[10:11], v[38:39]
	v_bfe_u32 v20, v38, 23, 1
; %bb.2829:                             ;   in Loop: Header=BB4_2382 Depth=2
	s_or_b32 exec_lo, exec_lo, s11
	s_delay_alu instid0(VALU_DEP_2) | instskip(NEXT) | instid1(VALU_DEP_2)
	v_lshrrev_b64 v[10:11], 21, v[10:11]
	v_cmp_gt_i32_e32 vcc_lo, 32, v20
	v_min_i32_e32 v21, 31, v20
	v_cmp_eq_u32_e64 s11, 0, v20
	s_delay_alu instid0(VALU_DEP_2) | instskip(SKIP_1) | instid1(VALU_DEP_2)
	v_dual_cndmask_b32 v11, 0, v11, vcc_lo :: v_dual_lshlrev_b32 v21, 2, v21
	v_cndmask_b32_e32 v10, 3, v10, vcc_lo
	v_and_b32_e32 v21, 0xfc, v21
	s_delay_alu instid0(VALU_DEP_2) | instskip(NEXT) | instid1(VALU_DEP_2)
	v_cmp_eq_u64_e32 vcc_lo, 0, v[10:11]
	v_and_or_b32 v10, v10, 3, v21
	s_and_b32 s11, s11, vcc_lo
	s_delay_alu instid0(VALU_DEP_1) | instid1(SALU_CYCLE_1)
	v_cndmask_b32_e64 v10, v10, 0, s11
	s_delay_alu instid0(VALU_DEP_1)
	v_or_b32_e32 v116, v10, v2
.LBB4_2830:                             ;   in Loop: Header=BB4_2382 Depth=2
	s_or_b32 exec_lo, exec_lo, s43
                                        ; implicit-def: $vgpr2
.LBB4_2831:                             ;   in Loop: Header=BB4_2382 Depth=2
	s_and_not1_saveexec_b32 s11, s42
; %bb.2832:                             ;   in Loop: Header=BB4_2382 Depth=2
	v_or_b32_e32 v116, 0x7b, v2
; %bb.2833:                             ;   in Loop: Header=BB4_2382 Depth=2
	s_or_b32 exec_lo, exec_lo, s11
                                        ; implicit-def: $vgpr10
                                        ; implicit-def: $vgpr2
.LBB4_2834:                             ;   in Loop: Header=BB4_2382 Depth=2
	s_and_not1_saveexec_b32 s11, s41
	s_cbranch_execz .LBB4_2840
; %bb.2835:                             ;   in Loop: Header=BB4_2382 Depth=2
	s_mov_b32 s41, exec_lo
                                        ; implicit-def: $vgpr116
	v_cmpx_ne_u64_e32 0, v[38:39]
	s_xor_b32 s41, exec_lo, s41
; %bb.2836:                             ;   in Loop: Header=BB4_2382 Depth=2
	v_or_b32_e32 v116, 0x7f, v2
                                        ; implicit-def: $vgpr10
; %bb.2837:                             ;   in Loop: Header=BB4_2382 Depth=2
	s_and_not1_saveexec_b32 s41, s41
; %bb.2838:                             ;   in Loop: Header=BB4_2382 Depth=2
	v_cmp_lt_i32_e32 vcc_lo, -1, v10
	v_cndmask_b32_e32 v116, 0xfc, v122, vcc_lo
; %bb.2839:                             ;   in Loop: Header=BB4_2382 Depth=2
	s_or_b32 exec_lo, exec_lo, s41
.LBB4_2840:                             ;   in Loop: Header=BB4_2382 Depth=2
	s_delay_alu instid0(SALU_CYCLE_1)
	s_or_b32 exec_lo, exec_lo, s11
	v_mov_b32_e32 v2, 0
	s_mov_b32 s11, exec_lo
	v_cmpx_lt_u64_e64 s[12:13], v[12:13]
	s_cbranch_execz .LBB4_2850
; %bb.2841:                             ;   in Loop: Header=BB4_2382 Depth=2
	v_lshrrev_b32_e32 v10, 24, v13
	v_bfrev_b32_e32 v2, 1
	s_mov_b32 s41, exec_lo
	s_delay_alu instid0(VALU_DEP_2)
	v_cmpx_ne_u32_e32 0x80, v10
	s_cbranch_execz .LBB4_2849
; %bb.2842:                             ;   in Loop: Header=BB4_2382 Depth=2
	v_and_b32_e32 v2, 0x7c000000, v13
	v_bfe_u32 v11, v13, 24, 2
	s_delay_alu instid0(VALU_DEP_2) | instskip(SKIP_1) | instid1(SALU_CYCLE_1)
	v_cmp_ne_u32_e32 vcc_lo, 0x7c000000, v2
                                        ; implicit-def: $vgpr2
	s_and_saveexec_b32 s42, vcc_lo
	s_xor_b32 s42, exec_lo, s42
	s_cbranch_execz .LBB4_2846
; %bb.2843:                             ;   in Loop: Header=BB4_2382 Depth=2
	v_bfe_u32 v2, v13, 26, 5
	s_mov_b32 s43, exec_lo
	s_delay_alu instid0(VALU_DEP_1)
	v_cmpx_eq_u32_e32 0, v2
; %bb.2844:                             ;   in Loop: Header=BB4_2382 Depth=2
	v_clz_i32_u32_e32 v2, v11
	s_delay_alu instid0(VALU_DEP_1) | instskip(NEXT) | instid1(VALU_DEP_1)
	v_min_u32_e32 v2, 32, v2
	v_subrev_nc_u32_e32 v11, 29, v2
	v_sub_nc_u32_e32 v2, 30, v2
	s_delay_alu instid0(VALU_DEP_2) | instskip(NEXT) | instid1(VALU_DEP_1)
	v_lshlrev_b64_e32 v[10:11], v11, v[10:11]
	v_and_b32_e32 v11, 3, v10
; %bb.2845:                             ;   in Loop: Header=BB4_2382 Depth=2
	s_or_b32 exec_lo, exec_lo, s43
	v_and_b32_e32 v10, 0x80000000, v13
                                        ; implicit-def: $vgpr12_vgpr13
	s_delay_alu instid0(VALU_DEP_1) | instskip(NEXT) | instid1(VALU_DEP_1)
	v_lshl_add_u32 v2, v2, 23, v10
	v_lshl_or_b32 v2, v11, 21, v2
                                        ; implicit-def: $vgpr11
	s_delay_alu instid0(VALU_DEP_1)
	v_add_nc_u32_e32 v2, 0x38000000, v2
.LBB4_2846:                             ;   in Loop: Header=BB4_2382 Depth=2
	s_and_not1_saveexec_b32 s42, s42
; %bb.2847:                             ;   in Loop: Header=BB4_2382 Depth=2
	v_cmp_lt_i64_e32 vcc_lo, -1, v[12:13]
	v_cndmask_b32_e32 v2, 0xff800000, v126, vcc_lo
	v_cmp_eq_u32_e32 vcc_lo, 0, v11
	s_delay_alu instid0(VALU_DEP_2)
	v_cndmask_b32_e32 v2, 0x7f800001, v2, vcc_lo
; %bb.2848:                             ;   in Loop: Header=BB4_2382 Depth=2
	s_or_b32 exec_lo, exec_lo, s42
.LBB4_2849:                             ;   in Loop: Header=BB4_2382 Depth=2
	s_delay_alu instid0(SALU_CYCLE_1)
	s_or_b32 exec_lo, exec_lo, s41
.LBB4_2850:                             ;   in Loop: Header=BB4_2382 Depth=2
	s_delay_alu instid0(SALU_CYCLE_1) | instskip(NEXT) | instid1(VALU_DEP_1)
	s_or_b32 exec_lo, exec_lo, s11
	v_dual_mul_f32 v10, s40, v2 :: v_dual_mov_b32 v13, v39
                                        ; implicit-def: $vgpr119
	s_mov_b32 s11, exec_lo
	s_delay_alu instid0(VALU_DEP_1) | instskip(SKIP_2) | instid1(VALU_DEP_3)
	v_and_b32_e32 v12, 0x7f800000, v10
	v_and_b32_e32 v38, 0x7fffff, v10
	v_lshrrev_b32_e32 v2, 24, v10
	v_cmpx_ne_u64_e32 0x7f800000, v[12:13]
	s_xor_b32 s40, exec_lo, s11
	s_cbranch_execz .LBB4_2864
; %bb.2851:                             ;   in Loop: Header=BB4_2382 Depth=2
	v_and_b32_e32 v12, 0x7fffffff, v10
	v_mov_b32_e32 v13, v39
	v_and_b32_e32 v2, 0x80, v2
                                        ; implicit-def: $vgpr119
	s_mov_b32 s11, exec_lo
	s_delay_alu instid0(VALU_DEP_2)
	v_cmpx_gt_u64_e32 0x47600001, v[12:13]
	s_xor_b32 s41, exec_lo, s11
	s_cbranch_execz .LBB4_2861
; %bb.2852:                             ;   in Loop: Header=BB4_2382 Depth=2
	v_mov_b32_e32 v119, 0
	s_mov_b32 s42, exec_lo
	v_cmpx_ne_u32_e32 0, v10
	s_cbranch_execz .LBB4_2860
; %bb.2853:                             ;   in Loop: Header=BB4_2382 Depth=2
	v_bfe_u32 v20, v10, 23, 8
	v_or_b32_e32 v12, 0x800000, v38
	s_mov_b32 s43, exec_lo
	s_delay_alu instid0(VALU_DEP_2) | instskip(SKIP_1) | instid1(VALU_DEP_2)
	v_dual_mov_b32 v13, v39 :: v_dual_sub_nc_u32 v10, 0x71, v20
	v_cmp_gt_u32_e32 vcc_lo, 0x72, v20
	v_cndmask_b32_e32 v10, 0, v10, vcc_lo
	v_cmp_eq_u32_e32 vcc_lo, 0, v20
	s_delay_alu instid0(VALU_DEP_2) | instskip(NEXT) | instid1(VALU_DEP_1)
	v_cndmask_b32_e64 v21, v10, 0x70, vcc_lo
	v_dual_cndmask_b32 v12, v12, v38, vcc_lo :: v_dual_add_nc_u32 v10, 21, v21
	v_add_nc_u32_e32 v24, 20, v21
	s_delay_alu instid0(VALU_DEP_2) | instskip(NEXT) | instid1(VALU_DEP_2)
	v_lshlrev_b64_e64 v[10:11], v10, -1
	v_lshlrev_b64_e64 v[24:25], v24, 1
	s_delay_alu instid0(VALU_DEP_2) | instskip(NEXT) | instid1(VALU_DEP_3)
	v_bfi_b32 v31, v11, 0, 0
	v_bfi_b32 v30, v10, 0, v12
	v_lshrrev_b64 v[10:11], v21, v[12:13]
	s_delay_alu instid0(VALU_DEP_1) | instskip(NEXT) | instid1(VALU_DEP_3)
	v_mov_b64_e32 v[12:13], v[10:11]
	v_cmpx_eq_u64_e64 v[30:31], v[24:25]
; %bb.2854:                             ;   in Loop: Header=BB4_2382 Depth=2
	v_bfe_u32 v12, v10, 21, 1
	v_mov_b32_e32 v13, v39
	s_delay_alu instid0(VALU_DEP_1) | instskip(NEXT) | instid1(VALU_DEP_1)
	v_add_nc_u64_e32 v[12:13], v[10:11], v[12:13]
	v_add_nc_u64_e32 v[12:13], -1, v[12:13]
; %bb.2855:                             ;   in Loop: Header=BB4_2382 Depth=2
	s_or_b32 exec_lo, exec_lo, s43
	v_add_nc_u32_e32 v11, 0xffffff81, v20
	v_lshrrev_b32_e32 v13, 23, v10
	s_mov_b32 s11, exec_lo
	s_delay_alu instid0(VALU_DEP_2) | instskip(NEXT) | instid1(VALU_DEP_1)
	v_cndmask_b32_e64 v11, v11, 0xffffff82, vcc_lo
	v_add3_u32 v13, v21, v11, v13
	v_and_b32_e32 v11, 0x1fffff, v12
                                        ; implicit-def: $vgpr12
	s_delay_alu instid0(VALU_DEP_1) | instskip(NEXT) | instid1(VALU_DEP_1)
	v_dual_add_nc_u32 v20, 14, v13 :: v_dual_add_nc_u32 v38, v11, v10
                                        ; implicit-def: $vgpr10_vgpr11
	v_cmpx_ne_u32_e32 0, v20
	s_xor_b32 s11, exec_lo, s11
; %bb.2856:                             ;   in Loop: Header=BB4_2382 Depth=2
	s_delay_alu instid0(VALU_DEP_2) | instskip(SKIP_1) | instid1(VALU_DEP_1)
	v_cmp_lt_u64_e32 vcc_lo, 0xffffff, v[38:39]
	v_add_nc_u32_e32 v10, 15, v13
	v_cndmask_b32_e32 v12, v20, v10, vcc_lo
	v_cndmask_b32_e64 v10, 0, 1, vcc_lo
	s_delay_alu instid0(VALU_DEP_1)
	v_lshrrev_b64 v[10:11], v10, v[38:39]
; %bb.2857:                             ;   in Loop: Header=BB4_2382 Depth=2
	s_and_not1_saveexec_b32 s11, s11
; %bb.2858:                             ;   in Loop: Header=BB4_2382 Depth=2
	v_mov_b64_e32 v[10:11], v[38:39]
	v_bfe_u32 v12, v38, 23, 1
; %bb.2859:                             ;   in Loop: Header=BB4_2382 Depth=2
	s_or_b32 exec_lo, exec_lo, s11
	s_delay_alu instid0(VALU_DEP_2) | instskip(NEXT) | instid1(VALU_DEP_2)
	v_lshrrev_b64 v[10:11], 21, v[10:11]
	v_cmp_gt_i32_e32 vcc_lo, 32, v12
	v_min_i32_e32 v13, 31, v12
	v_cmp_eq_u32_e64 s11, 0, v12
	s_delay_alu instid0(VALU_DEP_2) | instskip(SKIP_1) | instid1(VALU_DEP_2)
	v_dual_cndmask_b32 v11, 0, v11, vcc_lo :: v_dual_lshlrev_b32 v13, 2, v13
	v_cndmask_b32_e32 v10, 3, v10, vcc_lo
	v_and_b32_e32 v13, 0xfc, v13
	s_delay_alu instid0(VALU_DEP_2) | instskip(NEXT) | instid1(VALU_DEP_2)
	v_cmp_eq_u64_e32 vcc_lo, 0, v[10:11]
	v_and_or_b32 v10, v10, 3, v13
	s_and_b32 s11, s11, vcc_lo
	s_delay_alu instid0(VALU_DEP_1) | instid1(SALU_CYCLE_1)
	v_cndmask_b32_e64 v10, v10, 0, s11
	s_delay_alu instid0(VALU_DEP_1)
	v_or_b32_e32 v119, v10, v2
.LBB4_2860:                             ;   in Loop: Header=BB4_2382 Depth=2
	s_or_b32 exec_lo, exec_lo, s42
                                        ; implicit-def: $vgpr2
.LBB4_2861:                             ;   in Loop: Header=BB4_2382 Depth=2
	s_and_not1_saveexec_b32 s11, s41
; %bb.2862:                             ;   in Loop: Header=BB4_2382 Depth=2
	v_or_b32_e32 v119, 0x7b, v2
; %bb.2863:                             ;   in Loop: Header=BB4_2382 Depth=2
	s_or_b32 exec_lo, exec_lo, s11
                                        ; implicit-def: $vgpr10
                                        ; implicit-def: $vgpr2
.LBB4_2864:                             ;   in Loop: Header=BB4_2382 Depth=2
	s_and_not1_saveexec_b32 s11, s40
	s_cbranch_execz .LBB4_2870
; %bb.2865:                             ;   in Loop: Header=BB4_2382 Depth=2
	s_mov_b32 s40, exec_lo
                                        ; implicit-def: $vgpr119
	v_cmpx_ne_u64_e32 0, v[38:39]
	s_xor_b32 s40, exec_lo, s40
; %bb.2866:                             ;   in Loop: Header=BB4_2382 Depth=2
	v_or_b32_e32 v119, 0x7f, v2
                                        ; implicit-def: $vgpr10
; %bb.2867:                             ;   in Loop: Header=BB4_2382 Depth=2
	s_and_not1_saveexec_b32 s40, s40
; %bb.2868:                             ;   in Loop: Header=BB4_2382 Depth=2
	v_cmp_lt_i32_e32 vcc_lo, -1, v10
	v_cndmask_b32_e32 v119, 0xfc, v122, vcc_lo
; %bb.2869:                             ;   in Loop: Header=BB4_2382 Depth=2
	s_or_b32 exec_lo, exec_lo, s40
.LBB4_2870:                             ;   in Loop: Header=BB4_2382 Depth=2
	s_delay_alu instid0(SALU_CYCLE_1)
	s_or_b32 exec_lo, exec_lo, s11
	global_load_b128 v[10:13], v[86:87], off th:TH_LOAD_NT
	v_lshl_or_b32 v2, v102, 8, v101
	v_dual_lshlrev_b32 v20, 16, v112 :: v_dual_lshlrev_b32 v21, 24, v115
	v_mov_b32_e32 v30, 0
	s_mov_b32 s11, exec_lo
	s_delay_alu instid0(VALU_DEP_2)
	v_or3_b32 v38, v20, v21, v2
	s_wait_xcnt 0x0
	v_cmpx_ne_u32_e32 0, v101
	s_cbranch_execz .LBB4_2880
; %bb.2871:                             ;   in Loop: Header=BB4_2382 Depth=2
	v_bfrev_b32_e32 v30, 1
	s_mov_b32 s40, exec_lo
	v_cmpx_ne_u32_e32 0x80, v101
	s_cbranch_execz .LBB4_2879
; %bb.2872:                             ;   in Loop: Header=BB4_2382 Depth=2
	v_and_b32_e32 v21, 0x7c, v101
	v_and_b32_e32 v20, 3, v101
	s_mov_b32 s41, exec_lo
                                        ; implicit-def: $vgpr30
	s_delay_alu instid0(VALU_DEP_2)
	v_cmpx_ne_u32_e32 0x7c, v21
	s_xor_b32 s41, exec_lo, s41
	s_cbranch_execz .LBB4_2876
; %bb.2873:                             ;   in Loop: Header=BB4_2382 Depth=2
	v_bfe_u32 v21, v101, 2, 5
	s_mov_b32 s42, exec_lo
	s_delay_alu instid0(VALU_DEP_1)
	v_cmpx_eq_u32_e32 0, v21
; %bb.2874:                             ;   in Loop: Header=BB4_2382 Depth=2
	v_clz_i32_u32_e32 v20, v20
	s_delay_alu instid0(VALU_DEP_1) | instskip(NEXT) | instid1(VALU_DEP_1)
	v_min_u32_e32 v24, 32, v20
	v_subrev_nc_u32_e32 v20, 29, v24
	s_delay_alu instid0(VALU_DEP_1) | instskip(SKIP_1) | instid1(VALU_DEP_2)
	v_lshlrev_b64_e32 v[20:21], v20, v[38:39]
	v_sub_nc_u32_e32 v21, 30, v24
	v_and_b32_e32 v20, 3, v20
; %bb.2875:                             ;   in Loop: Header=BB4_2382 Depth=2
	s_or_b32 exec_lo, exec_lo, s42
	v_lshlrev_b32_e32 v24, 24, v101
                                        ; implicit-def: $vgpr101
	s_delay_alu instid0(VALU_DEP_1) | instskip(NEXT) | instid1(VALU_DEP_1)
	v_and_b32_e32 v24, 0x80000000, v24
	v_lshl_add_u32 v21, v21, 23, v24
	s_delay_alu instid0(VALU_DEP_1) | instskip(NEXT) | instid1(VALU_DEP_1)
	v_lshl_or_b32 v20, v20, 21, v21
	v_add_nc_u32_e32 v30, 0x38000000, v20
                                        ; implicit-def: $vgpr20
.LBB4_2876:                             ;   in Loop: Header=BB4_2382 Depth=2
	s_and_not1_saveexec_b32 s41, s41
; %bb.2877:                             ;   in Loop: Header=BB4_2382 Depth=2
	v_and_b32_e32 v21, 0x80, v101
	s_delay_alu instid0(VALU_DEP_1) | instskip(SKIP_2) | instid1(VALU_DEP_2)
	v_cmp_eq_u32_e32 vcc_lo, 0, v21
	v_cndmask_b32_e32 v21, 0xff800000, v126, vcc_lo
	v_cmp_eq_u32_e32 vcc_lo, 0, v20
	v_cndmask_b32_e32 v30, 0x7f800001, v21, vcc_lo
; %bb.2878:                             ;   in Loop: Header=BB4_2382 Depth=2
	s_or_b32 exec_lo, exec_lo, s41
.LBB4_2879:                             ;   in Loop: Header=BB4_2382 Depth=2
	s_delay_alu instid0(SALU_CYCLE_1)
	s_or_b32 exec_lo, exec_lo, s40
.LBB4_2880:                             ;   in Loop: Header=BB4_2382 Depth=2
	s_delay_alu instid0(SALU_CYCLE_1) | instskip(SKIP_4) | instid1(VALU_DEP_1)
	s_or_b32 exec_lo, exec_lo, s11
	s_wait_loadcnt 0x0
	v_and_b32_e32 v21, 0xff, v10
	s_mov_b32 s40, 0
	s_mov_b32 s11, exec_lo
	v_cmpx_lt_i16_e32 0x7f, v21
	s_xor_b32 s11, exec_lo, s11
	s_cbranch_execnz .LBB4_3397
; %bb.2881:                             ;   in Loop: Header=BB4_2382 Depth=2
	s_or_saveexec_b32 s11, s11
	v_bfrev_b32_e32 v20, 1
	s_xor_b32 exec_lo, exec_lo, s11
	s_cbranch_execnz .LBB4_3400
.LBB4_2882:                             ;   in Loop: Header=BB4_2382 Depth=2
	s_or_b32 exec_lo, exec_lo, s11
	s_and_saveexec_b32 s11, s40
	s_cbranch_execz .LBB4_2884
.LBB4_2883:                             ;   in Loop: Header=BB4_2382 Depth=2
	v_and_b32_e32 v24, 3, v10
	v_bfe_u32 v31, v10, 2, 5
	s_delay_alu instid0(VALU_DEP_2) | instskip(NEXT) | instid1(VALU_DEP_2)
	v_clz_i32_u32_e32 v20, v24
	v_cmp_eq_u32_e32 vcc_lo, 0, v31
	s_delay_alu instid0(VALU_DEP_2) | instskip(NEXT) | instid1(VALU_DEP_1)
	v_min_u32_e32 v25, 32, v20
	v_subrev_nc_u32_e32 v20, 29, v25
	s_delay_alu instid0(VALU_DEP_1) | instskip(SKIP_1) | instid1(VALU_DEP_1)
	v_lshlrev_b64_e32 v[20:21], v20, v[10:11]
	v_dual_lshlrev_b32 v21, 24, v10 :: v_dual_sub_nc_u32 v25, 30, v25
	v_and_b32_e32 v21, 0x80000000, v21
	s_delay_alu instid0(VALU_DEP_2) | instskip(SKIP_1) | instid1(VALU_DEP_2)
	v_dual_cndmask_b32 v25, v31, v25, vcc_lo :: v_dual_bitop2_b32 v20, 3, v20 bitop3:0x40
	v_bfe_i32 v31, v10, 0, 8
	v_cndmask_b32_e32 v20, v24, v20, vcc_lo
	s_delay_alu instid0(VALU_DEP_3) | instskip(NEXT) | instid1(VALU_DEP_3)
	v_lshl_add_u32 v21, v25, 23, v21
	v_cmp_lt_i16_e32 vcc_lo, -1, v31
	s_delay_alu instid0(VALU_DEP_2) | instskip(SKIP_3) | instid1(VALU_DEP_4)
	v_lshl_or_b32 v20, v20, 21, v21
	v_cndmask_b32_e32 v25, 0xff800000, v126, vcc_lo
	v_and_b32_e32 v21, 0x7c, v10
	v_cmp_eq_u32_e32 vcc_lo, 0, v24
	v_add_nc_u32_e32 v20, 0x38000000, v20
	s_delay_alu instid0(VALU_DEP_4) | instskip(NEXT) | instid1(VALU_DEP_4)
	v_cndmask_b32_e32 v24, 0x7f800001, v25, vcc_lo
	v_cmp_eq_u32_e32 vcc_lo, 0x7c, v21
	s_delay_alu instid0(VALU_DEP_2)
	v_cndmask_b32_e32 v20, v20, v24, vcc_lo
.LBB4_2884:                             ;   in Loop: Header=BB4_2382 Depth=2
	s_or_b32 exec_lo, exec_lo, s11
	s_delay_alu instid0(VALU_DEP_1) | instskip(SKIP_1) | instid1(VALU_DEP_2)
	v_dual_add_f32 v98, v30, v20 :: v_dual_mov_b32 v21, v39
	v_mov_b32_e32 v97, v39
                                        ; implicit-def: $vgpr102
	v_and_b32_e32 v20, 0x7f800000, v98
	v_and_b32_e32 v96, 0x7fffff, v98
	s_delay_alu instid0(VALU_DEP_2) | instskip(SKIP_2) | instid1(SALU_CYCLE_1)
	v_cmp_ne_u64_e32 vcc_lo, 0x7f800000, v[20:21]
	v_lshrrev_b32_e32 v20, 24, v98
	s_and_saveexec_b32 s11, vcc_lo
	s_xor_b32 s40, exec_lo, s11
	s_cbranch_execz .LBB4_2898
; %bb.2885:                             ;   in Loop: Header=BB4_2382 Depth=2
	v_and_b32_e32 v24, 0x7fffffff, v98
	v_mov_b32_e32 v25, v39
	v_and_b32_e32 v30, 0x80, v20
                                        ; implicit-def: $vgpr102
	s_mov_b32 s11, exec_lo
	s_delay_alu instid0(VALU_DEP_2)
	v_cmpx_gt_u64_e32 0x47600001, v[24:25]
	s_xor_b32 s41, exec_lo, s11
	s_cbranch_execz .LBB4_2895
; %bb.2886:                             ;   in Loop: Header=BB4_2382 Depth=2
	v_mov_b32_e32 v102, 0
	s_mov_b32 s42, exec_lo
	v_cmpx_ne_u32_e32 0, v98
	s_cbranch_execz .LBB4_2894
; %bb.2887:                             ;   in Loop: Header=BB4_2382 Depth=2
	v_bfe_u32 v20, v98, 23, 8
	v_or_b32_e32 v31, 0x800000, v96
	s_delay_alu instid0(VALU_DEP_2) | instskip(SKIP_1) | instid1(VALU_DEP_2)
	v_sub_nc_u32_e32 v21, 0x71, v20
	v_cmp_gt_u32_e32 vcc_lo, 0x72, v20
	v_cndmask_b32_e32 v21, 0, v21, vcc_lo
	v_cmp_eq_u32_e32 vcc_lo, 0, v20
	v_cndmask_b32_e32 v96, v31, v96, vcc_lo
	s_delay_alu instid0(VALU_DEP_3) | instskip(NEXT) | instid1(VALU_DEP_1)
	v_cndmask_b32_e64 v21, v21, 0x70, vcc_lo
	v_dual_add_nc_u32 v24, 21, v21 :: v_dual_add_nc_u32 v98, 20, v21
	s_delay_alu instid0(VALU_DEP_1) | instskip(NEXT) | instid1(VALU_DEP_2)
	v_lshlrev_b64_e64 v[24:25], v24, -1
	v_lshlrev_b64_e64 v[98:99], v98, 1
	s_delay_alu instid0(VALU_DEP_2) | instskip(SKIP_1) | instid1(VALU_DEP_4)
	v_bfi_b32 v24, v24, 0, v96
	v_lshrrev_b64 v[96:97], v21, v[96:97]
	v_bfi_b32 v25, v25, 0, 0
	s_delay_alu instid0(VALU_DEP_1) | instskip(NEXT) | instid1(VALU_DEP_3)
	v_cmp_eq_u64_e64 s11, v[24:25], v[98:99]
	v_mov_b64_e32 v[98:99], v[96:97]
	s_and_saveexec_b32 s43, s11
; %bb.2888:                             ;   in Loop: Header=BB4_2382 Depth=2
	v_bfe_u32 v24, v96, 21, 1
	v_mov_b32_e32 v25, v39
	s_delay_alu instid0(VALU_DEP_1) | instskip(NEXT) | instid1(VALU_DEP_1)
	v_add_nc_u64_e32 v[24:25], v[96:97], v[24:25]
	v_add_nc_u64_e32 v[98:99], -1, v[24:25]
; %bb.2889:                             ;   in Loop: Header=BB4_2382 Depth=2
	s_or_b32 exec_lo, exec_lo, s43
	v_dual_mov_b32 v97, v39 :: v_dual_add_nc_u32 v20, 0xffffff81, v20
	v_lshrrev_b32_e32 v24, 23, v96
	s_mov_b32 s11, exec_lo
	s_delay_alu instid0(VALU_DEP_2) | instskip(NEXT) | instid1(VALU_DEP_1)
	v_cndmask_b32_e64 v20, v20, 0xffffff82, vcc_lo
	v_add3_u32 v21, v21, v20, v24
	v_and_b32_e32 v20, 0x1fffff, v98
	s_delay_alu instid0(VALU_DEP_1) | instskip(NEXT) | instid1(VALU_DEP_1)
	v_dual_add_nc_u32 v98, 14, v21 :: v_dual_add_nc_u32 v96, v20, v96
                                        ; implicit-def: $vgpr20
	v_cmpx_ne_u32_e32 0, v98
	s_xor_b32 s11, exec_lo, s11
; %bb.2890:                             ;   in Loop: Header=BB4_2382 Depth=2
	s_delay_alu instid0(VALU_DEP_2) | instskip(SKIP_2) | instid1(VALU_DEP_2)
	v_cmp_lt_u64_e32 vcc_lo, 0xffffff, v[96:97]
	v_add_nc_u32_e32 v20, 15, v21
	v_cndmask_b32_e64 v21, 0, 1, vcc_lo
	v_cndmask_b32_e32 v20, v98, v20, vcc_lo
	s_delay_alu instid0(VALU_DEP_2)
	v_lshrrev_b64 v[96:97], v21, v[96:97]
; %bb.2891:                             ;   in Loop: Header=BB4_2382 Depth=2
	s_and_not1_saveexec_b32 s11, s11
; %bb.2892:                             ;   in Loop: Header=BB4_2382 Depth=2
	s_delay_alu instid0(VALU_DEP_1)
	v_bfe_u32 v20, v96, 23, 1
; %bb.2893:                             ;   in Loop: Header=BB4_2382 Depth=2
	s_or_b32 exec_lo, exec_lo, s11
	s_delay_alu instid0(VALU_DEP_2) | instskip(NEXT) | instid1(VALU_DEP_2)
	v_lshrrev_b64 v[24:25], 21, v[96:97]
	v_cmp_gt_i32_e32 vcc_lo, 32, v20
	v_min_i32_e32 v21, 31, v20
	v_cmp_eq_u32_e64 s11, 0, v20
	s_delay_alu instid0(VALU_DEP_4) | instskip(NEXT) | instid1(VALU_DEP_3)
	v_cndmask_b32_e32 v25, 0, v25, vcc_lo
	v_dual_cndmask_b32 v24, 3, v24 :: v_dual_lshlrev_b32 v21, 2, v21
	s_delay_alu instid0(VALU_DEP_1) | instskip(NEXT) | instid1(VALU_DEP_2)
	v_and_b32_e32 v21, 0xfc, v21
	v_cmp_eq_u64_e32 vcc_lo, 0, v[24:25]
	s_delay_alu instid0(VALU_DEP_2)
	v_and_or_b32 v20, v24, 3, v21
	s_and_b32 s11, s11, vcc_lo
	s_delay_alu instid0(VALU_DEP_1) | instid1(SALU_CYCLE_1)
	v_cndmask_b32_e64 v20, v20, 0, s11
	s_delay_alu instid0(VALU_DEP_1)
	v_or_b32_e32 v102, v20, v30
.LBB4_2894:                             ;   in Loop: Header=BB4_2382 Depth=2
	s_or_b32 exec_lo, exec_lo, s42
                                        ; implicit-def: $vgpr30
.LBB4_2895:                             ;   in Loop: Header=BB4_2382 Depth=2
	s_and_not1_saveexec_b32 s11, s41
; %bb.2896:                             ;   in Loop: Header=BB4_2382 Depth=2
	v_or_b32_e32 v102, 0x7b, v30
; %bb.2897:                             ;   in Loop: Header=BB4_2382 Depth=2
	s_or_b32 exec_lo, exec_lo, s11
                                        ; implicit-def: $vgpr98
                                        ; implicit-def: $vgpr96_vgpr97
                                        ; implicit-def: $vgpr20
.LBB4_2898:                             ;   in Loop: Header=BB4_2382 Depth=2
	s_and_not1_saveexec_b32 s11, s40
	s_cbranch_execz .LBB4_2904
; %bb.2899:                             ;   in Loop: Header=BB4_2382 Depth=2
	s_mov_b32 s40, exec_lo
                                        ; implicit-def: $vgpr102
	v_cmpx_ne_u64_e32 0, v[96:97]
	s_xor_b32 s40, exec_lo, s40
; %bb.2900:                             ;   in Loop: Header=BB4_2382 Depth=2
	v_or_b32_e32 v102, 0x7f, v20
                                        ; implicit-def: $vgpr98
; %bb.2901:                             ;   in Loop: Header=BB4_2382 Depth=2
	s_and_not1_saveexec_b32 s40, s40
; %bb.2902:                             ;   in Loop: Header=BB4_2382 Depth=2
	v_cmp_lt_i32_e32 vcc_lo, -1, v98
	v_cndmask_b32_e32 v102, 0xfc, v122, vcc_lo
; %bb.2903:                             ;   in Loop: Header=BB4_2382 Depth=2
	s_or_b32 exec_lo, exec_lo, s40
.LBB4_2904:                             ;   in Loop: Header=BB4_2382 Depth=2
	s_delay_alu instid0(SALU_CYCLE_1) | instskip(SKIP_3) | instid1(VALU_DEP_2)
	s_or_b32 exec_lo, exec_lo, s11
	v_lshrrev_b16 v96, 8, v2
	v_mov_b32_e32 v30, 0
	s_mov_b32 s11, exec_lo
	v_cmpx_ne_u16_e32 0, v96
	s_cbranch_execz .LBB4_2914
; %bb.2905:                             ;   in Loop: Header=BB4_2382 Depth=2
	v_bfrev_b32_e32 v30, 1
	s_mov_b32 s40, exec_lo
	v_cmpx_ne_u16_e32 0x80, v96
	s_cbranch_execz .LBB4_2913
; %bb.2906:                             ;   in Loop: Header=BB4_2382 Depth=2
	v_and_b32_e32 v21, 0xffff, v96
	s_mov_b32 s41, exec_lo
                                        ; implicit-def: $vgpr30
	s_delay_alu instid0(VALU_DEP_1) | instskip(SKIP_1) | instid1(VALU_DEP_2)
	v_and_b32_e32 v24, 0x7c, v21
	v_and_b32_e32 v20, 3, v21
	v_cmpx_ne_u32_e32 0x7c, v24
	s_xor_b32 s41, exec_lo, s41
	s_cbranch_execz .LBB4_2910
; %bb.2907:                             ;   in Loop: Header=BB4_2382 Depth=2
	v_bfe_u32 v21, v21, 2, 5
	s_mov_b32 s42, exec_lo
	s_delay_alu instid0(VALU_DEP_1)
	v_cmpx_eq_u32_e32 0, v21
	s_cbranch_execz .LBB4_2909
; %bb.2908:                             ;   in Loop: Header=BB4_2382 Depth=2
	v_clz_i32_u32_e32 v20, v20
	s_delay_alu instid0(VALU_DEP_1) | instskip(SKIP_1) | instid1(VALU_DEP_2)
	v_min_u32_e32 v24, 32, v20
	v_mov_b32_e32 v97, v39
	v_subrev_nc_u32_e32 v20, 29, v24
	s_delay_alu instid0(VALU_DEP_1) | instskip(SKIP_1) | instid1(VALU_DEP_2)
	v_lshlrev_b64_e32 v[20:21], v20, v[96:97]
	v_sub_nc_u32_e32 v21, 30, v24
	v_and_b32_e32 v20, 3, v20
.LBB4_2909:                             ;   in Loop: Header=BB4_2382 Depth=2
	s_or_b32 exec_lo, exec_lo, s42
	v_lshlrev_b32_e32 v2, 16, v2
	s_delay_alu instid0(VALU_DEP_1) | instskip(NEXT) | instid1(VALU_DEP_1)
	v_and_b32_e32 v2, 0x80000000, v2
	v_lshl_add_u32 v2, v21, 23, v2
	s_delay_alu instid0(VALU_DEP_1) | instskip(NEXT) | instid1(VALU_DEP_1)
	v_lshl_or_b32 v2, v20, 21, v2
                                        ; implicit-def: $vgpr20
	v_add_nc_u32_e32 v30, 0x38000000, v2
                                        ; implicit-def: $vgpr2
.LBB4_2910:                             ;   in Loop: Header=BB4_2382 Depth=2
	s_and_not1_saveexec_b32 s41, s41
; %bb.2911:                             ;   in Loop: Header=BB4_2382 Depth=2
	v_cmp_lt_i16_e32 vcc_lo, -1, v2
	v_cndmask_b32_e32 v2, 0xff800000, v126, vcc_lo
	v_cmp_eq_u32_e32 vcc_lo, 0, v20
	s_delay_alu instid0(VALU_DEP_2)
	v_cndmask_b32_e32 v30, 0x7f800001, v2, vcc_lo
; %bb.2912:                             ;   in Loop: Header=BB4_2382 Depth=2
	s_or_b32 exec_lo, exec_lo, s41
.LBB4_2913:                             ;   in Loop: Header=BB4_2382 Depth=2
	s_delay_alu instid0(SALU_CYCLE_1)
	s_or_b32 exec_lo, exec_lo, s40
.LBB4_2914:                             ;   in Loop: Header=BB4_2382 Depth=2
	s_delay_alu instid0(SALU_CYCLE_1) | instskip(SKIP_3) | instid1(VALU_DEP_1)
	s_or_b32 exec_lo, exec_lo, s11
	v_lshrrev_b16 v96, 8, v10
	s_mov_b32 s40, 0
	s_mov_b32 s11, exec_lo
	v_cmpx_lt_i16_e32 0x7f, v96
	s_xor_b32 s11, exec_lo, s11
	s_cbranch_execnz .LBB4_3401
; %bb.2915:                             ;   in Loop: Header=BB4_2382 Depth=2
	s_or_saveexec_b32 s11, s11
	v_bfrev_b32_e32 v2, 1
	s_xor_b32 exec_lo, exec_lo, s11
	s_cbranch_execnz .LBB4_3404
.LBB4_2916:                             ;   in Loop: Header=BB4_2382 Depth=2
	s_or_b32 exec_lo, exec_lo, s11
	s_and_saveexec_b32 s11, s40
	s_cbranch_execz .LBB4_2918
.LBB4_2917:                             ;   in Loop: Header=BB4_2382 Depth=2
	v_and_b32_e32 v2, 0xffff, v96
	s_delay_alu instid0(VALU_DEP_1) | instskip(SKIP_2) | instid1(VALU_DEP_3)
	v_dual_mov_b32 v97, v39 :: v_dual_bitop2_b32 v24, 3, v2 bitop3:0x40
	v_bfe_u32 v31, v2, 2, 5
	v_and_b32_e32 v2, 0x7c, v2
	v_clz_i32_u32_e32 v20, v24
	s_delay_alu instid0(VALU_DEP_3) | instskip(NEXT) | instid1(VALU_DEP_2)
	v_cmp_eq_u32_e32 vcc_lo, 0, v31
	v_min_u32_e32 v25, 32, v20
	s_delay_alu instid0(VALU_DEP_1) | instskip(SKIP_1) | instid1(VALU_DEP_2)
	v_subrev_nc_u32_e32 v20, 29, v25
	v_sub_nc_u32_e32 v25, 30, v25
	v_lshlrev_b64_e32 v[20:21], v20, v[96:97]
	s_delay_alu instid0(VALU_DEP_2) | instskip(NEXT) | instid1(VALU_DEP_1)
	v_dual_lshlrev_b32 v21, 24, v96 :: v_dual_cndmask_b32 v25, v31, v25, vcc_lo
	v_and_b32_e32 v21, 0x80000000, v21
	s_delay_alu instid0(VALU_DEP_3) | instskip(NEXT) | instid1(VALU_DEP_2)
	v_and_b32_e32 v20, 3, v20
	v_lshl_add_u32 v21, v25, 23, v21
	s_delay_alu instid0(VALU_DEP_2) | instskip(SKIP_1) | instid1(VALU_DEP_2)
	v_cndmask_b32_e32 v20, v24, v20, vcc_lo
	v_cmp_lt_i16_e32 vcc_lo, -1, v10
	v_lshl_or_b32 v20, v20, 21, v21
	v_cndmask_b32_e32 v25, 0xff800000, v126, vcc_lo
	v_cmp_eq_u32_e32 vcc_lo, 0, v24
	s_delay_alu instid0(VALU_DEP_3) | instskip(NEXT) | instid1(VALU_DEP_3)
	v_add_nc_u32_e32 v20, 0x38000000, v20
	v_cndmask_b32_e32 v21, 0x7f800001, v25, vcc_lo
	v_cmp_eq_u32_e32 vcc_lo, 0x7c, v2
	s_delay_alu instid0(VALU_DEP_2)
	v_cndmask_b32_e32 v2, v20, v21, vcc_lo
.LBB4_2918:                             ;   in Loop: Header=BB4_2382 Depth=2
	s_or_b32 exec_lo, exec_lo, s11
	s_delay_alu instid0(VALU_DEP_1) | instskip(SKIP_2) | instid1(VALU_DEP_2)
	v_dual_add_f32 v30, v30, v2 :: v_dual_mov_b32 v21, v39
	v_mov_b32_e32 v97, v39
                                        ; implicit-def: $vgpr112
	s_mov_b32 s11, exec_lo
	v_and_b32_e32 v20, 0x7f800000, v30
	v_and_b32_e32 v96, 0x7fffff, v30
	v_lshrrev_b32_e32 v2, 24, v30
	s_delay_alu instid0(VALU_DEP_3)
	v_cmpx_ne_u64_e32 0x7f800000, v[20:21]
	s_xor_b32 s40, exec_lo, s11
	s_cbranch_execz .LBB4_2932
; %bb.2919:                             ;   in Loop: Header=BB4_2382 Depth=2
	v_and_b32_e32 v20, 0x7fffffff, v30
	v_mov_b32_e32 v21, v39
	v_and_b32_e32 v2, 0x80, v2
                                        ; implicit-def: $vgpr112
	s_mov_b32 s11, exec_lo
	s_delay_alu instid0(VALU_DEP_2)
	v_cmpx_gt_u64_e32 0x47600001, v[20:21]
	s_xor_b32 s41, exec_lo, s11
	s_cbranch_execz .LBB4_2929
; %bb.2920:                             ;   in Loop: Header=BB4_2382 Depth=2
	v_mov_b32_e32 v112, 0
	s_mov_b32 s42, exec_lo
	v_cmpx_ne_u32_e32 0, v30
	s_cbranch_execz .LBB4_2928
; %bb.2921:                             ;   in Loop: Header=BB4_2382 Depth=2
	v_bfe_u32 v20, v30, 23, 8
	v_or_b32_e32 v30, 0x800000, v96
	s_mov_b32 s43, exec_lo
	s_delay_alu instid0(VALU_DEP_2) | instskip(SKIP_1) | instid1(VALU_DEP_2)
	v_sub_nc_u32_e32 v21, 0x71, v20
	v_cmp_gt_u32_e32 vcc_lo, 0x72, v20
	v_cndmask_b32_e32 v21, 0, v21, vcc_lo
	v_cmp_eq_u32_e32 vcc_lo, 0, v20
	v_cndmask_b32_e32 v96, v30, v96, vcc_lo
	s_delay_alu instid0(VALU_DEP_3) | instskip(NEXT) | instid1(VALU_DEP_1)
	v_cndmask_b32_e64 v21, v21, 0x70, vcc_lo
	v_dual_add_nc_u32 v24, 21, v21 :: v_dual_add_nc_u32 v31, 20, v21
	s_delay_alu instid0(VALU_DEP_1) | instskip(NEXT) | instid1(VALU_DEP_2)
	v_lshlrev_b64_e64 v[24:25], v24, -1
	v_lshlrev_b64_e64 v[30:31], v31, 1
	s_delay_alu instid0(VALU_DEP_2) | instskip(SKIP_1) | instid1(VALU_DEP_4)
	v_bfi_b32 v24, v24, 0, v96
	v_lshrrev_b64 v[96:97], v21, v[96:97]
	v_bfi_b32 v25, v25, 0, 0
	s_delay_alu instid0(VALU_DEP_2) | instskip(NEXT) | instid1(VALU_DEP_2)
	v_mov_b64_e32 v[98:99], v[96:97]
	v_cmpx_eq_u64_e64 v[24:25], v[30:31]
; %bb.2922:                             ;   in Loop: Header=BB4_2382 Depth=2
	v_bfe_u32 v24, v96, 21, 1
	v_mov_b32_e32 v25, v39
	s_delay_alu instid0(VALU_DEP_1) | instskip(NEXT) | instid1(VALU_DEP_1)
	v_add_nc_u64_e32 v[24:25], v[96:97], v[24:25]
	v_add_nc_u64_e32 v[98:99], -1, v[24:25]
; %bb.2923:                             ;   in Loop: Header=BB4_2382 Depth=2
	s_or_b32 exec_lo, exec_lo, s43
	v_dual_mov_b32 v97, v39 :: v_dual_add_nc_u32 v20, 0xffffff81, v20
	v_lshrrev_b32_e32 v24, 23, v96
	s_mov_b32 s11, exec_lo
	s_delay_alu instid0(VALU_DEP_2) | instskip(NEXT) | instid1(VALU_DEP_1)
	v_cndmask_b32_e64 v20, v20, 0xffffff82, vcc_lo
	v_add3_u32 v21, v21, v20, v24
	v_and_b32_e32 v20, 0x1fffff, v98
	s_delay_alu instid0(VALU_DEP_1) | instskip(NEXT) | instid1(VALU_DEP_1)
	v_dual_add_nc_u32 v30, 14, v21 :: v_dual_add_nc_u32 v96, v20, v96
                                        ; implicit-def: $vgpr20
	v_cmpx_ne_u32_e32 0, v30
	s_xor_b32 s11, exec_lo, s11
; %bb.2924:                             ;   in Loop: Header=BB4_2382 Depth=2
	s_delay_alu instid0(VALU_DEP_2) | instskip(SKIP_2) | instid1(VALU_DEP_2)
	v_cmp_lt_u64_e32 vcc_lo, 0xffffff, v[96:97]
	v_add_nc_u32_e32 v20, 15, v21
	v_cndmask_b32_e64 v21, 0, 1, vcc_lo
	v_cndmask_b32_e32 v20, v30, v20, vcc_lo
	s_delay_alu instid0(VALU_DEP_2)
	v_lshrrev_b64 v[96:97], v21, v[96:97]
; %bb.2925:                             ;   in Loop: Header=BB4_2382 Depth=2
	s_and_not1_saveexec_b32 s11, s11
; %bb.2926:                             ;   in Loop: Header=BB4_2382 Depth=2
	s_delay_alu instid0(VALU_DEP_1)
	v_bfe_u32 v20, v96, 23, 1
; %bb.2927:                             ;   in Loop: Header=BB4_2382 Depth=2
	s_or_b32 exec_lo, exec_lo, s11
	s_delay_alu instid0(VALU_DEP_2) | instskip(NEXT) | instid1(VALU_DEP_2)
	v_lshrrev_b64 v[24:25], 21, v[96:97]
	v_cmp_gt_i32_e32 vcc_lo, 32, v20
	v_min_i32_e32 v21, 31, v20
	v_cmp_eq_u32_e64 s11, 0, v20
	s_delay_alu instid0(VALU_DEP_4) | instskip(NEXT) | instid1(VALU_DEP_3)
	v_cndmask_b32_e32 v25, 0, v25, vcc_lo
	v_dual_cndmask_b32 v24, 3, v24 :: v_dual_lshlrev_b32 v21, 2, v21
	s_delay_alu instid0(VALU_DEP_1) | instskip(NEXT) | instid1(VALU_DEP_2)
	v_and_b32_e32 v21, 0xfc, v21
	v_cmp_eq_u64_e32 vcc_lo, 0, v[24:25]
	s_delay_alu instid0(VALU_DEP_2)
	v_and_or_b32 v20, v24, 3, v21
	s_and_b32 s11, s11, vcc_lo
	s_delay_alu instid0(VALU_DEP_1) | instid1(SALU_CYCLE_1)
	v_cndmask_b32_e64 v20, v20, 0, s11
	s_delay_alu instid0(VALU_DEP_1)
	v_or_b32_e32 v112, v20, v2
.LBB4_2928:                             ;   in Loop: Header=BB4_2382 Depth=2
	s_or_b32 exec_lo, exec_lo, s42
                                        ; implicit-def: $vgpr2
.LBB4_2929:                             ;   in Loop: Header=BB4_2382 Depth=2
	s_and_not1_saveexec_b32 s11, s41
; %bb.2930:                             ;   in Loop: Header=BB4_2382 Depth=2
	v_or_b32_e32 v112, 0x7b, v2
; %bb.2931:                             ;   in Loop: Header=BB4_2382 Depth=2
	s_or_b32 exec_lo, exec_lo, s11
                                        ; implicit-def: $vgpr30
                                        ; implicit-def: $vgpr96_vgpr97
                                        ; implicit-def: $vgpr2
.LBB4_2932:                             ;   in Loop: Header=BB4_2382 Depth=2
	s_and_not1_saveexec_b32 s11, s40
	s_cbranch_execz .LBB4_2938
; %bb.2933:                             ;   in Loop: Header=BB4_2382 Depth=2
	s_mov_b32 s40, exec_lo
                                        ; implicit-def: $vgpr112
	v_cmpx_ne_u64_e32 0, v[96:97]
	s_xor_b32 s40, exec_lo, s40
; %bb.2934:                             ;   in Loop: Header=BB4_2382 Depth=2
	v_or_b32_e32 v112, 0x7f, v2
                                        ; implicit-def: $vgpr30
; %bb.2935:                             ;   in Loop: Header=BB4_2382 Depth=2
	s_and_not1_saveexec_b32 s40, s40
; %bb.2936:                             ;   in Loop: Header=BB4_2382 Depth=2
	v_cmp_lt_i32_e32 vcc_lo, -1, v30
	v_cndmask_b32_e32 v112, 0xfc, v122, vcc_lo
; %bb.2937:                             ;   in Loop: Header=BB4_2382 Depth=2
	s_or_b32 exec_lo, exec_lo, s40
.LBB4_2938:                             ;   in Loop: Header=BB4_2382 Depth=2
	s_delay_alu instid0(SALU_CYCLE_1) | instskip(SKIP_2) | instid1(VALU_DEP_1)
	s_or_b32 exec_lo, exec_lo, s11
	v_dual_mov_b32 v2, 0 :: v_dual_lshrrev_b32 v21, 16, v38
	s_mov_b32 s11, exec_lo
	v_and_b32_e32 v20, 0xff, v21
	s_delay_alu instid0(VALU_DEP_1)
	v_cmpx_ne_u16_e32 0, v20
	s_cbranch_execz .LBB4_2948
; %bb.2939:                             ;   in Loop: Header=BB4_2382 Depth=2
	v_bfrev_b32_e32 v2, 1
	s_mov_b32 s40, exec_lo
	v_cmpx_ne_u16_e32 0x80, v20
	s_cbranch_execz .LBB4_2947
; %bb.2940:                             ;   in Loop: Header=BB4_2382 Depth=2
	v_and_b32_e32 v2, 0x7c0000, v38
	v_bfe_u32 v20, v38, 16, 2
	s_delay_alu instid0(VALU_DEP_2) | instskip(SKIP_1) | instid1(SALU_CYCLE_1)
	v_cmp_ne_u32_e32 vcc_lo, 0x7c0000, v2
                                        ; implicit-def: $vgpr2
	s_and_saveexec_b32 s41, vcc_lo
	s_xor_b32 s41, exec_lo, s41
	s_cbranch_execz .LBB4_2944
; %bb.2941:                             ;   in Loop: Header=BB4_2382 Depth=2
	v_bfe_u32 v2, v38, 18, 5
	v_lshrrev_b32_e32 v30, 16, v38
	s_mov_b32 s42, exec_lo
	s_delay_alu instid0(VALU_DEP_2)
	v_cmpx_eq_u32_e32 0, v2
; %bb.2942:                             ;   in Loop: Header=BB4_2382 Depth=2
	v_clz_i32_u32_e32 v2, v20
	s_delay_alu instid0(VALU_DEP_1) | instskip(NEXT) | instid1(VALU_DEP_1)
	v_min_u32_e32 v2, 32, v2
	v_subrev_nc_u32_e32 v20, 29, v2
	s_delay_alu instid0(VALU_DEP_1) | instskip(NEXT) | instid1(VALU_DEP_1)
	v_lshlrev_b64_e32 v[20:21], v20, v[30:31]
	v_dual_sub_nc_u32 v2, 30, v2 :: v_dual_bitop2_b32 v20, 3, v20 bitop3:0x40
; %bb.2943:                             ;   in Loop: Header=BB4_2382 Depth=2
	s_or_b32 exec_lo, exec_lo, s42
	v_lshlrev_b32_e32 v21, 24, v30
	s_delay_alu instid0(VALU_DEP_1) | instskip(NEXT) | instid1(VALU_DEP_1)
	v_and_b32_e32 v21, 0x80000000, v21
	v_lshl_add_u32 v2, v2, 23, v21
                                        ; implicit-def: $vgpr21
	s_delay_alu instid0(VALU_DEP_1) | instskip(NEXT) | instid1(VALU_DEP_1)
	v_lshl_or_b32 v2, v20, 21, v2
                                        ; implicit-def: $vgpr20
	v_add_nc_u32_e32 v2, 0x38000000, v2
.LBB4_2944:                             ;   in Loop: Header=BB4_2382 Depth=2
	s_and_not1_saveexec_b32 s41, s41
; %bb.2945:                             ;   in Loop: Header=BB4_2382 Depth=2
	v_bfe_i32 v2, v21, 0, 8
	s_delay_alu instid0(VALU_DEP_1) | instskip(SKIP_2) | instid1(VALU_DEP_2)
	v_cmp_lt_i16_e32 vcc_lo, -1, v2
	v_cndmask_b32_e32 v2, 0xff800000, v126, vcc_lo
	v_cmp_eq_u32_e32 vcc_lo, 0, v20
	v_cndmask_b32_e32 v2, 0x7f800001, v2, vcc_lo
; %bb.2946:                             ;   in Loop: Header=BB4_2382 Depth=2
	s_or_b32 exec_lo, exec_lo, s41
.LBB4_2947:                             ;   in Loop: Header=BB4_2382 Depth=2
	s_delay_alu instid0(SALU_CYCLE_1)
	s_or_b32 exec_lo, exec_lo, s40
.LBB4_2948:                             ;   in Loop: Header=BB4_2382 Depth=2
	s_delay_alu instid0(SALU_CYCLE_1) | instskip(SKIP_3) | instid1(VALU_DEP_1)
	s_or_b32 exec_lo, exec_lo, s11
	v_lshrrev_b32_e32 v30, 16, v10
	s_mov_b32 s40, 0
	s_mov_b32 s11, exec_lo
	v_and_b32_e32 v21, 0xff, v30
	s_delay_alu instid0(VALU_DEP_1)
	v_cmpx_lt_i16_e32 0x7f, v21
	s_xor_b32 s11, exec_lo, s11
	s_cbranch_execnz .LBB4_3405
; %bb.2949:                             ;   in Loop: Header=BB4_2382 Depth=2
	s_or_saveexec_b32 s11, s11
	v_bfrev_b32_e32 v20, 1
	s_xor_b32 exec_lo, exec_lo, s11
	s_cbranch_execnz .LBB4_3408
.LBB4_2950:                             ;   in Loop: Header=BB4_2382 Depth=2
	s_or_b32 exec_lo, exec_lo, s11
	s_and_saveexec_b32 s11, s40
	s_cbranch_execz .LBB4_2952
.LBB4_2951:                             ;   in Loop: Header=BB4_2382 Depth=2
	v_and_b32_e32 v24, 3, v30
	s_delay_alu instid0(VALU_DEP_1) | instskip(NEXT) | instid1(VALU_DEP_1)
	v_clz_i32_u32_e32 v20, v24
	v_min_u32_e32 v25, 32, v20
	s_delay_alu instid0(VALU_DEP_1) | instskip(NEXT) | instid1(VALU_DEP_1)
	v_subrev_nc_u32_e32 v20, 29, v25
	v_lshlrev_b64_e32 v[20:21], v20, v[30:31]
	v_bfe_u32 v31, v10, 18, 5
	v_dual_lshlrev_b32 v21, 24, v30 :: v_dual_sub_nc_u32 v25, 30, v25
	v_bfe_i32 v30, v30, 0, 8
	s_delay_alu instid0(VALU_DEP_3) | instskip(NEXT) | instid1(VALU_DEP_3)
	v_cmp_eq_u32_e32 vcc_lo, 0, v31
	v_and_b32_e32 v21, 0x80000000, v21
	s_delay_alu instid0(VALU_DEP_4) | instskip(NEXT) | instid1(VALU_DEP_1)
	v_dual_cndmask_b32 v25, v31, v25, vcc_lo :: v_dual_bitop2_b32 v20, 3, v20 bitop3:0x40
	v_cndmask_b32_e32 v20, v24, v20, vcc_lo
	v_cmp_lt_i16_e32 vcc_lo, -1, v30
	s_delay_alu instid0(VALU_DEP_3) | instskip(SKIP_2) | instid1(VALU_DEP_3)
	v_lshl_add_u32 v21, v25, 23, v21
	v_cndmask_b32_e32 v25, 0xff800000, v126, vcc_lo
	v_cmp_eq_u32_e32 vcc_lo, 0, v24
	v_lshl_or_b32 v20, v20, 21, v21
	v_and_b32_e32 v21, 0x7c0000, v10
	s_delay_alu instid0(VALU_DEP_4) | instskip(NEXT) | instid1(VALU_DEP_3)
	v_cndmask_b32_e32 v24, 0x7f800001, v25, vcc_lo
	v_add_nc_u32_e32 v20, 0x38000000, v20
	s_delay_alu instid0(VALU_DEP_3) | instskip(NEXT) | instid1(VALU_DEP_2)
	v_cmp_eq_u32_e32 vcc_lo, 0x7c0000, v21
	v_cndmask_b32_e32 v20, v20, v24, vcc_lo
.LBB4_2952:                             ;   in Loop: Header=BB4_2382 Depth=2
	s_or_b32 exec_lo, exec_lo, s11
	s_delay_alu instid0(VALU_DEP_1) | instskip(SKIP_2) | instid1(VALU_DEP_2)
	v_dual_add_f32 v30, v2, v20 :: v_dual_mov_b32 v21, v39
	v_mov_b32_e32 v97, v39
                                        ; implicit-def: $vgpr115
	s_mov_b32 s11, exec_lo
	v_and_b32_e32 v20, 0x7f800000, v30
	v_and_b32_e32 v96, 0x7fffff, v30
	v_lshrrev_b32_e32 v2, 24, v30
	s_delay_alu instid0(VALU_DEP_3)
	v_cmpx_ne_u64_e32 0x7f800000, v[20:21]
	s_xor_b32 s40, exec_lo, s11
	s_cbranch_execz .LBB4_2966
; %bb.2953:                             ;   in Loop: Header=BB4_2382 Depth=2
	v_and_b32_e32 v20, 0x7fffffff, v30
	v_mov_b32_e32 v21, v39
	v_and_b32_e32 v2, 0x80, v2
                                        ; implicit-def: $vgpr115
	s_mov_b32 s11, exec_lo
	s_delay_alu instid0(VALU_DEP_2)
	v_cmpx_gt_u64_e32 0x47600001, v[20:21]
	s_xor_b32 s41, exec_lo, s11
	s_cbranch_execz .LBB4_2963
; %bb.2954:                             ;   in Loop: Header=BB4_2382 Depth=2
	v_mov_b32_e32 v115, 0
	s_mov_b32 s42, exec_lo
	v_cmpx_ne_u32_e32 0, v30
	s_cbranch_execz .LBB4_2962
; %bb.2955:                             ;   in Loop: Header=BB4_2382 Depth=2
	v_bfe_u32 v20, v30, 23, 8
	v_or_b32_e32 v30, 0x800000, v96
	s_mov_b32 s43, exec_lo
	s_delay_alu instid0(VALU_DEP_2) | instskip(SKIP_1) | instid1(VALU_DEP_2)
	v_sub_nc_u32_e32 v21, 0x71, v20
	v_cmp_gt_u32_e32 vcc_lo, 0x72, v20
	v_cndmask_b32_e32 v21, 0, v21, vcc_lo
	v_cmp_eq_u32_e32 vcc_lo, 0, v20
	v_cndmask_b32_e32 v96, v30, v96, vcc_lo
	s_delay_alu instid0(VALU_DEP_3) | instskip(NEXT) | instid1(VALU_DEP_1)
	v_cndmask_b32_e64 v21, v21, 0x70, vcc_lo
	v_dual_add_nc_u32 v24, 21, v21 :: v_dual_add_nc_u32 v31, 20, v21
	s_delay_alu instid0(VALU_DEP_1) | instskip(NEXT) | instid1(VALU_DEP_2)
	v_lshlrev_b64_e64 v[24:25], v24, -1
	v_lshlrev_b64_e64 v[30:31], v31, 1
	s_delay_alu instid0(VALU_DEP_2) | instskip(SKIP_1) | instid1(VALU_DEP_4)
	v_bfi_b32 v24, v24, 0, v96
	v_lshrrev_b64 v[96:97], v21, v[96:97]
	v_bfi_b32 v25, v25, 0, 0
	s_delay_alu instid0(VALU_DEP_2) | instskip(NEXT) | instid1(VALU_DEP_2)
	v_mov_b64_e32 v[98:99], v[96:97]
	v_cmpx_eq_u64_e64 v[24:25], v[30:31]
; %bb.2956:                             ;   in Loop: Header=BB4_2382 Depth=2
	v_bfe_u32 v24, v96, 21, 1
	v_mov_b32_e32 v25, v39
	s_delay_alu instid0(VALU_DEP_1) | instskip(NEXT) | instid1(VALU_DEP_1)
	v_add_nc_u64_e32 v[24:25], v[96:97], v[24:25]
	v_add_nc_u64_e32 v[98:99], -1, v[24:25]
; %bb.2957:                             ;   in Loop: Header=BB4_2382 Depth=2
	s_or_b32 exec_lo, exec_lo, s43
	v_dual_mov_b32 v97, v39 :: v_dual_add_nc_u32 v20, 0xffffff81, v20
	v_lshrrev_b32_e32 v24, 23, v96
	s_mov_b32 s11, exec_lo
	s_delay_alu instid0(VALU_DEP_2) | instskip(NEXT) | instid1(VALU_DEP_1)
	v_cndmask_b32_e64 v20, v20, 0xffffff82, vcc_lo
	v_add3_u32 v21, v21, v20, v24
	v_and_b32_e32 v20, 0x1fffff, v98
	s_delay_alu instid0(VALU_DEP_1) | instskip(NEXT) | instid1(VALU_DEP_1)
	v_dual_add_nc_u32 v30, 14, v21 :: v_dual_add_nc_u32 v96, v20, v96
                                        ; implicit-def: $vgpr20
	v_cmpx_ne_u32_e32 0, v30
	s_xor_b32 s11, exec_lo, s11
; %bb.2958:                             ;   in Loop: Header=BB4_2382 Depth=2
	s_delay_alu instid0(VALU_DEP_2) | instskip(SKIP_2) | instid1(VALU_DEP_2)
	v_cmp_lt_u64_e32 vcc_lo, 0xffffff, v[96:97]
	v_add_nc_u32_e32 v20, 15, v21
	v_cndmask_b32_e64 v21, 0, 1, vcc_lo
	v_cndmask_b32_e32 v20, v30, v20, vcc_lo
	s_delay_alu instid0(VALU_DEP_2)
	v_lshrrev_b64 v[96:97], v21, v[96:97]
; %bb.2959:                             ;   in Loop: Header=BB4_2382 Depth=2
	s_and_not1_saveexec_b32 s11, s11
; %bb.2960:                             ;   in Loop: Header=BB4_2382 Depth=2
	s_delay_alu instid0(VALU_DEP_1)
	v_bfe_u32 v20, v96, 23, 1
; %bb.2961:                             ;   in Loop: Header=BB4_2382 Depth=2
	s_or_b32 exec_lo, exec_lo, s11
	s_delay_alu instid0(VALU_DEP_2) | instskip(NEXT) | instid1(VALU_DEP_2)
	v_lshrrev_b64 v[24:25], 21, v[96:97]
	v_cmp_gt_i32_e32 vcc_lo, 32, v20
	v_min_i32_e32 v21, 31, v20
	v_cmp_eq_u32_e64 s11, 0, v20
	s_delay_alu instid0(VALU_DEP_4) | instskip(NEXT) | instid1(VALU_DEP_3)
	v_cndmask_b32_e32 v25, 0, v25, vcc_lo
	v_dual_cndmask_b32 v24, 3, v24 :: v_dual_lshlrev_b32 v21, 2, v21
	s_delay_alu instid0(VALU_DEP_1) | instskip(NEXT) | instid1(VALU_DEP_2)
	v_and_b32_e32 v21, 0xfc, v21
	v_cmp_eq_u64_e32 vcc_lo, 0, v[24:25]
	s_delay_alu instid0(VALU_DEP_2)
	v_and_or_b32 v20, v24, 3, v21
	s_and_b32 s11, s11, vcc_lo
	s_delay_alu instid0(VALU_DEP_1) | instid1(SALU_CYCLE_1)
	v_cndmask_b32_e64 v20, v20, 0, s11
	s_delay_alu instid0(VALU_DEP_1)
	v_or_b32_e32 v115, v20, v2
.LBB4_2962:                             ;   in Loop: Header=BB4_2382 Depth=2
	s_or_b32 exec_lo, exec_lo, s42
                                        ; implicit-def: $vgpr2
.LBB4_2963:                             ;   in Loop: Header=BB4_2382 Depth=2
	s_and_not1_saveexec_b32 s11, s41
; %bb.2964:                             ;   in Loop: Header=BB4_2382 Depth=2
	v_or_b32_e32 v115, 0x7b, v2
; %bb.2965:                             ;   in Loop: Header=BB4_2382 Depth=2
	s_or_b32 exec_lo, exec_lo, s11
                                        ; implicit-def: $vgpr30
                                        ; implicit-def: $vgpr96_vgpr97
                                        ; implicit-def: $vgpr2
.LBB4_2966:                             ;   in Loop: Header=BB4_2382 Depth=2
	s_and_not1_saveexec_b32 s11, s40
	s_cbranch_execz .LBB4_2972
; %bb.2967:                             ;   in Loop: Header=BB4_2382 Depth=2
	s_mov_b32 s40, exec_lo
                                        ; implicit-def: $vgpr115
	v_cmpx_ne_u64_e32 0, v[96:97]
	s_xor_b32 s40, exec_lo, s40
; %bb.2968:                             ;   in Loop: Header=BB4_2382 Depth=2
	v_or_b32_e32 v115, 0x7f, v2
                                        ; implicit-def: $vgpr30
; %bb.2969:                             ;   in Loop: Header=BB4_2382 Depth=2
	s_and_not1_saveexec_b32 s40, s40
; %bb.2970:                             ;   in Loop: Header=BB4_2382 Depth=2
	v_cmp_lt_i32_e32 vcc_lo, -1, v30
	v_cndmask_b32_e32 v115, 0xfc, v122, vcc_lo
; %bb.2971:                             ;   in Loop: Header=BB4_2382 Depth=2
	s_or_b32 exec_lo, exec_lo, s40
.LBB4_2972:                             ;   in Loop: Header=BB4_2382 Depth=2
	s_delay_alu instid0(SALU_CYCLE_1)
	s_or_b32 exec_lo, exec_lo, s11
	v_mov_b32_e32 v2, 0
	s_mov_b32 s11, exec_lo
	v_cmpx_lt_u32_e32 0xffffff, v38
	s_cbranch_execz .LBB4_2982
; %bb.2973:                             ;   in Loop: Header=BB4_2382 Depth=2
	v_lshrrev_b32_e32 v30, 24, v38
	v_bfrev_b32_e32 v2, 1
	s_mov_b32 s40, exec_lo
	s_delay_alu instid0(VALU_DEP_2)
	v_cmpx_ne_u32_e32 0x80, v30
	s_cbranch_execz .LBB4_2981
; %bb.2974:                             ;   in Loop: Header=BB4_2382 Depth=2
	v_and_b32_e32 v2, 0x7c000000, v38
	v_bfe_u32 v20, v38, 24, 2
	s_delay_alu instid0(VALU_DEP_2) | instskip(SKIP_1) | instid1(SALU_CYCLE_1)
	v_cmp_ne_u32_e32 vcc_lo, 0x7c000000, v2
                                        ; implicit-def: $vgpr2
	s_and_saveexec_b32 s41, vcc_lo
	s_xor_b32 s41, exec_lo, s41
	s_cbranch_execz .LBB4_2978
; %bb.2975:                             ;   in Loop: Header=BB4_2382 Depth=2
	v_bfe_u32 v2, v38, 26, 5
	s_mov_b32 s42, exec_lo
	s_delay_alu instid0(VALU_DEP_1)
	v_cmpx_eq_u32_e32 0, v2
; %bb.2976:                             ;   in Loop: Header=BB4_2382 Depth=2
	v_clz_i32_u32_e32 v2, v20
	s_delay_alu instid0(VALU_DEP_1) | instskip(NEXT) | instid1(VALU_DEP_1)
	v_min_u32_e32 v2, 32, v2
	v_subrev_nc_u32_e32 v20, 29, v2
	s_delay_alu instid0(VALU_DEP_1) | instskip(NEXT) | instid1(VALU_DEP_1)
	v_lshlrev_b64_e32 v[20:21], v20, v[30:31]
	v_dual_sub_nc_u32 v2, 30, v2 :: v_dual_bitop2_b32 v20, 3, v20 bitop3:0x40
; %bb.2977:                             ;   in Loop: Header=BB4_2382 Depth=2
	s_or_b32 exec_lo, exec_lo, s42
	v_and_b32_e32 v21, 0x80000000, v38
	s_delay_alu instid0(VALU_DEP_1) | instskip(NEXT) | instid1(VALU_DEP_1)
	v_lshl_add_u32 v2, v2, 23, v21
	v_lshl_or_b32 v2, v20, 21, v2
                                        ; implicit-def: $vgpr20
	s_delay_alu instid0(VALU_DEP_1)
	v_add_nc_u32_e32 v2, 0x38000000, v2
.LBB4_2978:                             ;   in Loop: Header=BB4_2382 Depth=2
	s_and_not1_saveexec_b32 s41, s41
; %bb.2979:                             ;   in Loop: Header=BB4_2382 Depth=2
	v_cmp_lt_i32_e32 vcc_lo, -1, v38
	v_cndmask_b32_e32 v2, 0xff800000, v126, vcc_lo
	v_cmp_eq_u32_e32 vcc_lo, 0, v20
	s_delay_alu instid0(VALU_DEP_2)
	v_cndmask_b32_e32 v2, 0x7f800001, v2, vcc_lo
; %bb.2980:                             ;   in Loop: Header=BB4_2382 Depth=2
	s_or_b32 exec_lo, exec_lo, s41
.LBB4_2981:                             ;   in Loop: Header=BB4_2382 Depth=2
	s_delay_alu instid0(SALU_CYCLE_1)
	s_or_b32 exec_lo, exec_lo, s40
.LBB4_2982:                             ;   in Loop: Header=BB4_2382 Depth=2
	s_delay_alu instid0(SALU_CYCLE_1) | instskip(SKIP_3) | instid1(VALU_DEP_2)
	s_or_b32 exec_lo, exec_lo, s11
	v_bfe_u32 v21, v10, 24, 2
	v_bfe_u32 v31, v10, 26, 5
                                        ; implicit-def: $vgpr118
	s_mov_b32 s11, exec_lo
	v_clz_i32_u32_e32 v20, v21
	s_delay_alu instid0(VALU_DEP_2) | instskip(NEXT) | instid1(VALU_DEP_2)
	v_cmp_eq_u32_e32 vcc_lo, 0, v31
	v_min_u32_e32 v30, 32, v20
	v_lshrrev_b32_e32 v20, 24, v10
	s_delay_alu instid0(VALU_DEP_2) | instskip(NEXT) | instid1(VALU_DEP_1)
	v_subrev_nc_u32_e32 v24, 29, v30
	v_lshlrev_b64_e32 v[24:25], v24, v[20:21]
	v_sub_nc_u32_e32 v25, 30, v30
	v_and_b32_e32 v30, 0x80000000, v10
	s_delay_alu instid0(VALU_DEP_2) | instskip(NEXT) | instid1(VALU_DEP_1)
	v_dual_cndmask_b32 v25, v31, v25, vcc_lo :: v_dual_bitop2_b32 v24, 3, v24 bitop3:0x40
	v_cndmask_b32_e32 v24, v21, v24, vcc_lo
	s_delay_alu instid0(VALU_DEP_2) | instskip(SKIP_1) | instid1(VALU_DEP_2)
	v_lshl_add_u32 v25, v25, 23, v30
	v_cmp_lt_i32_e32 vcc_lo, -1, v10
	v_lshl_or_b32 v24, v24, 21, v25
	v_cndmask_b32_e32 v30, 0xff800000, v126, vcc_lo
	v_and_b32_e32 v25, 0x7c000000, v10
	v_cmp_eq_u32_e32 vcc_lo, 0, v21
	s_delay_alu instid0(VALU_DEP_4) | instskip(NEXT) | instid1(VALU_DEP_4)
	v_add_nc_u32_e32 v24, 0x38000000, v24
	v_cndmask_b32_e32 v21, 0x7f800001, v30, vcc_lo
	s_delay_alu instid0(VALU_DEP_4) | instskip(NEXT) | instid1(VALU_DEP_2)
	v_cmp_eq_u32_e32 vcc_lo, 0x7c000000, v25
	v_cndmask_b32_e32 v21, v24, v21, vcc_lo
	v_cmp_ne_u32_e32 vcc_lo, 0x80, v20
	s_delay_alu instid0(VALU_DEP_2) | instskip(SKIP_1) | instid1(VALU_DEP_2)
	v_cndmask_b32_e32 v20, 0x80000000, v21, vcc_lo
	v_cmp_lt_u32_e32 vcc_lo, 0xffffff, v10
	v_dual_mov_b32 v21, v39 :: v_dual_cndmask_b32 v20, 0, v20
	s_delay_alu instid0(VALU_DEP_1) | instskip(NEXT) | instid1(VALU_DEP_1)
	v_add_f32_e32 v30, v20, v2
	v_and_b32_e32 v20, 0x7f800000, v30
	v_and_b32_e32 v38, 0x7fffff, v30
	v_lshrrev_b32_e32 v2, 24, v30
	s_delay_alu instid0(VALU_DEP_3)
	v_cmpx_ne_u64_e32 0x7f800000, v[20:21]
	s_xor_b32 s40, exec_lo, s11
	s_cbranch_execz .LBB4_2996
; %bb.2983:                             ;   in Loop: Header=BB4_2382 Depth=2
	v_and_b32_e32 v20, 0x7fffffff, v30
	v_mov_b32_e32 v21, v39
	v_and_b32_e32 v2, 0x80, v2
                                        ; implicit-def: $vgpr118
	s_mov_b32 s11, exec_lo
	s_delay_alu instid0(VALU_DEP_2)
	v_cmpx_gt_u64_e32 0x47600001, v[20:21]
	s_xor_b32 s41, exec_lo, s11
	s_cbranch_execz .LBB4_2993
; %bb.2984:                             ;   in Loop: Header=BB4_2382 Depth=2
	v_mov_b32_e32 v118, 0
	s_mov_b32 s42, exec_lo
	v_cmpx_ne_u32_e32 0, v30
	s_cbranch_execz .LBB4_2992
; %bb.2985:                             ;   in Loop: Header=BB4_2382 Depth=2
	v_bfe_u32 v20, v30, 23, 8
	v_or_b32_e32 v30, 0x800000, v38
	v_mov_b32_e32 v31, v39
	s_delay_alu instid0(VALU_DEP_3) | instskip(SKIP_1) | instid1(VALU_DEP_2)
	v_sub_nc_u32_e32 v21, 0x71, v20
	v_cmp_gt_u32_e32 vcc_lo, 0x72, v20
	v_cndmask_b32_e32 v21, 0, v21, vcc_lo
	v_cmp_eq_u32_e32 vcc_lo, 0, v20
	s_delay_alu instid0(VALU_DEP_2) | instskip(NEXT) | instid1(VALU_DEP_1)
	v_cndmask_b32_e64 v21, v21, 0x70, vcc_lo
	v_dual_cndmask_b32 v30, v30, v38, vcc_lo :: v_dual_add_nc_u32 v24, 21, v21
	v_add_nc_u32_e32 v96, 20, v21
	s_delay_alu instid0(VALU_DEP_2) | instskip(NEXT) | instid1(VALU_DEP_2)
	v_lshlrev_b64_e64 v[24:25], v24, -1
	v_lshlrev_b64_e64 v[98:99], v96, 1
	s_delay_alu instid0(VALU_DEP_4) | instskip(NEXT) | instid1(VALU_DEP_3)
	v_lshrrev_b64 v[96:97], v21, v[30:31]
	v_bfi_b32 v25, v25, 0, 0
	s_delay_alu instid0(VALU_DEP_4) | instskip(NEXT) | instid1(VALU_DEP_1)
	v_bfi_b32 v24, v24, 0, v30
	v_cmp_eq_u64_e64 s11, v[24:25], v[98:99]
	s_delay_alu instid0(VALU_DEP_4)
	v_mov_b64_e32 v[98:99], v[96:97]
	s_and_saveexec_b32 s43, s11
; %bb.2986:                             ;   in Loop: Header=BB4_2382 Depth=2
	v_bfe_u32 v24, v96, 21, 1
	v_mov_b32_e32 v25, v39
	s_delay_alu instid0(VALU_DEP_1) | instskip(NEXT) | instid1(VALU_DEP_1)
	v_add_nc_u64_e32 v[24:25], v[96:97], v[24:25]
	v_add_nc_u64_e32 v[98:99], -1, v[24:25]
; %bb.2987:                             ;   in Loop: Header=BB4_2382 Depth=2
	s_or_b32 exec_lo, exec_lo, s43
	v_add_nc_u32_e32 v20, 0xffffff81, v20
	v_lshrrev_b32_e32 v24, 23, v96
	s_mov_b32 s11, exec_lo
	s_delay_alu instid0(VALU_DEP_2) | instskip(NEXT) | instid1(VALU_DEP_1)
	v_cndmask_b32_e64 v20, v20, 0xffffff82, vcc_lo
	v_add3_u32 v21, v21, v20, v24
	v_and_b32_e32 v20, 0x1fffff, v98
	s_delay_alu instid0(VALU_DEP_1) | instskip(NEXT) | instid1(VALU_DEP_1)
	v_dual_add_nc_u32 v30, 14, v21 :: v_dual_add_nc_u32 v38, v20, v96
                                        ; implicit-def: $vgpr96_vgpr97
                                        ; implicit-def: $vgpr20
	v_cmpx_ne_u32_e32 0, v30
	s_xor_b32 s11, exec_lo, s11
; %bb.2988:                             ;   in Loop: Header=BB4_2382 Depth=2
	s_delay_alu instid0(VALU_DEP_2) | instskip(SKIP_2) | instid1(VALU_DEP_2)
	v_cmp_lt_u64_e32 vcc_lo, 0xffffff, v[38:39]
	v_add_nc_u32_e32 v20, 15, v21
	v_cndmask_b32_e64 v21, 0, 1, vcc_lo
	v_cndmask_b32_e32 v20, v30, v20, vcc_lo
	s_delay_alu instid0(VALU_DEP_2)
	v_lshrrev_b64 v[96:97], v21, v[38:39]
; %bb.2989:                             ;   in Loop: Header=BB4_2382 Depth=2
	s_and_not1_saveexec_b32 s11, s11
; %bb.2990:                             ;   in Loop: Header=BB4_2382 Depth=2
	v_mov_b64_e32 v[96:97], v[38:39]
	v_bfe_u32 v20, v38, 23, 1
; %bb.2991:                             ;   in Loop: Header=BB4_2382 Depth=2
	s_or_b32 exec_lo, exec_lo, s11
	s_delay_alu instid0(VALU_DEP_2) | instskip(NEXT) | instid1(VALU_DEP_2)
	v_lshrrev_b64 v[24:25], 21, v[96:97]
	v_cmp_gt_i32_e32 vcc_lo, 32, v20
	v_min_i32_e32 v21, 31, v20
	v_cmp_eq_u32_e64 s11, 0, v20
	s_delay_alu instid0(VALU_DEP_4) | instskip(NEXT) | instid1(VALU_DEP_3)
	v_cndmask_b32_e32 v25, 0, v25, vcc_lo
	v_dual_cndmask_b32 v24, 3, v24 :: v_dual_lshlrev_b32 v21, 2, v21
	s_delay_alu instid0(VALU_DEP_1) | instskip(NEXT) | instid1(VALU_DEP_2)
	v_and_b32_e32 v21, 0xfc, v21
	v_cmp_eq_u64_e32 vcc_lo, 0, v[24:25]
	s_delay_alu instid0(VALU_DEP_2)
	v_and_or_b32 v20, v24, 3, v21
	s_and_b32 s11, s11, vcc_lo
	s_delay_alu instid0(VALU_DEP_1) | instid1(SALU_CYCLE_1)
	v_cndmask_b32_e64 v20, v20, 0, s11
	s_delay_alu instid0(VALU_DEP_1)
	v_or_b32_e32 v118, v20, v2
.LBB4_2992:                             ;   in Loop: Header=BB4_2382 Depth=2
	s_or_b32 exec_lo, exec_lo, s42
                                        ; implicit-def: $vgpr2
.LBB4_2993:                             ;   in Loop: Header=BB4_2382 Depth=2
	s_and_not1_saveexec_b32 s11, s41
; %bb.2994:                             ;   in Loop: Header=BB4_2382 Depth=2
	v_or_b32_e32 v118, 0x7b, v2
; %bb.2995:                             ;   in Loop: Header=BB4_2382 Depth=2
	s_or_b32 exec_lo, exec_lo, s11
                                        ; implicit-def: $vgpr30
                                        ; implicit-def: $vgpr2
.LBB4_2996:                             ;   in Loop: Header=BB4_2382 Depth=2
	s_and_not1_saveexec_b32 s11, s40
	s_cbranch_execz .LBB4_3002
; %bb.2997:                             ;   in Loop: Header=BB4_2382 Depth=2
	s_mov_b32 s40, exec_lo
                                        ; implicit-def: $vgpr118
	v_cmpx_ne_u64_e32 0, v[38:39]
	s_xor_b32 s40, exec_lo, s40
; %bb.2998:                             ;   in Loop: Header=BB4_2382 Depth=2
	v_or_b32_e32 v118, 0x7f, v2
                                        ; implicit-def: $vgpr30
; %bb.2999:                             ;   in Loop: Header=BB4_2382 Depth=2
	s_and_not1_saveexec_b32 s40, s40
; %bb.3000:                             ;   in Loop: Header=BB4_2382 Depth=2
	v_cmp_lt_i32_e32 vcc_lo, -1, v30
	v_cndmask_b32_e32 v118, 0xfc, v122, vcc_lo
; %bb.3001:                             ;   in Loop: Header=BB4_2382 Depth=2
	s_or_b32 exec_lo, exec_lo, s40
.LBB4_3002:                             ;   in Loop: Header=BB4_2382 Depth=2
	s_delay_alu instid0(SALU_CYCLE_1) | instskip(SKIP_4) | instid1(VALU_DEP_2)
	s_or_b32 exec_lo, exec_lo, s11
	v_lshl_or_b32 v2, v41, 8, v100
	v_dual_lshlrev_b32 v20, 16, v43 :: v_dual_lshlrev_b32 v21, 24, v44
	v_mov_b32_e32 v30, 0
	s_mov_b32 s11, exec_lo
	v_or3_b32 v38, v20, v21, v2
	v_cmpx_ne_u32_e32 0, v100
	s_cbranch_execz .LBB4_3012
; %bb.3003:                             ;   in Loop: Header=BB4_2382 Depth=2
	v_bfrev_b32_e32 v30, 1
	s_mov_b32 s40, exec_lo
	v_cmpx_ne_u32_e32 0x80, v100
	s_cbranch_execz .LBB4_3011
; %bb.3004:                             ;   in Loop: Header=BB4_2382 Depth=2
	v_and_b32_e32 v21, 0x7c, v100
	v_and_b32_e32 v20, 3, v100
	s_mov_b32 s41, exec_lo
                                        ; implicit-def: $vgpr30
	s_delay_alu instid0(VALU_DEP_2)
	v_cmpx_ne_u32_e32 0x7c, v21
	s_xor_b32 s41, exec_lo, s41
	s_cbranch_execz .LBB4_3008
; %bb.3005:                             ;   in Loop: Header=BB4_2382 Depth=2
	v_bfe_u32 v21, v100, 2, 5
	s_mov_b32 s42, exec_lo
	s_delay_alu instid0(VALU_DEP_1)
	v_cmpx_eq_u32_e32 0, v21
; %bb.3006:                             ;   in Loop: Header=BB4_2382 Depth=2
	v_clz_i32_u32_e32 v20, v20
	s_delay_alu instid0(VALU_DEP_1) | instskip(NEXT) | instid1(VALU_DEP_1)
	v_min_u32_e32 v24, 32, v20
	v_subrev_nc_u32_e32 v20, 29, v24
	s_delay_alu instid0(VALU_DEP_1) | instskip(SKIP_1) | instid1(VALU_DEP_2)
	v_lshlrev_b64_e32 v[20:21], v20, v[38:39]
	v_sub_nc_u32_e32 v21, 30, v24
	v_and_b32_e32 v20, 3, v20
; %bb.3007:                             ;   in Loop: Header=BB4_2382 Depth=2
	s_or_b32 exec_lo, exec_lo, s42
	v_lshlrev_b32_e32 v24, 24, v100
                                        ; implicit-def: $vgpr100
	s_delay_alu instid0(VALU_DEP_1) | instskip(NEXT) | instid1(VALU_DEP_1)
	v_and_b32_e32 v24, 0x80000000, v24
	v_lshl_add_u32 v21, v21, 23, v24
	s_delay_alu instid0(VALU_DEP_1) | instskip(NEXT) | instid1(VALU_DEP_1)
	v_lshl_or_b32 v20, v20, 21, v21
	v_add_nc_u32_e32 v30, 0x38000000, v20
                                        ; implicit-def: $vgpr20
.LBB4_3008:                             ;   in Loop: Header=BB4_2382 Depth=2
	s_and_not1_saveexec_b32 s41, s41
; %bb.3009:                             ;   in Loop: Header=BB4_2382 Depth=2
	v_and_b32_e32 v21, 0x80, v100
	s_delay_alu instid0(VALU_DEP_1) | instskip(SKIP_2) | instid1(VALU_DEP_2)
	v_cmp_eq_u32_e32 vcc_lo, 0, v21
	v_cndmask_b32_e32 v21, 0xff800000, v126, vcc_lo
	v_cmp_eq_u32_e32 vcc_lo, 0, v20
	v_cndmask_b32_e32 v30, 0x7f800001, v21, vcc_lo
; %bb.3010:                             ;   in Loop: Header=BB4_2382 Depth=2
	s_or_b32 exec_lo, exec_lo, s41
.LBB4_3011:                             ;   in Loop: Header=BB4_2382 Depth=2
	s_delay_alu instid0(SALU_CYCLE_1)
	s_or_b32 exec_lo, exec_lo, s40
.LBB4_3012:                             ;   in Loop: Header=BB4_2382 Depth=2
	s_delay_alu instid0(SALU_CYCLE_1) | instskip(SKIP_4) | instid1(VALU_DEP_2)
	s_or_b32 exec_lo, exec_lo, s11
	v_and_b32_e32 v21, 0xff, v11
	v_mov_b32_e32 v96, v11
	s_mov_b32 s40, 0
	s_mov_b32 s11, exec_lo
	v_cmpx_lt_i16_e32 0x7f, v21
	s_xor_b32 s11, exec_lo, s11
	s_cbranch_execnz .LBB4_3409
; %bb.3013:                             ;   in Loop: Header=BB4_2382 Depth=2
	s_or_saveexec_b32 s11, s11
	v_bfrev_b32_e32 v20, 1
	s_xor_b32 exec_lo, exec_lo, s11
	s_cbranch_execnz .LBB4_3412
.LBB4_3014:                             ;   in Loop: Header=BB4_2382 Depth=2
	s_or_b32 exec_lo, exec_lo, s11
	v_mov_b32_e32 v97, v39
	s_and_saveexec_b32 s11, s40
	s_cbranch_execz .LBB4_3016
.LBB4_3015:                             ;   in Loop: Header=BB4_2382 Depth=2
	v_and_b32_e32 v24, 3, v11
	v_bfe_u32 v31, v11, 2, 5
	s_delay_alu instid0(VALU_DEP_2) | instskip(NEXT) | instid1(VALU_DEP_2)
	v_clz_i32_u32_e32 v20, v24
	v_cmp_eq_u32_e32 vcc_lo, 0, v31
	s_delay_alu instid0(VALU_DEP_2) | instskip(NEXT) | instid1(VALU_DEP_1)
	v_min_u32_e32 v25, 32, v20
	v_subrev_nc_u32_e32 v20, 29, v25
	s_delay_alu instid0(VALU_DEP_1) | instskip(SKIP_1) | instid1(VALU_DEP_1)
	v_lshlrev_b64_e32 v[20:21], v20, v[96:97]
	v_dual_lshlrev_b32 v21, 24, v11 :: v_dual_sub_nc_u32 v25, 30, v25
	v_and_b32_e32 v21, 0x80000000, v21
	s_delay_alu instid0(VALU_DEP_2) | instskip(SKIP_1) | instid1(VALU_DEP_2)
	v_dual_cndmask_b32 v25, v31, v25, vcc_lo :: v_dual_bitop2_b32 v20, 3, v20 bitop3:0x40
	v_bfe_i32 v31, v11, 0, 8
	v_cndmask_b32_e32 v20, v24, v20, vcc_lo
	s_delay_alu instid0(VALU_DEP_3) | instskip(NEXT) | instid1(VALU_DEP_3)
	v_lshl_add_u32 v21, v25, 23, v21
	v_cmp_lt_i16_e32 vcc_lo, -1, v31
	s_delay_alu instid0(VALU_DEP_2) | instskip(SKIP_3) | instid1(VALU_DEP_4)
	v_lshl_or_b32 v20, v20, 21, v21
	v_cndmask_b32_e32 v25, 0xff800000, v126, vcc_lo
	v_and_b32_e32 v21, 0x7c, v11
	v_cmp_eq_u32_e32 vcc_lo, 0, v24
	v_add_nc_u32_e32 v20, 0x38000000, v20
	s_delay_alu instid0(VALU_DEP_4) | instskip(NEXT) | instid1(VALU_DEP_4)
	v_cndmask_b32_e32 v24, 0x7f800001, v25, vcc_lo
	v_cmp_eq_u32_e32 vcc_lo, 0x7c, v21
	s_delay_alu instid0(VALU_DEP_2)
	v_cndmask_b32_e32 v20, v20, v24, vcc_lo
.LBB4_3016:                             ;   in Loop: Header=BB4_2382 Depth=2
	s_or_b32 exec_lo, exec_lo, s11
	s_delay_alu instid0(VALU_DEP_1) | instskip(SKIP_1) | instid1(VALU_DEP_2)
	v_dual_add_f32 v97, v30, v20 :: v_dual_mov_b32 v21, v39
	v_mov_b32_e32 v99, v39
                                        ; implicit-def: $vgpr100
	v_and_b32_e32 v20, 0x7f800000, v97
	v_and_b32_e32 v98, 0x7fffff, v97
	s_delay_alu instid0(VALU_DEP_2) | instskip(SKIP_2) | instid1(SALU_CYCLE_1)
	v_cmp_ne_u64_e32 vcc_lo, 0x7f800000, v[20:21]
	v_lshrrev_b32_e32 v20, 24, v97
	s_and_saveexec_b32 s11, vcc_lo
	s_xor_b32 s40, exec_lo, s11
	s_cbranch_execz .LBB4_3030
; %bb.3017:                             ;   in Loop: Header=BB4_2382 Depth=2
	v_and_b32_e32 v24, 0x7fffffff, v97
	v_mov_b32_e32 v25, v39
	v_and_b32_e32 v30, 0x80, v20
                                        ; implicit-def: $vgpr100
	s_mov_b32 s11, exec_lo
	s_delay_alu instid0(VALU_DEP_2)
	v_cmpx_gt_u64_e32 0x47600001, v[24:25]
	s_xor_b32 s41, exec_lo, s11
	s_cbranch_execz .LBB4_3027
; %bb.3018:                             ;   in Loop: Header=BB4_2382 Depth=2
	v_mov_b32_e32 v100, 0
	s_mov_b32 s42, exec_lo
	v_cmpx_ne_u32_e32 0, v97
	s_cbranch_execz .LBB4_3026
; %bb.3019:                             ;   in Loop: Header=BB4_2382 Depth=2
	v_bfe_u32 v20, v97, 23, 8
	v_or_b32_e32 v31, 0x800000, v98
	s_delay_alu instid0(VALU_DEP_2) | instskip(SKIP_1) | instid1(VALU_DEP_2)
	v_sub_nc_u32_e32 v21, 0x71, v20
	v_cmp_gt_u32_e32 vcc_lo, 0x72, v20
	v_cndmask_b32_e32 v21, 0, v21, vcc_lo
	v_cmp_eq_u32_e32 vcc_lo, 0, v20
	s_delay_alu instid0(VALU_DEP_2) | instskip(NEXT) | instid1(VALU_DEP_1)
	v_cndmask_b32_e64 v21, v21, 0x70, vcc_lo
	v_dual_cndmask_b32 v98, v31, v98, vcc_lo :: v_dual_add_nc_u32 v24, 21, v21
	v_add_nc_u32_e32 v97, 20, v21
	s_delay_alu instid0(VALU_DEP_2) | instskip(NEXT) | instid1(VALU_DEP_2)
	v_lshlrev_b64_e64 v[24:25], v24, -1
	v_lshlrev_b64_e64 v[100:101], v97, 1
	s_delay_alu instid0(VALU_DEP_2) | instskip(SKIP_1) | instid1(VALU_DEP_4)
	v_bfi_b32 v24, v24, 0, v98
	v_lshrrev_b64 v[98:99], v21, v[98:99]
	v_bfi_b32 v25, v25, 0, 0
	s_delay_alu instid0(VALU_DEP_1) | instskip(NEXT) | instid1(VALU_DEP_3)
	v_cmp_eq_u64_e64 s11, v[24:25], v[100:101]
	v_mov_b64_e32 v[100:101], v[98:99]
	s_and_saveexec_b32 s43, s11
; %bb.3020:                             ;   in Loop: Header=BB4_2382 Depth=2
	v_bfe_u32 v24, v98, 21, 1
	v_mov_b32_e32 v25, v39
	s_delay_alu instid0(VALU_DEP_1) | instskip(NEXT) | instid1(VALU_DEP_1)
	v_add_nc_u64_e32 v[24:25], v[98:99], v[24:25]
	v_add_nc_u64_e32 v[100:101], -1, v[24:25]
; %bb.3021:                             ;   in Loop: Header=BB4_2382 Depth=2
	s_or_b32 exec_lo, exec_lo, s43
	v_dual_mov_b32 v99, v39 :: v_dual_add_nc_u32 v20, 0xffffff81, v20
	v_lshrrev_b32_e32 v24, 23, v98
	s_mov_b32 s11, exec_lo
	s_delay_alu instid0(VALU_DEP_2) | instskip(NEXT) | instid1(VALU_DEP_1)
	v_cndmask_b32_e64 v20, v20, 0xffffff82, vcc_lo
	v_add3_u32 v21, v21, v20, v24
	v_and_b32_e32 v20, 0x1fffff, v100
	s_delay_alu instid0(VALU_DEP_1) | instskip(NEXT) | instid1(VALU_DEP_1)
	v_dual_add_nc_u32 v97, 14, v21 :: v_dual_add_nc_u32 v98, v20, v98
                                        ; implicit-def: $vgpr20
	v_cmpx_ne_u32_e32 0, v97
	s_xor_b32 s11, exec_lo, s11
; %bb.3022:                             ;   in Loop: Header=BB4_2382 Depth=2
	s_delay_alu instid0(VALU_DEP_2) | instskip(SKIP_2) | instid1(VALU_DEP_2)
	v_cmp_lt_u64_e32 vcc_lo, 0xffffff, v[98:99]
	v_add_nc_u32_e32 v20, 15, v21
	v_cndmask_b32_e64 v21, 0, 1, vcc_lo
	v_cndmask_b32_e32 v20, v97, v20, vcc_lo
	s_delay_alu instid0(VALU_DEP_2)
	v_lshrrev_b64 v[98:99], v21, v[98:99]
; %bb.3023:                             ;   in Loop: Header=BB4_2382 Depth=2
	s_and_not1_saveexec_b32 s11, s11
; %bb.3024:                             ;   in Loop: Header=BB4_2382 Depth=2
	s_delay_alu instid0(VALU_DEP_1)
	v_bfe_u32 v20, v98, 23, 1
; %bb.3025:                             ;   in Loop: Header=BB4_2382 Depth=2
	s_or_b32 exec_lo, exec_lo, s11
	s_delay_alu instid0(VALU_DEP_2) | instskip(NEXT) | instid1(VALU_DEP_2)
	v_lshrrev_b64 v[24:25], 21, v[98:99]
	v_cmp_gt_i32_e32 vcc_lo, 32, v20
	v_min_i32_e32 v21, 31, v20
	v_cmp_eq_u32_e64 s11, 0, v20
	s_delay_alu instid0(VALU_DEP_4) | instskip(NEXT) | instid1(VALU_DEP_3)
	v_cndmask_b32_e32 v25, 0, v25, vcc_lo
	v_dual_cndmask_b32 v24, 3, v24 :: v_dual_lshlrev_b32 v21, 2, v21
	s_delay_alu instid0(VALU_DEP_1) | instskip(NEXT) | instid1(VALU_DEP_2)
	v_and_b32_e32 v21, 0xfc, v21
	v_cmp_eq_u64_e32 vcc_lo, 0, v[24:25]
	s_delay_alu instid0(VALU_DEP_2)
	v_and_or_b32 v20, v24, 3, v21
	s_and_b32 s11, s11, vcc_lo
	s_delay_alu instid0(VALU_DEP_1) | instid1(SALU_CYCLE_1)
	v_cndmask_b32_e64 v20, v20, 0, s11
	s_delay_alu instid0(VALU_DEP_1)
	v_or_b32_e32 v100, v20, v30
.LBB4_3026:                             ;   in Loop: Header=BB4_2382 Depth=2
	s_or_b32 exec_lo, exec_lo, s42
                                        ; implicit-def: $vgpr30
.LBB4_3027:                             ;   in Loop: Header=BB4_2382 Depth=2
	s_and_not1_saveexec_b32 s11, s41
; %bb.3028:                             ;   in Loop: Header=BB4_2382 Depth=2
	v_or_b32_e32 v100, 0x7b, v30
; %bb.3029:                             ;   in Loop: Header=BB4_2382 Depth=2
	s_or_b32 exec_lo, exec_lo, s11
                                        ; implicit-def: $vgpr97
                                        ; implicit-def: $vgpr98_vgpr99
                                        ; implicit-def: $vgpr20
.LBB4_3030:                             ;   in Loop: Header=BB4_2382 Depth=2
	s_and_not1_saveexec_b32 s11, s40
	s_cbranch_execz .LBB4_3036
; %bb.3031:                             ;   in Loop: Header=BB4_2382 Depth=2
	s_mov_b32 s40, exec_lo
                                        ; implicit-def: $vgpr100
	v_cmpx_ne_u64_e32 0, v[98:99]
	s_xor_b32 s40, exec_lo, s40
; %bb.3032:                             ;   in Loop: Header=BB4_2382 Depth=2
	v_or_b32_e32 v100, 0x7f, v20
                                        ; implicit-def: $vgpr97
; %bb.3033:                             ;   in Loop: Header=BB4_2382 Depth=2
	s_and_not1_saveexec_b32 s40, s40
; %bb.3034:                             ;   in Loop: Header=BB4_2382 Depth=2
	v_cmp_lt_i32_e32 vcc_lo, -1, v97
	v_cndmask_b32_e32 v100, 0xfc, v122, vcc_lo
; %bb.3035:                             ;   in Loop: Header=BB4_2382 Depth=2
	s_or_b32 exec_lo, exec_lo, s40
.LBB4_3036:                             ;   in Loop: Header=BB4_2382 Depth=2
	s_delay_alu instid0(SALU_CYCLE_1) | instskip(SKIP_3) | instid1(VALU_DEP_2)
	s_or_b32 exec_lo, exec_lo, s11
	v_lshrrev_b16 v98, 8, v2
	v_mov_b32_e32 v30, 0
	s_mov_b32 s11, exec_lo
	v_cmpx_ne_u16_e32 0, v98
	s_cbranch_execz .LBB4_3046
; %bb.3037:                             ;   in Loop: Header=BB4_2382 Depth=2
	v_bfrev_b32_e32 v30, 1
	s_mov_b32 s40, exec_lo
	v_cmpx_ne_u16_e32 0x80, v98
	s_cbranch_execz .LBB4_3045
; %bb.3038:                             ;   in Loop: Header=BB4_2382 Depth=2
	v_and_b32_e32 v21, 0xffff, v98
	s_mov_b32 s41, exec_lo
                                        ; implicit-def: $vgpr30
	s_delay_alu instid0(VALU_DEP_1) | instskip(SKIP_1) | instid1(VALU_DEP_2)
	v_and_b32_e32 v24, 0x7c, v21
	v_and_b32_e32 v20, 3, v21
	v_cmpx_ne_u32_e32 0x7c, v24
	s_xor_b32 s41, exec_lo, s41
	s_cbranch_execz .LBB4_3042
; %bb.3039:                             ;   in Loop: Header=BB4_2382 Depth=2
	v_bfe_u32 v21, v21, 2, 5
	s_mov_b32 s42, exec_lo
	s_delay_alu instid0(VALU_DEP_1)
	v_cmpx_eq_u32_e32 0, v21
	s_cbranch_execz .LBB4_3041
; %bb.3040:                             ;   in Loop: Header=BB4_2382 Depth=2
	v_clz_i32_u32_e32 v20, v20
	s_delay_alu instid0(VALU_DEP_1) | instskip(SKIP_1) | instid1(VALU_DEP_2)
	v_min_u32_e32 v24, 32, v20
	v_mov_b32_e32 v99, v39
	v_subrev_nc_u32_e32 v20, 29, v24
	s_delay_alu instid0(VALU_DEP_1) | instskip(SKIP_1) | instid1(VALU_DEP_2)
	v_lshlrev_b64_e32 v[20:21], v20, v[98:99]
	v_sub_nc_u32_e32 v21, 30, v24
	v_and_b32_e32 v20, 3, v20
.LBB4_3041:                             ;   in Loop: Header=BB4_2382 Depth=2
	s_or_b32 exec_lo, exec_lo, s42
	v_lshlrev_b32_e32 v2, 16, v2
	s_delay_alu instid0(VALU_DEP_1) | instskip(NEXT) | instid1(VALU_DEP_1)
	v_and_b32_e32 v2, 0x80000000, v2
	v_lshl_add_u32 v2, v21, 23, v2
	s_delay_alu instid0(VALU_DEP_1) | instskip(NEXT) | instid1(VALU_DEP_1)
	v_lshl_or_b32 v2, v20, 21, v2
                                        ; implicit-def: $vgpr20
	v_add_nc_u32_e32 v30, 0x38000000, v2
                                        ; implicit-def: $vgpr2
.LBB4_3042:                             ;   in Loop: Header=BB4_2382 Depth=2
	s_and_not1_saveexec_b32 s41, s41
; %bb.3043:                             ;   in Loop: Header=BB4_2382 Depth=2
	v_cmp_lt_i16_e32 vcc_lo, -1, v2
	v_cndmask_b32_e32 v2, 0xff800000, v126, vcc_lo
	v_cmp_eq_u32_e32 vcc_lo, 0, v20
	s_delay_alu instid0(VALU_DEP_2)
	v_cndmask_b32_e32 v30, 0x7f800001, v2, vcc_lo
; %bb.3044:                             ;   in Loop: Header=BB4_2382 Depth=2
	s_or_b32 exec_lo, exec_lo, s41
.LBB4_3045:                             ;   in Loop: Header=BB4_2382 Depth=2
	s_delay_alu instid0(SALU_CYCLE_1)
	s_or_b32 exec_lo, exec_lo, s40
.LBB4_3046:                             ;   in Loop: Header=BB4_2382 Depth=2
	s_delay_alu instid0(SALU_CYCLE_1) | instskip(SKIP_3) | instid1(VALU_DEP_1)
	s_or_b32 exec_lo, exec_lo, s11
	v_lshrrev_b16 v98, 8, v96
	s_mov_b32 s40, 0
	s_mov_b32 s11, exec_lo
	v_cmpx_lt_i16_e32 0x7f, v98
	s_xor_b32 s11, exec_lo, s11
	s_cbranch_execnz .LBB4_3413
; %bb.3047:                             ;   in Loop: Header=BB4_2382 Depth=2
	s_or_saveexec_b32 s11, s11
	v_bfrev_b32_e32 v2, 1
	s_xor_b32 exec_lo, exec_lo, s11
	s_cbranch_execnz .LBB4_3416
.LBB4_3048:                             ;   in Loop: Header=BB4_2382 Depth=2
	s_or_b32 exec_lo, exec_lo, s11
	s_and_saveexec_b32 s11, s40
	s_cbranch_execz .LBB4_3050
.LBB4_3049:                             ;   in Loop: Header=BB4_2382 Depth=2
	v_and_b32_e32 v2, 0xffff, v98
	s_delay_alu instid0(VALU_DEP_1) | instskip(SKIP_2) | instid1(VALU_DEP_3)
	v_dual_mov_b32 v99, v39 :: v_dual_bitop2_b32 v24, 3, v2 bitop3:0x40
	v_bfe_u32 v31, v2, 2, 5
	v_and_b32_e32 v2, 0x7c, v2
	v_clz_i32_u32_e32 v20, v24
	s_delay_alu instid0(VALU_DEP_3) | instskip(NEXT) | instid1(VALU_DEP_2)
	v_cmp_eq_u32_e32 vcc_lo, 0, v31
	v_min_u32_e32 v25, 32, v20
	s_delay_alu instid0(VALU_DEP_1) | instskip(SKIP_1) | instid1(VALU_DEP_2)
	v_subrev_nc_u32_e32 v20, 29, v25
	v_sub_nc_u32_e32 v25, 30, v25
	v_lshlrev_b64_e32 v[20:21], v20, v[98:99]
	s_delay_alu instid0(VALU_DEP_2) | instskip(NEXT) | instid1(VALU_DEP_1)
	v_dual_lshlrev_b32 v21, 24, v98 :: v_dual_cndmask_b32 v25, v31, v25, vcc_lo
	v_and_b32_e32 v21, 0x80000000, v21
	s_delay_alu instid0(VALU_DEP_3) | instskip(NEXT) | instid1(VALU_DEP_2)
	v_and_b32_e32 v20, 3, v20
	v_lshl_add_u32 v21, v25, 23, v21
	s_delay_alu instid0(VALU_DEP_2) | instskip(SKIP_1) | instid1(VALU_DEP_2)
	v_cndmask_b32_e32 v20, v24, v20, vcc_lo
	v_cmp_lt_i16_e32 vcc_lo, -1, v96
	v_lshl_or_b32 v20, v20, 21, v21
	v_cndmask_b32_e32 v25, 0xff800000, v126, vcc_lo
	v_cmp_eq_u32_e32 vcc_lo, 0, v24
	s_delay_alu instid0(VALU_DEP_3) | instskip(NEXT) | instid1(VALU_DEP_3)
	v_add_nc_u32_e32 v20, 0x38000000, v20
	v_cndmask_b32_e32 v21, 0x7f800001, v25, vcc_lo
	v_cmp_eq_u32_e32 vcc_lo, 0x7c, v2
	s_delay_alu instid0(VALU_DEP_2)
	v_cndmask_b32_e32 v2, v20, v21, vcc_lo
.LBB4_3050:                             ;   in Loop: Header=BB4_2382 Depth=2
	s_or_b32 exec_lo, exec_lo, s11
	s_delay_alu instid0(VALU_DEP_1) | instskip(SKIP_2) | instid1(VALU_DEP_2)
	v_dual_add_f32 v30, v30, v2 :: v_dual_mov_b32 v21, v39
	v_mov_b32_e32 v97, v39
                                        ; implicit-def: $vgpr101
	s_mov_b32 s11, exec_lo
	v_and_b32_e32 v20, 0x7f800000, v30
	v_and_b32_e32 v96, 0x7fffff, v30
	v_lshrrev_b32_e32 v2, 24, v30
	s_delay_alu instid0(VALU_DEP_3)
	v_cmpx_ne_u64_e32 0x7f800000, v[20:21]
	s_xor_b32 s40, exec_lo, s11
	s_cbranch_execz .LBB4_3064
; %bb.3051:                             ;   in Loop: Header=BB4_2382 Depth=2
	v_and_b32_e32 v20, 0x7fffffff, v30
	v_mov_b32_e32 v21, v39
	v_and_b32_e32 v2, 0x80, v2
                                        ; implicit-def: $vgpr101
	s_mov_b32 s11, exec_lo
	s_delay_alu instid0(VALU_DEP_2)
	v_cmpx_gt_u64_e32 0x47600001, v[20:21]
	s_xor_b32 s41, exec_lo, s11
	s_cbranch_execz .LBB4_3061
; %bb.3052:                             ;   in Loop: Header=BB4_2382 Depth=2
	v_mov_b32_e32 v101, 0
	s_mov_b32 s42, exec_lo
	v_cmpx_ne_u32_e32 0, v30
	s_cbranch_execz .LBB4_3060
; %bb.3053:                             ;   in Loop: Header=BB4_2382 Depth=2
	v_bfe_u32 v20, v30, 23, 8
	v_or_b32_e32 v30, 0x800000, v96
	s_mov_b32 s43, exec_lo
	s_delay_alu instid0(VALU_DEP_2) | instskip(SKIP_1) | instid1(VALU_DEP_2)
	v_sub_nc_u32_e32 v21, 0x71, v20
	v_cmp_gt_u32_e32 vcc_lo, 0x72, v20
	v_cndmask_b32_e32 v21, 0, v21, vcc_lo
	v_cmp_eq_u32_e32 vcc_lo, 0, v20
	v_cndmask_b32_e32 v96, v30, v96, vcc_lo
	s_delay_alu instid0(VALU_DEP_3) | instskip(NEXT) | instid1(VALU_DEP_1)
	v_cndmask_b32_e64 v21, v21, 0x70, vcc_lo
	v_dual_add_nc_u32 v24, 21, v21 :: v_dual_add_nc_u32 v31, 20, v21
	s_delay_alu instid0(VALU_DEP_1) | instskip(NEXT) | instid1(VALU_DEP_2)
	v_lshlrev_b64_e64 v[24:25], v24, -1
	v_lshlrev_b64_e64 v[30:31], v31, 1
	s_delay_alu instid0(VALU_DEP_2) | instskip(SKIP_1) | instid1(VALU_DEP_4)
	v_bfi_b32 v24, v24, 0, v96
	v_lshrrev_b64 v[96:97], v21, v[96:97]
	v_bfi_b32 v25, v25, 0, 0
	s_delay_alu instid0(VALU_DEP_2) | instskip(NEXT) | instid1(VALU_DEP_2)
	v_mov_b64_e32 v[98:99], v[96:97]
	v_cmpx_eq_u64_e64 v[24:25], v[30:31]
; %bb.3054:                             ;   in Loop: Header=BB4_2382 Depth=2
	v_bfe_u32 v24, v96, 21, 1
	v_mov_b32_e32 v25, v39
	s_delay_alu instid0(VALU_DEP_1) | instskip(NEXT) | instid1(VALU_DEP_1)
	v_add_nc_u64_e32 v[24:25], v[96:97], v[24:25]
	v_add_nc_u64_e32 v[98:99], -1, v[24:25]
; %bb.3055:                             ;   in Loop: Header=BB4_2382 Depth=2
	s_or_b32 exec_lo, exec_lo, s43
	v_dual_mov_b32 v97, v39 :: v_dual_add_nc_u32 v20, 0xffffff81, v20
	v_lshrrev_b32_e32 v24, 23, v96
	s_mov_b32 s11, exec_lo
	s_delay_alu instid0(VALU_DEP_2) | instskip(NEXT) | instid1(VALU_DEP_1)
	v_cndmask_b32_e64 v20, v20, 0xffffff82, vcc_lo
	v_add3_u32 v21, v21, v20, v24
	v_and_b32_e32 v20, 0x1fffff, v98
	s_delay_alu instid0(VALU_DEP_1) | instskip(NEXT) | instid1(VALU_DEP_1)
	v_dual_add_nc_u32 v30, 14, v21 :: v_dual_add_nc_u32 v96, v20, v96
                                        ; implicit-def: $vgpr20
	v_cmpx_ne_u32_e32 0, v30
	s_xor_b32 s11, exec_lo, s11
; %bb.3056:                             ;   in Loop: Header=BB4_2382 Depth=2
	s_delay_alu instid0(VALU_DEP_2) | instskip(SKIP_2) | instid1(VALU_DEP_2)
	v_cmp_lt_u64_e32 vcc_lo, 0xffffff, v[96:97]
	v_add_nc_u32_e32 v20, 15, v21
	v_cndmask_b32_e64 v21, 0, 1, vcc_lo
	v_cndmask_b32_e32 v20, v30, v20, vcc_lo
	s_delay_alu instid0(VALU_DEP_2)
	v_lshrrev_b64 v[96:97], v21, v[96:97]
; %bb.3057:                             ;   in Loop: Header=BB4_2382 Depth=2
	s_and_not1_saveexec_b32 s11, s11
; %bb.3058:                             ;   in Loop: Header=BB4_2382 Depth=2
	s_delay_alu instid0(VALU_DEP_1)
	v_bfe_u32 v20, v96, 23, 1
; %bb.3059:                             ;   in Loop: Header=BB4_2382 Depth=2
	s_or_b32 exec_lo, exec_lo, s11
	s_delay_alu instid0(VALU_DEP_2) | instskip(NEXT) | instid1(VALU_DEP_2)
	v_lshrrev_b64 v[24:25], 21, v[96:97]
	v_cmp_gt_i32_e32 vcc_lo, 32, v20
	v_min_i32_e32 v21, 31, v20
	v_cmp_eq_u32_e64 s11, 0, v20
	s_delay_alu instid0(VALU_DEP_4) | instskip(NEXT) | instid1(VALU_DEP_3)
	v_cndmask_b32_e32 v25, 0, v25, vcc_lo
	v_dual_cndmask_b32 v24, 3, v24 :: v_dual_lshlrev_b32 v21, 2, v21
	s_delay_alu instid0(VALU_DEP_1) | instskip(NEXT) | instid1(VALU_DEP_2)
	v_and_b32_e32 v21, 0xfc, v21
	v_cmp_eq_u64_e32 vcc_lo, 0, v[24:25]
	s_delay_alu instid0(VALU_DEP_2)
	v_and_or_b32 v20, v24, 3, v21
	s_and_b32 s11, s11, vcc_lo
	s_delay_alu instid0(VALU_DEP_1) | instid1(SALU_CYCLE_1)
	v_cndmask_b32_e64 v20, v20, 0, s11
	s_delay_alu instid0(VALU_DEP_1)
	v_or_b32_e32 v101, v20, v2
.LBB4_3060:                             ;   in Loop: Header=BB4_2382 Depth=2
	s_or_b32 exec_lo, exec_lo, s42
                                        ; implicit-def: $vgpr2
.LBB4_3061:                             ;   in Loop: Header=BB4_2382 Depth=2
	s_and_not1_saveexec_b32 s11, s41
; %bb.3062:                             ;   in Loop: Header=BB4_2382 Depth=2
	v_or_b32_e32 v101, 0x7b, v2
; %bb.3063:                             ;   in Loop: Header=BB4_2382 Depth=2
	s_or_b32 exec_lo, exec_lo, s11
                                        ; implicit-def: $vgpr30
                                        ; implicit-def: $vgpr96_vgpr97
                                        ; implicit-def: $vgpr2
.LBB4_3064:                             ;   in Loop: Header=BB4_2382 Depth=2
	s_and_not1_saveexec_b32 s11, s40
	s_cbranch_execz .LBB4_3070
; %bb.3065:                             ;   in Loop: Header=BB4_2382 Depth=2
	s_mov_b32 s40, exec_lo
                                        ; implicit-def: $vgpr101
	v_cmpx_ne_u64_e32 0, v[96:97]
	s_xor_b32 s40, exec_lo, s40
; %bb.3066:                             ;   in Loop: Header=BB4_2382 Depth=2
	v_or_b32_e32 v101, 0x7f, v2
                                        ; implicit-def: $vgpr30
; %bb.3067:                             ;   in Loop: Header=BB4_2382 Depth=2
	s_and_not1_saveexec_b32 s40, s40
; %bb.3068:                             ;   in Loop: Header=BB4_2382 Depth=2
	v_cmp_lt_i32_e32 vcc_lo, -1, v30
	v_cndmask_b32_e32 v101, 0xfc, v122, vcc_lo
; %bb.3069:                             ;   in Loop: Header=BB4_2382 Depth=2
	s_or_b32 exec_lo, exec_lo, s40
.LBB4_3070:                             ;   in Loop: Header=BB4_2382 Depth=2
	s_delay_alu instid0(SALU_CYCLE_1) | instskip(SKIP_2) | instid1(VALU_DEP_1)
	s_or_b32 exec_lo, exec_lo, s11
	v_dual_lshrrev_b32 v30, 16, v38 :: v_dual_mov_b32 v2, 0
	s_mov_b32 s11, exec_lo
	v_and_b32_e32 v20, 0xff, v30
	s_delay_alu instid0(VALU_DEP_1)
	v_cmpx_ne_u16_e32 0, v20
	s_cbranch_execz .LBB4_3080
; %bb.3071:                             ;   in Loop: Header=BB4_2382 Depth=2
	v_bfrev_b32_e32 v2, 1
	s_mov_b32 s40, exec_lo
	v_cmpx_ne_u16_e32 0x80, v20
	s_cbranch_execz .LBB4_3079
; %bb.3072:                             ;   in Loop: Header=BB4_2382 Depth=2
	v_and_b32_e32 v2, 0x7c0000, v38
	v_bfe_u32 v20, v38, 16, 2
	s_delay_alu instid0(VALU_DEP_2) | instskip(SKIP_1) | instid1(SALU_CYCLE_1)
	v_cmp_ne_u32_e32 vcc_lo, 0x7c0000, v2
                                        ; implicit-def: $vgpr2
	s_and_saveexec_b32 s41, vcc_lo
	s_xor_b32 s41, exec_lo, s41
	s_cbranch_execz .LBB4_3076
; %bb.3073:                             ;   in Loop: Header=BB4_2382 Depth=2
	v_bfe_u32 v2, v38, 18, 5
	s_mov_b32 s42, exec_lo
	s_delay_alu instid0(VALU_DEP_1)
	v_cmpx_eq_u32_e32 0, v2
; %bb.3074:                             ;   in Loop: Header=BB4_2382 Depth=2
	v_clz_i32_u32_e32 v2, v20
	s_delay_alu instid0(VALU_DEP_1) | instskip(NEXT) | instid1(VALU_DEP_1)
	v_min_u32_e32 v2, 32, v2
	v_subrev_nc_u32_e32 v20, 29, v2
	s_delay_alu instid0(VALU_DEP_1) | instskip(NEXT) | instid1(VALU_DEP_1)
	v_lshlrev_b64_e32 v[20:21], v20, v[30:31]
	v_dual_sub_nc_u32 v2, 30, v2 :: v_dual_bitop2_b32 v20, 3, v20 bitop3:0x40
; %bb.3075:                             ;   in Loop: Header=BB4_2382 Depth=2
	s_or_b32 exec_lo, exec_lo, s42
	v_lshlrev_b32_e32 v21, 24, v30
                                        ; implicit-def: $vgpr30
	s_delay_alu instid0(VALU_DEP_1) | instskip(NEXT) | instid1(VALU_DEP_1)
	v_and_b32_e32 v21, 0x80000000, v21
	v_lshl_add_u32 v2, v2, 23, v21
	s_delay_alu instid0(VALU_DEP_1) | instskip(NEXT) | instid1(VALU_DEP_1)
	v_lshl_or_b32 v2, v20, 21, v2
                                        ; implicit-def: $vgpr20
	v_add_nc_u32_e32 v2, 0x38000000, v2
.LBB4_3076:                             ;   in Loop: Header=BB4_2382 Depth=2
	s_and_not1_saveexec_b32 s41, s41
; %bb.3077:                             ;   in Loop: Header=BB4_2382 Depth=2
	v_bfe_i32 v2, v30, 0, 8
	s_delay_alu instid0(VALU_DEP_1) | instskip(SKIP_2) | instid1(VALU_DEP_2)
	v_cmp_lt_i16_e32 vcc_lo, -1, v2
	v_cndmask_b32_e32 v2, 0xff800000, v126, vcc_lo
	v_cmp_eq_u32_e32 vcc_lo, 0, v20
	v_cndmask_b32_e32 v2, 0x7f800001, v2, vcc_lo
; %bb.3078:                             ;   in Loop: Header=BB4_2382 Depth=2
	s_or_b32 exec_lo, exec_lo, s41
.LBB4_3079:                             ;   in Loop: Header=BB4_2382 Depth=2
	s_delay_alu instid0(SALU_CYCLE_1)
	s_or_b32 exec_lo, exec_lo, s40
.LBB4_3080:                             ;   in Loop: Header=BB4_2382 Depth=2
	s_delay_alu instid0(SALU_CYCLE_1) | instskip(SKIP_3) | instid1(VALU_DEP_1)
	s_or_b32 exec_lo, exec_lo, s11
	v_lshrrev_b32_e32 v30, 16, v11
	s_mov_b32 s40, 0
	s_mov_b32 s11, exec_lo
	v_and_b32_e32 v21, 0xff, v30
	s_delay_alu instid0(VALU_DEP_1)
	v_cmpx_lt_i16_e32 0x7f, v21
	s_xor_b32 s11, exec_lo, s11
	s_cbranch_execnz .LBB4_3417
; %bb.3081:                             ;   in Loop: Header=BB4_2382 Depth=2
	s_or_saveexec_b32 s11, s11
	v_bfrev_b32_e32 v20, 1
	s_xor_b32 exec_lo, exec_lo, s11
	s_cbranch_execnz .LBB4_3420
.LBB4_3082:                             ;   in Loop: Header=BB4_2382 Depth=2
	s_or_b32 exec_lo, exec_lo, s11
	s_and_saveexec_b32 s11, s40
	s_cbranch_execz .LBB4_3084
.LBB4_3083:                             ;   in Loop: Header=BB4_2382 Depth=2
	v_and_b32_e32 v24, 3, v30
	s_delay_alu instid0(VALU_DEP_1) | instskip(NEXT) | instid1(VALU_DEP_1)
	v_clz_i32_u32_e32 v20, v24
	v_min_u32_e32 v25, 32, v20
	s_delay_alu instid0(VALU_DEP_1) | instskip(NEXT) | instid1(VALU_DEP_1)
	v_subrev_nc_u32_e32 v20, 29, v25
	v_lshlrev_b64_e32 v[20:21], v20, v[30:31]
	v_bfe_u32 v31, v11, 18, 5
	v_dual_lshlrev_b32 v21, 24, v30 :: v_dual_sub_nc_u32 v25, 30, v25
	v_bfe_i32 v30, v30, 0, 8
	s_delay_alu instid0(VALU_DEP_3) | instskip(NEXT) | instid1(VALU_DEP_3)
	v_cmp_eq_u32_e32 vcc_lo, 0, v31
	v_and_b32_e32 v21, 0x80000000, v21
	s_delay_alu instid0(VALU_DEP_4) | instskip(NEXT) | instid1(VALU_DEP_1)
	v_dual_cndmask_b32 v25, v31, v25, vcc_lo :: v_dual_bitop2_b32 v20, 3, v20 bitop3:0x40
	v_cndmask_b32_e32 v20, v24, v20, vcc_lo
	v_cmp_lt_i16_e32 vcc_lo, -1, v30
	s_delay_alu instid0(VALU_DEP_3) | instskip(SKIP_2) | instid1(VALU_DEP_3)
	v_lshl_add_u32 v21, v25, 23, v21
	v_cndmask_b32_e32 v25, 0xff800000, v126, vcc_lo
	v_cmp_eq_u32_e32 vcc_lo, 0, v24
	v_lshl_or_b32 v20, v20, 21, v21
	v_and_b32_e32 v21, 0x7c0000, v11
	s_delay_alu instid0(VALU_DEP_4) | instskip(NEXT) | instid1(VALU_DEP_3)
	v_cndmask_b32_e32 v24, 0x7f800001, v25, vcc_lo
	v_add_nc_u32_e32 v20, 0x38000000, v20
	s_delay_alu instid0(VALU_DEP_3) | instskip(NEXT) | instid1(VALU_DEP_2)
	v_cmp_eq_u32_e32 vcc_lo, 0x7c0000, v21
	v_cndmask_b32_e32 v20, v20, v24, vcc_lo
.LBB4_3084:                             ;   in Loop: Header=BB4_2382 Depth=2
	s_or_b32 exec_lo, exec_lo, s11
	s_delay_alu instid0(VALU_DEP_1) | instskip(SKIP_2) | instid1(VALU_DEP_2)
	v_dual_add_f32 v30, v2, v20 :: v_dual_mov_b32 v21, v39
	v_mov_b32_e32 v97, v39
                                        ; implicit-def: $vgpr41
	s_mov_b32 s11, exec_lo
	v_and_b32_e32 v20, 0x7f800000, v30
	v_and_b32_e32 v96, 0x7fffff, v30
	v_lshrrev_b32_e32 v2, 24, v30
	s_delay_alu instid0(VALU_DEP_3)
	v_cmpx_ne_u64_e32 0x7f800000, v[20:21]
	s_xor_b32 s40, exec_lo, s11
	s_cbranch_execz .LBB4_3098
; %bb.3085:                             ;   in Loop: Header=BB4_2382 Depth=2
	v_and_b32_e32 v20, 0x7fffffff, v30
	v_mov_b32_e32 v21, v39
	v_and_b32_e32 v2, 0x80, v2
                                        ; implicit-def: $vgpr41
	s_mov_b32 s11, exec_lo
	s_delay_alu instid0(VALU_DEP_2)
	v_cmpx_gt_u64_e32 0x47600001, v[20:21]
	s_xor_b32 s41, exec_lo, s11
	s_cbranch_execz .LBB4_3095
; %bb.3086:                             ;   in Loop: Header=BB4_2382 Depth=2
	v_mov_b32_e32 v41, 0
	s_mov_b32 s42, exec_lo
	v_cmpx_ne_u32_e32 0, v30
	s_cbranch_execz .LBB4_3094
; %bb.3087:                             ;   in Loop: Header=BB4_2382 Depth=2
	v_bfe_u32 v20, v30, 23, 8
	v_or_b32_e32 v30, 0x800000, v96
	s_mov_b32 s43, exec_lo
	s_delay_alu instid0(VALU_DEP_2) | instskip(SKIP_1) | instid1(VALU_DEP_2)
	v_sub_nc_u32_e32 v21, 0x71, v20
	v_cmp_gt_u32_e32 vcc_lo, 0x72, v20
	v_cndmask_b32_e32 v21, 0, v21, vcc_lo
	v_cmp_eq_u32_e32 vcc_lo, 0, v20
	v_cndmask_b32_e32 v96, v30, v96, vcc_lo
	s_delay_alu instid0(VALU_DEP_3) | instskip(NEXT) | instid1(VALU_DEP_1)
	v_cndmask_b32_e64 v21, v21, 0x70, vcc_lo
	v_dual_add_nc_u32 v24, 21, v21 :: v_dual_add_nc_u32 v31, 20, v21
	s_delay_alu instid0(VALU_DEP_1) | instskip(NEXT) | instid1(VALU_DEP_2)
	v_lshlrev_b64_e64 v[24:25], v24, -1
	v_lshlrev_b64_e64 v[30:31], v31, 1
	s_delay_alu instid0(VALU_DEP_2) | instskip(SKIP_1) | instid1(VALU_DEP_4)
	v_bfi_b32 v24, v24, 0, v96
	v_lshrrev_b64 v[96:97], v21, v[96:97]
	v_bfi_b32 v25, v25, 0, 0
	s_delay_alu instid0(VALU_DEP_2) | instskip(NEXT) | instid1(VALU_DEP_2)
	v_mov_b64_e32 v[98:99], v[96:97]
	v_cmpx_eq_u64_e64 v[24:25], v[30:31]
; %bb.3088:                             ;   in Loop: Header=BB4_2382 Depth=2
	v_bfe_u32 v24, v96, 21, 1
	v_mov_b32_e32 v25, v39
	s_delay_alu instid0(VALU_DEP_1) | instskip(NEXT) | instid1(VALU_DEP_1)
	v_add_nc_u64_e32 v[24:25], v[96:97], v[24:25]
	v_add_nc_u64_e32 v[98:99], -1, v[24:25]
; %bb.3089:                             ;   in Loop: Header=BB4_2382 Depth=2
	s_or_b32 exec_lo, exec_lo, s43
	v_dual_mov_b32 v97, v39 :: v_dual_add_nc_u32 v20, 0xffffff81, v20
	v_lshrrev_b32_e32 v24, 23, v96
	s_mov_b32 s11, exec_lo
	s_delay_alu instid0(VALU_DEP_2) | instskip(NEXT) | instid1(VALU_DEP_1)
	v_cndmask_b32_e64 v20, v20, 0xffffff82, vcc_lo
	v_add3_u32 v21, v21, v20, v24
	v_and_b32_e32 v20, 0x1fffff, v98
	s_delay_alu instid0(VALU_DEP_1) | instskip(NEXT) | instid1(VALU_DEP_1)
	v_dual_add_nc_u32 v30, 14, v21 :: v_dual_add_nc_u32 v96, v20, v96
                                        ; implicit-def: $vgpr20
	v_cmpx_ne_u32_e32 0, v30
	s_xor_b32 s11, exec_lo, s11
; %bb.3090:                             ;   in Loop: Header=BB4_2382 Depth=2
	s_delay_alu instid0(VALU_DEP_2) | instskip(SKIP_2) | instid1(VALU_DEP_2)
	v_cmp_lt_u64_e32 vcc_lo, 0xffffff, v[96:97]
	v_add_nc_u32_e32 v20, 15, v21
	v_cndmask_b32_e64 v21, 0, 1, vcc_lo
	v_cndmask_b32_e32 v20, v30, v20, vcc_lo
	s_delay_alu instid0(VALU_DEP_2)
	v_lshrrev_b64 v[96:97], v21, v[96:97]
; %bb.3091:                             ;   in Loop: Header=BB4_2382 Depth=2
	s_and_not1_saveexec_b32 s11, s11
; %bb.3092:                             ;   in Loop: Header=BB4_2382 Depth=2
	s_delay_alu instid0(VALU_DEP_1)
	v_bfe_u32 v20, v96, 23, 1
; %bb.3093:                             ;   in Loop: Header=BB4_2382 Depth=2
	s_or_b32 exec_lo, exec_lo, s11
	s_delay_alu instid0(VALU_DEP_2) | instskip(NEXT) | instid1(VALU_DEP_2)
	v_lshrrev_b64 v[24:25], 21, v[96:97]
	v_cmp_gt_i32_e32 vcc_lo, 32, v20
	v_min_i32_e32 v21, 31, v20
	v_cmp_eq_u32_e64 s11, 0, v20
	s_delay_alu instid0(VALU_DEP_4) | instskip(NEXT) | instid1(VALU_DEP_3)
	v_cndmask_b32_e32 v25, 0, v25, vcc_lo
	v_dual_cndmask_b32 v24, 3, v24 :: v_dual_lshlrev_b32 v21, 2, v21
	s_delay_alu instid0(VALU_DEP_1) | instskip(NEXT) | instid1(VALU_DEP_2)
	v_and_b32_e32 v21, 0xfc, v21
	v_cmp_eq_u64_e32 vcc_lo, 0, v[24:25]
	s_delay_alu instid0(VALU_DEP_2)
	v_and_or_b32 v20, v24, 3, v21
	s_and_b32 s11, s11, vcc_lo
	s_delay_alu instid0(VALU_DEP_1) | instid1(SALU_CYCLE_1)
	v_cndmask_b32_e64 v20, v20, 0, s11
	s_delay_alu instid0(VALU_DEP_1)
	v_or_b32_e32 v41, v20, v2
.LBB4_3094:                             ;   in Loop: Header=BB4_2382 Depth=2
	s_or_b32 exec_lo, exec_lo, s42
                                        ; implicit-def: $vgpr2
.LBB4_3095:                             ;   in Loop: Header=BB4_2382 Depth=2
	s_and_not1_saveexec_b32 s11, s41
; %bb.3096:                             ;   in Loop: Header=BB4_2382 Depth=2
	v_or_b32_e32 v41, 0x7b, v2
; %bb.3097:                             ;   in Loop: Header=BB4_2382 Depth=2
	s_or_b32 exec_lo, exec_lo, s11
                                        ; implicit-def: $vgpr30
                                        ; implicit-def: $vgpr96_vgpr97
                                        ; implicit-def: $vgpr2
.LBB4_3098:                             ;   in Loop: Header=BB4_2382 Depth=2
	s_and_not1_saveexec_b32 s11, s40
	s_cbranch_execz .LBB4_3104
; %bb.3099:                             ;   in Loop: Header=BB4_2382 Depth=2
	s_mov_b32 s40, exec_lo
                                        ; implicit-def: $vgpr41
	v_cmpx_ne_u64_e32 0, v[96:97]
	s_xor_b32 s40, exec_lo, s40
; %bb.3100:                             ;   in Loop: Header=BB4_2382 Depth=2
	v_or_b32_e32 v41, 0x7f, v2
                                        ; implicit-def: $vgpr30
; %bb.3101:                             ;   in Loop: Header=BB4_2382 Depth=2
	s_and_not1_saveexec_b32 s40, s40
; %bb.3102:                             ;   in Loop: Header=BB4_2382 Depth=2
	v_cmp_lt_i32_e32 vcc_lo, -1, v30
	v_cndmask_b32_e32 v41, 0xfc, v122, vcc_lo
; %bb.3103:                             ;   in Loop: Header=BB4_2382 Depth=2
	s_or_b32 exec_lo, exec_lo, s40
.LBB4_3104:                             ;   in Loop: Header=BB4_2382 Depth=2
	s_delay_alu instid0(SALU_CYCLE_1)
	s_or_b32 exec_lo, exec_lo, s11
	v_mov_b32_e32 v2, 0
	s_mov_b32 s11, exec_lo
	v_cmpx_lt_u32_e32 0xffffff, v38
	s_cbranch_execz .LBB4_3114
; %bb.3105:                             ;   in Loop: Header=BB4_2382 Depth=2
	v_lshrrev_b32_e32 v30, 24, v38
	v_bfrev_b32_e32 v2, 1
	s_mov_b32 s40, exec_lo
	s_delay_alu instid0(VALU_DEP_2)
	v_cmpx_ne_u32_e32 0x80, v30
	s_cbranch_execz .LBB4_3113
; %bb.3106:                             ;   in Loop: Header=BB4_2382 Depth=2
	v_and_b32_e32 v2, 0x7c000000, v38
	v_bfe_u32 v20, v38, 24, 2
	s_delay_alu instid0(VALU_DEP_2) | instskip(SKIP_1) | instid1(SALU_CYCLE_1)
	v_cmp_ne_u32_e32 vcc_lo, 0x7c000000, v2
                                        ; implicit-def: $vgpr2
	s_and_saveexec_b32 s41, vcc_lo
	s_xor_b32 s41, exec_lo, s41
	s_cbranch_execz .LBB4_3110
; %bb.3107:                             ;   in Loop: Header=BB4_2382 Depth=2
	v_bfe_u32 v2, v38, 26, 5
	s_mov_b32 s42, exec_lo
	s_delay_alu instid0(VALU_DEP_1)
	v_cmpx_eq_u32_e32 0, v2
; %bb.3108:                             ;   in Loop: Header=BB4_2382 Depth=2
	v_clz_i32_u32_e32 v2, v20
	s_delay_alu instid0(VALU_DEP_1) | instskip(NEXT) | instid1(VALU_DEP_1)
	v_min_u32_e32 v2, 32, v2
	v_subrev_nc_u32_e32 v20, 29, v2
	s_delay_alu instid0(VALU_DEP_1) | instskip(NEXT) | instid1(VALU_DEP_1)
	v_lshlrev_b64_e32 v[20:21], v20, v[30:31]
	v_dual_sub_nc_u32 v2, 30, v2 :: v_dual_bitop2_b32 v20, 3, v20 bitop3:0x40
; %bb.3109:                             ;   in Loop: Header=BB4_2382 Depth=2
	s_or_b32 exec_lo, exec_lo, s42
	v_and_b32_e32 v21, 0x80000000, v38
	s_delay_alu instid0(VALU_DEP_1) | instskip(NEXT) | instid1(VALU_DEP_1)
	v_lshl_add_u32 v2, v2, 23, v21
	v_lshl_or_b32 v2, v20, 21, v2
                                        ; implicit-def: $vgpr20
	s_delay_alu instid0(VALU_DEP_1)
	v_add_nc_u32_e32 v2, 0x38000000, v2
.LBB4_3110:                             ;   in Loop: Header=BB4_2382 Depth=2
	s_and_not1_saveexec_b32 s41, s41
; %bb.3111:                             ;   in Loop: Header=BB4_2382 Depth=2
	v_cmp_lt_i32_e32 vcc_lo, -1, v38
	v_cndmask_b32_e32 v2, 0xff800000, v126, vcc_lo
	v_cmp_eq_u32_e32 vcc_lo, 0, v20
	s_delay_alu instid0(VALU_DEP_2)
	v_cndmask_b32_e32 v2, 0x7f800001, v2, vcc_lo
; %bb.3112:                             ;   in Loop: Header=BB4_2382 Depth=2
	s_or_b32 exec_lo, exec_lo, s41
.LBB4_3113:                             ;   in Loop: Header=BB4_2382 Depth=2
	s_delay_alu instid0(SALU_CYCLE_1)
	s_or_b32 exec_lo, exec_lo, s40
.LBB4_3114:                             ;   in Loop: Header=BB4_2382 Depth=2
	s_delay_alu instid0(SALU_CYCLE_1) | instskip(SKIP_3) | instid1(VALU_DEP_2)
	s_or_b32 exec_lo, exec_lo, s11
	v_bfe_u32 v21, v11, 24, 2
	v_bfe_u32 v31, v11, 26, 5
	s_mov_b32 s11, exec_lo
	v_clz_i32_u32_e32 v20, v21
	s_delay_alu instid0(VALU_DEP_2) | instskip(NEXT) | instid1(VALU_DEP_2)
	v_cmp_eq_u32_e32 vcc_lo, 0, v31
	v_min_u32_e32 v30, 32, v20
	v_lshrrev_b32_e32 v20, 24, v11
	s_delay_alu instid0(VALU_DEP_2) | instskip(NEXT) | instid1(VALU_DEP_1)
	v_subrev_nc_u32_e32 v24, 29, v30
	v_lshlrev_b64_e32 v[24:25], v24, v[20:21]
	v_sub_nc_u32_e32 v25, 30, v30
	v_and_b32_e32 v30, 0x80000000, v11
	s_delay_alu instid0(VALU_DEP_2) | instskip(NEXT) | instid1(VALU_DEP_1)
	v_dual_cndmask_b32 v25, v31, v25, vcc_lo :: v_dual_bitop2_b32 v24, 3, v24 bitop3:0x40
	v_lshl_add_u32 v25, v25, 23, v30
	s_delay_alu instid0(VALU_DEP_2) | instskip(SKIP_1) | instid1(VALU_DEP_2)
	v_cndmask_b32_e32 v24, v21, v24, vcc_lo
	v_cmp_lt_i64_e32 vcc_lo, -1, v[10:11]
	v_lshl_or_b32 v24, v24, 21, v25
	v_and_b32_e32 v25, 0x7c000000, v11
	v_cndmask_b32_e32 v30, 0xff800000, v126, vcc_lo
	v_cmp_eq_u32_e32 vcc_lo, 0, v21
	s_delay_alu instid0(VALU_DEP_4) | instskip(NEXT) | instid1(VALU_DEP_3)
	v_add_nc_u32_e32 v24, 0x38000000, v24
	v_cndmask_b32_e32 v21, 0x7f800001, v30, vcc_lo
	v_cmp_eq_u32_e32 vcc_lo, 0x7c000000, v25
                                        ; implicit-def: $vgpr30
	s_delay_alu instid0(VALU_DEP_2) | instskip(SKIP_1) | instid1(VALU_DEP_2)
	v_cndmask_b32_e32 v21, v24, v21, vcc_lo
	v_cmp_ne_u32_e32 vcc_lo, 0x80, v20
	v_cndmask_b32_e32 v20, 0x80000000, v21, vcc_lo
	v_cmp_lt_u64_e32 vcc_lo, s[12:13], v[10:11]
	s_delay_alu instid0(VALU_DEP_2) | instskip(NEXT) | instid1(VALU_DEP_1)
	v_dual_mov_b32 v21, v39 :: v_dual_cndmask_b32 v10, 0, v20
	v_add_f32_e32 v10, v10, v2
	s_delay_alu instid0(VALU_DEP_1) | instskip(SKIP_2) | instid1(VALU_DEP_3)
	v_and_b32_e32 v20, 0x7f800000, v10
	v_and_b32_e32 v38, 0x7fffff, v10
	v_lshrrev_b32_e32 v2, 24, v10
	v_cmpx_ne_u64_e32 0x7f800000, v[20:21]
	s_xor_b32 s40, exec_lo, s11
	s_cbranch_execz .LBB4_3128
; %bb.3115:                             ;   in Loop: Header=BB4_2382 Depth=2
	v_and_b32_e32 v20, 0x7fffffff, v10
	v_mov_b32_e32 v21, v39
	v_and_b32_e32 v2, 0x80, v2
                                        ; implicit-def: $vgpr30
	s_mov_b32 s11, exec_lo
	s_delay_alu instid0(VALU_DEP_2)
	v_cmpx_gt_u64_e32 0x47600001, v[20:21]
	s_xor_b32 s41, exec_lo, s11
	s_cbranch_execz .LBB4_3125
; %bb.3116:                             ;   in Loop: Header=BB4_2382 Depth=2
	v_mov_b32_e32 v30, 0
	s_mov_b32 s42, exec_lo
	v_cmpx_ne_u32_e32 0, v10
	s_cbranch_execz .LBB4_3124
; %bb.3117:                             ;   in Loop: Header=BB4_2382 Depth=2
	v_bfe_u32 v20, v10, 23, 8
	v_or_b32_e32 v24, 0x800000, v38
	s_delay_alu instid0(VALU_DEP_2) | instskip(SKIP_1) | instid1(VALU_DEP_2)
	v_dual_mov_b32 v25, v39 :: v_dual_sub_nc_u32 v10, 0x71, v20
	v_cmp_gt_u32_e32 vcc_lo, 0x72, v20
	v_cndmask_b32_e32 v10, 0, v10, vcc_lo
	v_cmp_eq_u32_e32 vcc_lo, 0, v20
	s_delay_alu instid0(VALU_DEP_2) | instskip(NEXT) | instid1(VALU_DEP_1)
	v_cndmask_b32_e64 v21, v10, 0x70, vcc_lo
	v_dual_cndmask_b32 v24, v24, v38, vcc_lo :: v_dual_add_nc_u32 v10, 21, v21
	v_add_nc_u32_e32 v30, 20, v21
	s_delay_alu instid0(VALU_DEP_2) | instskip(NEXT) | instid1(VALU_DEP_2)
	v_lshlrev_b64_e64 v[10:11], v10, -1
	v_lshlrev_b64_e64 v[30:31], v30, 1
	s_delay_alu instid0(VALU_DEP_2) | instskip(NEXT) | instid1(VALU_DEP_3)
	v_bfi_b32 v97, v11, 0, 0
	v_bfi_b32 v96, v10, 0, v24
	v_lshrrev_b64 v[10:11], v21, v[24:25]
	s_delay_alu instid0(VALU_DEP_2) | instskip(NEXT) | instid1(VALU_DEP_2)
	v_cmp_eq_u64_e64 s11, v[96:97], v[30:31]
	v_mov_b64_e32 v[96:97], v[10:11]
	s_and_saveexec_b32 s43, s11
; %bb.3118:                             ;   in Loop: Header=BB4_2382 Depth=2
	v_bfe_u32 v24, v10, 21, 1
	v_mov_b32_e32 v25, v39
	s_delay_alu instid0(VALU_DEP_1) | instskip(NEXT) | instid1(VALU_DEP_1)
	v_add_nc_u64_e32 v[24:25], v[10:11], v[24:25]
	v_add_nc_u64_e32 v[96:97], -1, v[24:25]
; %bb.3119:                             ;   in Loop: Header=BB4_2382 Depth=2
	s_or_b32 exec_lo, exec_lo, s43
	v_add_nc_u32_e32 v11, 0xffffff81, v20
	v_lshrrev_b32_e32 v20, 23, v10
	s_mov_b32 s11, exec_lo
	s_delay_alu instid0(VALU_DEP_2) | instskip(NEXT) | instid1(VALU_DEP_1)
	v_cndmask_b32_e64 v11, v11, 0xffffff82, vcc_lo
	v_add3_u32 v21, v21, v11, v20
	v_and_b32_e32 v11, 0x1fffff, v96
                                        ; implicit-def: $vgpr20
	s_delay_alu instid0(VALU_DEP_1) | instskip(NEXT) | instid1(VALU_DEP_1)
	v_dual_add_nc_u32 v30, 14, v21 :: v_dual_add_nc_u32 v38, v11, v10
                                        ; implicit-def: $vgpr10_vgpr11
	v_cmpx_ne_u32_e32 0, v30
	s_xor_b32 s11, exec_lo, s11
; %bb.3120:                             ;   in Loop: Header=BB4_2382 Depth=2
	s_delay_alu instid0(VALU_DEP_2) | instskip(SKIP_1) | instid1(VALU_DEP_1)
	v_cmp_lt_u64_e32 vcc_lo, 0xffffff, v[38:39]
	v_add_nc_u32_e32 v10, 15, v21
	v_cndmask_b32_e32 v20, v30, v10, vcc_lo
	v_cndmask_b32_e64 v10, 0, 1, vcc_lo
	s_delay_alu instid0(VALU_DEP_1)
	v_lshrrev_b64 v[10:11], v10, v[38:39]
; %bb.3121:                             ;   in Loop: Header=BB4_2382 Depth=2
	s_and_not1_saveexec_b32 s11, s11
; %bb.3122:                             ;   in Loop: Header=BB4_2382 Depth=2
	v_mov_b64_e32 v[10:11], v[38:39]
	v_bfe_u32 v20, v38, 23, 1
; %bb.3123:                             ;   in Loop: Header=BB4_2382 Depth=2
	s_or_b32 exec_lo, exec_lo, s11
	s_delay_alu instid0(VALU_DEP_2) | instskip(NEXT) | instid1(VALU_DEP_2)
	v_lshrrev_b64 v[10:11], 21, v[10:11]
	v_cmp_gt_i32_e32 vcc_lo, 32, v20
	v_min_i32_e32 v21, 31, v20
	v_cmp_eq_u32_e64 s11, 0, v20
	s_delay_alu instid0(VALU_DEP_2) | instskip(SKIP_1) | instid1(VALU_DEP_2)
	v_dual_cndmask_b32 v11, 0, v11, vcc_lo :: v_dual_lshlrev_b32 v21, 2, v21
	v_cndmask_b32_e32 v10, 3, v10, vcc_lo
	v_and_b32_e32 v21, 0xfc, v21
	s_delay_alu instid0(VALU_DEP_2) | instskip(NEXT) | instid1(VALU_DEP_2)
	v_cmp_eq_u64_e32 vcc_lo, 0, v[10:11]
	v_and_or_b32 v10, v10, 3, v21
	s_and_b32 s11, s11, vcc_lo
	s_delay_alu instid0(VALU_DEP_1) | instid1(SALU_CYCLE_1)
	v_cndmask_b32_e64 v10, v10, 0, s11
	s_delay_alu instid0(VALU_DEP_1)
	v_or_b32_e32 v30, v10, v2
.LBB4_3124:                             ;   in Loop: Header=BB4_2382 Depth=2
	s_or_b32 exec_lo, exec_lo, s42
                                        ; implicit-def: $vgpr2
.LBB4_3125:                             ;   in Loop: Header=BB4_2382 Depth=2
	s_and_not1_saveexec_b32 s11, s41
; %bb.3126:                             ;   in Loop: Header=BB4_2382 Depth=2
	v_or_b32_e32 v30, 0x7b, v2
; %bb.3127:                             ;   in Loop: Header=BB4_2382 Depth=2
	s_or_b32 exec_lo, exec_lo, s11
                                        ; implicit-def: $vgpr10
                                        ; implicit-def: $vgpr2
.LBB4_3128:                             ;   in Loop: Header=BB4_2382 Depth=2
	s_and_not1_saveexec_b32 s11, s40
	s_cbranch_execz .LBB4_3134
; %bb.3129:                             ;   in Loop: Header=BB4_2382 Depth=2
	s_mov_b32 s40, exec_lo
                                        ; implicit-def: $vgpr30
	v_cmpx_ne_u64_e32 0, v[38:39]
	s_xor_b32 s40, exec_lo, s40
; %bb.3130:                             ;   in Loop: Header=BB4_2382 Depth=2
	v_or_b32_e32 v30, 0x7f, v2
                                        ; implicit-def: $vgpr10
; %bb.3131:                             ;   in Loop: Header=BB4_2382 Depth=2
	s_and_not1_saveexec_b32 s40, s40
; %bb.3132:                             ;   in Loop: Header=BB4_2382 Depth=2
	v_cmp_lt_i32_e32 vcc_lo, -1, v10
	v_cndmask_b32_e32 v30, 0xfc, v122, vcc_lo
; %bb.3133:                             ;   in Loop: Header=BB4_2382 Depth=2
	s_or_b32 exec_lo, exec_lo, s40
.LBB4_3134:                             ;   in Loop: Header=BB4_2382 Depth=2
	s_delay_alu instid0(SALU_CYCLE_1) | instskip(SKIP_3) | instid1(VALU_DEP_1)
	s_or_b32 exec_lo, exec_lo, s11
	v_lshl_or_b32 v2, v117, 8, v113
	v_dual_lshlrev_b32 v10, 16, v40 :: v_dual_lshlrev_b32 v11, 24, v42
	s_mov_b32 s11, exec_lo
	v_or3_b32 v38, v10, v11, v2
	v_mov_b32_e32 v10, 0
	v_cmpx_ne_u32_e32 0, v113
	s_cbranch_execz .LBB4_3144
; %bb.3135:                             ;   in Loop: Header=BB4_2382 Depth=2
	v_bfrev_b32_e32 v10, 1
	s_mov_b32 s40, exec_lo
	v_cmpx_ne_u32_e32 0x80, v113
	s_cbranch_execz .LBB4_3143
; %bb.3136:                             ;   in Loop: Header=BB4_2382 Depth=2
	v_and_b32_e32 v10, 0x7c, v113
	v_and_b32_e32 v11, 3, v113
	s_delay_alu instid0(VALU_DEP_2) | instskip(SKIP_1) | instid1(SALU_CYCLE_1)
	v_cmp_ne_u32_e32 vcc_lo, 0x7c, v10
                                        ; implicit-def: $vgpr10
	s_and_saveexec_b32 s41, vcc_lo
	s_xor_b32 s41, exec_lo, s41
	s_cbranch_execz .LBB4_3140
; %bb.3137:                             ;   in Loop: Header=BB4_2382 Depth=2
	v_bfe_u32 v10, v113, 2, 5
	s_mov_b32 s42, exec_lo
	s_delay_alu instid0(VALU_DEP_1)
	v_cmpx_eq_u32_e32 0, v10
; %bb.3138:                             ;   in Loop: Header=BB4_2382 Depth=2
	v_clz_i32_u32_e32 v10, v11
	s_delay_alu instid0(VALU_DEP_1) | instskip(NEXT) | instid1(VALU_DEP_1)
	v_min_u32_e32 v10, 32, v10
	v_subrev_nc_u32_e32 v11, 29, v10
	s_delay_alu instid0(VALU_DEP_1) | instskip(NEXT) | instid1(VALU_DEP_1)
	v_lshlrev_b64_e32 v[20:21], v11, v[38:39]
	v_dual_sub_nc_u32 v10, 30, v10 :: v_dual_bitop2_b32 v11, 3, v20 bitop3:0x40
; %bb.3139:                             ;   in Loop: Header=BB4_2382 Depth=2
	s_or_b32 exec_lo, exec_lo, s42
	v_lshlrev_b32_e32 v20, 24, v113
                                        ; implicit-def: $vgpr113
	s_delay_alu instid0(VALU_DEP_1) | instskip(NEXT) | instid1(VALU_DEP_1)
	v_and_b32_e32 v20, 0x80000000, v20
	v_lshl_add_u32 v10, v10, 23, v20
	s_delay_alu instid0(VALU_DEP_1) | instskip(NEXT) | instid1(VALU_DEP_1)
	v_lshl_or_b32 v10, v11, 21, v10
                                        ; implicit-def: $vgpr11
	v_add_nc_u32_e32 v10, 0x38000000, v10
.LBB4_3140:                             ;   in Loop: Header=BB4_2382 Depth=2
	s_and_not1_saveexec_b32 s41, s41
; %bb.3141:                             ;   in Loop: Header=BB4_2382 Depth=2
	v_and_b32_e32 v10, 0x80, v113
	s_delay_alu instid0(VALU_DEP_1) | instskip(SKIP_2) | instid1(VALU_DEP_2)
	v_cmp_eq_u32_e32 vcc_lo, 0, v10
	v_cndmask_b32_e32 v10, 0xff800000, v126, vcc_lo
	v_cmp_eq_u32_e32 vcc_lo, 0, v11
	v_cndmask_b32_e32 v10, 0x7f800001, v10, vcc_lo
; %bb.3142:                             ;   in Loop: Header=BB4_2382 Depth=2
	s_or_b32 exec_lo, exec_lo, s41
.LBB4_3143:                             ;   in Loop: Header=BB4_2382 Depth=2
	s_delay_alu instid0(SALU_CYCLE_1)
	s_or_b32 exec_lo, exec_lo, s40
.LBB4_3144:                             ;   in Loop: Header=BB4_2382 Depth=2
	s_delay_alu instid0(SALU_CYCLE_1) | instskip(SKIP_3) | instid1(VALU_DEP_1)
	s_or_b32 exec_lo, exec_lo, s11
	v_and_b32_e32 v20, 0xff, v12
	s_mov_b32 s40, 0
	s_mov_b32 s11, exec_lo
	v_cmpx_lt_i16_e32 0x7f, v20
	s_xor_b32 s11, exec_lo, s11
	s_cbranch_execnz .LBB4_3421
; %bb.3145:                             ;   in Loop: Header=BB4_2382 Depth=2
	s_or_saveexec_b32 s11, s11
	v_bfrev_b32_e32 v11, 1
	s_xor_b32 exec_lo, exec_lo, s11
	s_cbranch_execnz .LBB4_3424
.LBB4_3146:                             ;   in Loop: Header=BB4_2382 Depth=2
	s_or_b32 exec_lo, exec_lo, s11
	s_and_saveexec_b32 s11, s40
	s_cbranch_execz .LBB4_3148
.LBB4_3147:                             ;   in Loop: Header=BB4_2382 Depth=2
	v_and_b32_e32 v11, 3, v12
	v_bfe_u32 v25, v12, 2, 5
	s_delay_alu instid0(VALU_DEP_2) | instskip(NEXT) | instid1(VALU_DEP_2)
	v_clz_i32_u32_e32 v20, v11
	v_cmp_eq_u32_e32 vcc_lo, 0, v25
	s_delay_alu instid0(VALU_DEP_2) | instskip(NEXT) | instid1(VALU_DEP_1)
	v_min_u32_e32 v24, 32, v20
	v_subrev_nc_u32_e32 v20, 29, v24
	v_sub_nc_u32_e32 v24, 30, v24
	s_delay_alu instid0(VALU_DEP_2) | instskip(SKIP_1) | instid1(VALU_DEP_3)
	v_lshlrev_b64_e32 v[20:21], v20, v[12:13]
	v_lshlrev_b32_e32 v21, 24, v12
	v_cndmask_b32_e32 v24, v25, v24, vcc_lo
	v_bfe_i32 v25, v12, 0, 8
	s_delay_alu instid0(VALU_DEP_3) | instskip(SKIP_1) | instid1(VALU_DEP_2)
	v_and_b32_e32 v21, 0x80000000, v21
	v_and_b32_e32 v20, 3, v20
	v_lshl_add_u32 v21, v24, 23, v21
	s_delay_alu instid0(VALU_DEP_2) | instskip(SKIP_1) | instid1(VALU_DEP_2)
	v_cndmask_b32_e32 v20, v11, v20, vcc_lo
	v_cmp_lt_i16_e32 vcc_lo, -1, v25
	v_lshl_or_b32 v20, v20, 21, v21
	v_cndmask_b32_e32 v24, 0xff800000, v126, vcc_lo
	v_and_b32_e32 v21, 0x7c, v12
	v_cmp_eq_u32_e32 vcc_lo, 0, v11
	s_delay_alu instid0(VALU_DEP_4) | instskip(NEXT) | instid1(VALU_DEP_4)
	v_add_nc_u32_e32 v20, 0x38000000, v20
	v_cndmask_b32_e32 v11, 0x7f800001, v24, vcc_lo
	s_delay_alu instid0(VALU_DEP_4) | instskip(NEXT) | instid1(VALU_DEP_2)
	v_cmp_eq_u32_e32 vcc_lo, 0x7c, v21
	v_cndmask_b32_e32 v11, v20, v11, vcc_lo
.LBB4_3148:                             ;   in Loop: Header=BB4_2382 Depth=2
	s_or_b32 exec_lo, exec_lo, s11
	s_delay_alu instid0(VALU_DEP_1) | instskip(SKIP_1) | instid1(VALU_DEP_2)
	v_dual_add_f32 v96, v10, v11 :: v_dual_mov_b32 v21, v39
	v_mov_b32_e32 v11, v39
                                        ; implicit-def: $vgpr113
	v_and_b32_e32 v20, 0x7f800000, v96
	v_and_b32_e32 v10, 0x7fffff, v96
	s_delay_alu instid0(VALU_DEP_2) | instskip(SKIP_2) | instid1(SALU_CYCLE_1)
	v_cmp_ne_u64_e32 vcc_lo, 0x7f800000, v[20:21]
	v_lshrrev_b32_e32 v20, 24, v96
	s_and_saveexec_b32 s11, vcc_lo
	s_xor_b32 s40, exec_lo, s11
	s_cbranch_execz .LBB4_3162
; %bb.3149:                             ;   in Loop: Header=BB4_2382 Depth=2
	v_and_b32_e32 v24, 0x7fffffff, v96
	v_mov_b32_e32 v25, v39
	v_and_b32_e32 v98, 0x80, v20
                                        ; implicit-def: $vgpr113
	s_mov_b32 s11, exec_lo
	s_delay_alu instid0(VALU_DEP_2)
	v_cmpx_gt_u64_e32 0x47600001, v[24:25]
	s_xor_b32 s41, exec_lo, s11
	s_cbranch_execz .LBB4_3159
; %bb.3150:                             ;   in Loop: Header=BB4_2382 Depth=2
	v_mov_b32_e32 v113, 0
	s_mov_b32 s42, exec_lo
	v_cmpx_ne_u32_e32 0, v96
	s_cbranch_execz .LBB4_3158
; %bb.3151:                             ;   in Loop: Header=BB4_2382 Depth=2
	v_bfe_u32 v20, v96, 23, 8
	v_or_b32_e32 v31, 0x800000, v10
	s_delay_alu instid0(VALU_DEP_2) | instskip(SKIP_1) | instid1(VALU_DEP_2)
	v_sub_nc_u32_e32 v21, 0x71, v20
	v_cmp_gt_u32_e32 vcc_lo, 0x72, v20
	v_cndmask_b32_e32 v21, 0, v21, vcc_lo
	v_cmp_eq_u32_e32 vcc_lo, 0, v20
	s_delay_alu instid0(VALU_DEP_2) | instskip(NEXT) | instid1(VALU_DEP_1)
	v_cndmask_b32_e64 v21, v21, 0x70, vcc_lo
	v_dual_cndmask_b32 v10, v31, v10, vcc_lo :: v_dual_add_nc_u32 v24, 21, v21
	v_add_nc_u32_e32 v96, 20, v21
	s_delay_alu instid0(VALU_DEP_2) | instskip(NEXT) | instid1(VALU_DEP_2)
	v_lshlrev_b64_e64 v[24:25], v24, -1
	v_lshlrev_b64_e64 v[96:97], v96, 1
	s_delay_alu instid0(VALU_DEP_2) | instskip(SKIP_1) | instid1(VALU_DEP_4)
	v_bfi_b32 v24, v24, 0, v10
	v_lshrrev_b64 v[10:11], v21, v[10:11]
	v_bfi_b32 v25, v25, 0, 0
	s_delay_alu instid0(VALU_DEP_1) | instskip(NEXT) | instid1(VALU_DEP_3)
	v_cmp_eq_u64_e64 s11, v[24:25], v[96:97]
	v_mov_b64_e32 v[96:97], v[10:11]
	s_and_saveexec_b32 s43, s11
; %bb.3152:                             ;   in Loop: Header=BB4_2382 Depth=2
	v_bfe_u32 v24, v10, 21, 1
	v_mov_b32_e32 v25, v39
	s_delay_alu instid0(VALU_DEP_1) | instskip(NEXT) | instid1(VALU_DEP_1)
	v_add_nc_u64_e32 v[24:25], v[10:11], v[24:25]
	v_add_nc_u64_e32 v[96:97], -1, v[24:25]
; %bb.3153:                             ;   in Loop: Header=BB4_2382 Depth=2
	s_or_b32 exec_lo, exec_lo, s43
	v_add_nc_u32_e32 v11, 0xffffff81, v20
	v_lshrrev_b32_e32 v20, 23, v10
	s_mov_b32 s11, exec_lo
	s_delay_alu instid0(VALU_DEP_2) | instskip(NEXT) | instid1(VALU_DEP_1)
	v_cndmask_b32_e64 v11, v11, 0xffffff82, vcc_lo
	v_add3_u32 v21, v21, v11, v20
	v_and_b32_e32 v11, 0x1fffff, v96
                                        ; implicit-def: $vgpr20
	s_delay_alu instid0(VALU_DEP_1) | instskip(SKIP_1) | instid1(VALU_DEP_2)
	v_dual_add_nc_u32 v96, 14, v21 :: v_dual_add_nc_u32 v10, v11, v10
	v_mov_b32_e32 v11, v39
	v_cmpx_ne_u32_e32 0, v96
	s_xor_b32 s11, exec_lo, s11
; %bb.3154:                             ;   in Loop: Header=BB4_2382 Depth=2
	s_delay_alu instid0(VALU_DEP_2) | instskip(SKIP_2) | instid1(VALU_DEP_2)
	v_cmp_lt_u64_e32 vcc_lo, 0xffffff, v[10:11]
	v_add_nc_u32_e32 v20, 15, v21
	v_cndmask_b32_e64 v21, 0, 1, vcc_lo
	v_cndmask_b32_e32 v20, v96, v20, vcc_lo
	s_delay_alu instid0(VALU_DEP_2)
	v_lshrrev_b64 v[10:11], v21, v[10:11]
; %bb.3155:                             ;   in Loop: Header=BB4_2382 Depth=2
	s_and_not1_saveexec_b32 s11, s11
; %bb.3156:                             ;   in Loop: Header=BB4_2382 Depth=2
	s_delay_alu instid0(VALU_DEP_1)
	v_bfe_u32 v20, v10, 23, 1
; %bb.3157:                             ;   in Loop: Header=BB4_2382 Depth=2
	s_or_b32 exec_lo, exec_lo, s11
	s_delay_alu instid0(VALU_DEP_2) | instskip(NEXT) | instid1(VALU_DEP_2)
	v_lshrrev_b64 v[10:11], 21, v[10:11]
	v_cmp_gt_i32_e32 vcc_lo, 32, v20
	v_min_i32_e32 v21, 31, v20
	v_cmp_eq_u32_e64 s11, 0, v20
	s_delay_alu instid0(VALU_DEP_2) | instskip(SKIP_1) | instid1(VALU_DEP_2)
	v_dual_cndmask_b32 v11, 0, v11, vcc_lo :: v_dual_lshlrev_b32 v21, 2, v21
	v_cndmask_b32_e32 v10, 3, v10, vcc_lo
	v_and_b32_e32 v21, 0xfc, v21
	s_delay_alu instid0(VALU_DEP_2) | instskip(NEXT) | instid1(VALU_DEP_2)
	v_cmp_eq_u64_e32 vcc_lo, 0, v[10:11]
	v_and_or_b32 v10, v10, 3, v21
	s_and_b32 s11, s11, vcc_lo
	s_delay_alu instid0(VALU_DEP_1) | instid1(SALU_CYCLE_1)
	v_cndmask_b32_e64 v10, v10, 0, s11
	s_delay_alu instid0(VALU_DEP_1)
	v_or_b32_e32 v113, v10, v98
.LBB4_3158:                             ;   in Loop: Header=BB4_2382 Depth=2
	s_or_b32 exec_lo, exec_lo, s42
                                        ; implicit-def: $vgpr98
.LBB4_3159:                             ;   in Loop: Header=BB4_2382 Depth=2
	s_and_not1_saveexec_b32 s11, s41
; %bb.3160:                             ;   in Loop: Header=BB4_2382 Depth=2
	v_or_b32_e32 v113, 0x7b, v98
; %bb.3161:                             ;   in Loop: Header=BB4_2382 Depth=2
	s_or_b32 exec_lo, exec_lo, s11
                                        ; implicit-def: $vgpr96
                                        ; implicit-def: $vgpr10_vgpr11
                                        ; implicit-def: $vgpr20
.LBB4_3162:                             ;   in Loop: Header=BB4_2382 Depth=2
	s_and_not1_saveexec_b32 s11, s40
	s_cbranch_execz .LBB4_3168
; %bb.3163:                             ;   in Loop: Header=BB4_2382 Depth=2
	s_mov_b32 s40, exec_lo
                                        ; implicit-def: $vgpr113
	v_cmpx_ne_u64_e32 0, v[10:11]
	s_xor_b32 s40, exec_lo, s40
; %bb.3164:                             ;   in Loop: Header=BB4_2382 Depth=2
	v_or_b32_e32 v113, 0x7f, v20
                                        ; implicit-def: $vgpr96
; %bb.3165:                             ;   in Loop: Header=BB4_2382 Depth=2
	s_and_not1_saveexec_b32 s40, s40
; %bb.3166:                             ;   in Loop: Header=BB4_2382 Depth=2
	v_cmp_lt_i32_e32 vcc_lo, -1, v96
	v_cndmask_b32_e32 v113, 0xfc, v122, vcc_lo
; %bb.3167:                             ;   in Loop: Header=BB4_2382 Depth=2
	s_or_b32 exec_lo, exec_lo, s40
.LBB4_3168:                             ;   in Loop: Header=BB4_2382 Depth=2
	s_delay_alu instid0(SALU_CYCLE_1) | instskip(SKIP_3) | instid1(VALU_DEP_2)
	s_or_b32 exec_lo, exec_lo, s11
	v_lshrrev_b16 v10, 8, v2
	v_mov_b32_e32 v96, 0
	s_mov_b32 s11, exec_lo
	v_cmpx_ne_u16_e32 0, v10
	s_cbranch_execz .LBB4_3178
; %bb.3169:                             ;   in Loop: Header=BB4_2382 Depth=2
	v_bfrev_b32_e32 v96, 1
	s_mov_b32 s40, exec_lo
	v_cmpx_ne_u16_e32 0x80, v10
	s_cbranch_execz .LBB4_3177
; %bb.3170:                             ;   in Loop: Header=BB4_2382 Depth=2
	v_and_b32_e32 v20, 0xffff, v10
	s_mov_b32 s41, exec_lo
                                        ; implicit-def: $vgpr96
	s_delay_alu instid0(VALU_DEP_1) | instskip(SKIP_1) | instid1(VALU_DEP_2)
	v_and_b32_e32 v21, 0x7c, v20
	v_and_b32_e32 v11, 3, v20
	v_cmpx_ne_u32_e32 0x7c, v21
	s_xor_b32 s41, exec_lo, s41
	s_cbranch_execz .LBB4_3174
; %bb.3171:                             ;   in Loop: Header=BB4_2382 Depth=2
	v_bfe_u32 v20, v20, 2, 5
	s_mov_b32 s42, exec_lo
	s_delay_alu instid0(VALU_DEP_1)
	v_cmpx_eq_u32_e32 0, v20
	s_cbranch_execz .LBB4_3173
; %bb.3172:                             ;   in Loop: Header=BB4_2382 Depth=2
	v_clz_i32_u32_e32 v11, v11
	s_delay_alu instid0(VALU_DEP_1) | instskip(SKIP_1) | instid1(VALU_DEP_2)
	v_min_u32_e32 v20, 32, v11
	v_mov_b32_e32 v11, v39
	v_subrev_nc_u32_e32 v21, 29, v20
	v_sub_nc_u32_e32 v20, 30, v20
	s_delay_alu instid0(VALU_DEP_2) | instskip(NEXT) | instid1(VALU_DEP_1)
	v_lshlrev_b64_e32 v[10:11], v21, v[10:11]
	v_and_b32_e32 v11, 3, v10
.LBB4_3173:                             ;   in Loop: Header=BB4_2382 Depth=2
	s_or_b32 exec_lo, exec_lo, s42
	v_lshlrev_b32_e32 v2, 16, v2
	s_delay_alu instid0(VALU_DEP_1) | instskip(NEXT) | instid1(VALU_DEP_1)
	v_and_b32_e32 v2, 0x80000000, v2
	v_lshl_add_u32 v2, v20, 23, v2
	s_delay_alu instid0(VALU_DEP_1) | instskip(NEXT) | instid1(VALU_DEP_1)
	v_lshl_or_b32 v2, v11, 21, v2
                                        ; implicit-def: $vgpr11
	v_add_nc_u32_e32 v96, 0x38000000, v2
                                        ; implicit-def: $vgpr2
.LBB4_3174:                             ;   in Loop: Header=BB4_2382 Depth=2
	s_and_not1_saveexec_b32 s41, s41
; %bb.3175:                             ;   in Loop: Header=BB4_2382 Depth=2
	v_cmp_lt_i16_e32 vcc_lo, -1, v2
	v_cndmask_b32_e32 v2, 0xff800000, v126, vcc_lo
	v_cmp_eq_u32_e32 vcc_lo, 0, v11
	s_delay_alu instid0(VALU_DEP_2)
	v_cndmask_b32_e32 v96, 0x7f800001, v2, vcc_lo
; %bb.3176:                             ;   in Loop: Header=BB4_2382 Depth=2
	s_or_b32 exec_lo, exec_lo, s41
.LBB4_3177:                             ;   in Loop: Header=BB4_2382 Depth=2
	s_delay_alu instid0(SALU_CYCLE_1)
	s_or_b32 exec_lo, exec_lo, s40
.LBB4_3178:                             ;   in Loop: Header=BB4_2382 Depth=2
	s_delay_alu instid0(SALU_CYCLE_1) | instskip(SKIP_3) | instid1(VALU_DEP_1)
	s_or_b32 exec_lo, exec_lo, s11
	v_lshrrev_b16 v10, 8, v12
	s_mov_b32 s40, 0
	s_mov_b32 s11, exec_lo
	v_cmpx_lt_i16_e32 0x7f, v10
	s_xor_b32 s11, exec_lo, s11
	s_cbranch_execnz .LBB4_3425
; %bb.3179:                             ;   in Loop: Header=BB4_2382 Depth=2
	s_or_saveexec_b32 s11, s11
	v_bfrev_b32_e32 v2, 1
	s_xor_b32 exec_lo, exec_lo, s11
	s_cbranch_execnz .LBB4_3428
.LBB4_3180:                             ;   in Loop: Header=BB4_2382 Depth=2
	s_or_b32 exec_lo, exec_lo, s11
	s_and_saveexec_b32 s11, s40
	s_cbranch_execz .LBB4_3182
.LBB4_3181:                             ;   in Loop: Header=BB4_2382 Depth=2
	v_and_b32_e32 v2, 0xffff, v10
	s_delay_alu instid0(VALU_DEP_1) | instskip(NEXT) | instid1(VALU_DEP_1)
	v_and_b32_e32 v24, 3, v2
	v_clz_i32_u32_e32 v11, v24
	s_delay_alu instid0(VALU_DEP_1) | instskip(SKIP_1) | instid1(VALU_DEP_2)
	v_min_u32_e32 v25, 32, v11
	v_mov_b32_e32 v11, v39
	v_subrev_nc_u32_e32 v20, 29, v25
	s_delay_alu instid0(VALU_DEP_1) | instskip(SKIP_3) | instid1(VALU_DEP_3)
	v_lshlrev_b64_e32 v[20:21], v20, v[10:11]
	v_bfe_u32 v11, v2, 2, 5
	v_dual_lshlrev_b32 v10, 24, v10 :: v_dual_sub_nc_u32 v21, 30, v25
	v_and_b32_e32 v2, 0x7c, v2
	v_cmp_eq_u32_e32 vcc_lo, 0, v11
	s_delay_alu instid0(VALU_DEP_3) | instskip(NEXT) | instid1(VALU_DEP_4)
	v_and_b32_e32 v10, 0x80000000, v10
	v_dual_cndmask_b32 v11, v11, v21, vcc_lo :: v_dual_bitop2_b32 v20, 3, v20 bitop3:0x40
	s_delay_alu instid0(VALU_DEP_1) | instskip(SKIP_1) | instid1(VALU_DEP_3)
	v_cndmask_b32_e32 v20, v24, v20, vcc_lo
	v_cmp_lt_i16_e32 vcc_lo, -1, v12
	v_lshl_add_u32 v10, v11, 23, v10
	v_cndmask_b32_e32 v11, 0xff800000, v126, vcc_lo
	v_cmp_eq_u32_e32 vcc_lo, 0, v24
	s_delay_alu instid0(VALU_DEP_3) | instskip(NEXT) | instid1(VALU_DEP_3)
	v_lshl_or_b32 v10, v20, 21, v10
	v_cndmask_b32_e32 v11, 0x7f800001, v11, vcc_lo
	s_delay_alu instid0(VALU_DEP_2) | instskip(SKIP_1) | instid1(VALU_DEP_2)
	v_add_nc_u32_e32 v10, 0x38000000, v10
	v_cmp_eq_u32_e32 vcc_lo, 0x7c, v2
	v_cndmask_b32_e32 v2, v10, v11, vcc_lo
.LBB4_3182:                             ;   in Loop: Header=BB4_2382 Depth=2
	s_or_b32 exec_lo, exec_lo, s11
	s_delay_alu instid0(VALU_DEP_1) | instskip(SKIP_2) | instid1(VALU_DEP_2)
	v_dual_add_f32 v96, v96, v2 :: v_dual_mov_b32 v21, v39
	v_mov_b32_e32 v11, v39
                                        ; implicit-def: $vgpr117
	s_mov_b32 s11, exec_lo
	v_and_b32_e32 v20, 0x7f800000, v96
	v_and_b32_e32 v10, 0x7fffff, v96
	v_lshrrev_b32_e32 v2, 24, v96
	s_delay_alu instid0(VALU_DEP_3)
	v_cmpx_ne_u64_e32 0x7f800000, v[20:21]
	s_xor_b32 s40, exec_lo, s11
	s_cbranch_execz .LBB4_3196
; %bb.3183:                             ;   in Loop: Header=BB4_2382 Depth=2
	v_and_b32_e32 v20, 0x7fffffff, v96
	v_mov_b32_e32 v21, v39
	v_and_b32_e32 v2, 0x80, v2
                                        ; implicit-def: $vgpr117
	s_mov_b32 s11, exec_lo
	s_delay_alu instid0(VALU_DEP_2)
	v_cmpx_gt_u64_e32 0x47600001, v[20:21]
	s_xor_b32 s41, exec_lo, s11
	s_cbranch_execz .LBB4_3193
; %bb.3184:                             ;   in Loop: Header=BB4_2382 Depth=2
	v_mov_b32_e32 v117, 0
	s_mov_b32 s42, exec_lo
	v_cmpx_ne_u32_e32 0, v96
	s_cbranch_execz .LBB4_3192
; %bb.3185:                             ;   in Loop: Header=BB4_2382 Depth=2
	v_bfe_u32 v20, v96, 23, 8
	v_or_b32_e32 v31, 0x800000, v10
	s_delay_alu instid0(VALU_DEP_2) | instskip(SKIP_1) | instid1(VALU_DEP_2)
	v_sub_nc_u32_e32 v21, 0x71, v20
	v_cmp_gt_u32_e32 vcc_lo, 0x72, v20
	v_cndmask_b32_e32 v21, 0, v21, vcc_lo
	v_cmp_eq_u32_e32 vcc_lo, 0, v20
	s_delay_alu instid0(VALU_DEP_2) | instskip(NEXT) | instid1(VALU_DEP_1)
	v_cndmask_b32_e64 v21, v21, 0x70, vcc_lo
	v_dual_cndmask_b32 v10, v31, v10, vcc_lo :: v_dual_add_nc_u32 v24, 21, v21
	v_add_nc_u32_e32 v96, 20, v21
	s_delay_alu instid0(VALU_DEP_2) | instskip(NEXT) | instid1(VALU_DEP_2)
	v_lshlrev_b64_e64 v[24:25], v24, -1
	v_lshlrev_b64_e64 v[96:97], v96, 1
	s_delay_alu instid0(VALU_DEP_2) | instskip(SKIP_1) | instid1(VALU_DEP_4)
	v_bfi_b32 v24, v24, 0, v10
	v_lshrrev_b64 v[10:11], v21, v[10:11]
	v_bfi_b32 v25, v25, 0, 0
	s_delay_alu instid0(VALU_DEP_1) | instskip(NEXT) | instid1(VALU_DEP_3)
	v_cmp_eq_u64_e64 s11, v[24:25], v[96:97]
	v_mov_b64_e32 v[96:97], v[10:11]
	s_and_saveexec_b32 s43, s11
; %bb.3186:                             ;   in Loop: Header=BB4_2382 Depth=2
	v_bfe_u32 v24, v10, 21, 1
	v_mov_b32_e32 v25, v39
	s_delay_alu instid0(VALU_DEP_1) | instskip(NEXT) | instid1(VALU_DEP_1)
	v_add_nc_u64_e32 v[24:25], v[10:11], v[24:25]
	v_add_nc_u64_e32 v[96:97], -1, v[24:25]
; %bb.3187:                             ;   in Loop: Header=BB4_2382 Depth=2
	s_or_b32 exec_lo, exec_lo, s43
	v_add_nc_u32_e32 v11, 0xffffff81, v20
	v_lshrrev_b32_e32 v20, 23, v10
	s_mov_b32 s11, exec_lo
	s_delay_alu instid0(VALU_DEP_2) | instskip(NEXT) | instid1(VALU_DEP_1)
	v_cndmask_b32_e64 v11, v11, 0xffffff82, vcc_lo
	v_add3_u32 v21, v21, v11, v20
	v_and_b32_e32 v11, 0x1fffff, v96
                                        ; implicit-def: $vgpr20
	s_delay_alu instid0(VALU_DEP_1) | instskip(SKIP_1) | instid1(VALU_DEP_2)
	v_dual_add_nc_u32 v96, 14, v21 :: v_dual_add_nc_u32 v10, v11, v10
	v_mov_b32_e32 v11, v39
	v_cmpx_ne_u32_e32 0, v96
	s_xor_b32 s11, exec_lo, s11
; %bb.3188:                             ;   in Loop: Header=BB4_2382 Depth=2
	s_delay_alu instid0(VALU_DEP_2) | instskip(SKIP_2) | instid1(VALU_DEP_2)
	v_cmp_lt_u64_e32 vcc_lo, 0xffffff, v[10:11]
	v_add_nc_u32_e32 v20, 15, v21
	v_cndmask_b32_e64 v21, 0, 1, vcc_lo
	v_cndmask_b32_e32 v20, v96, v20, vcc_lo
	s_delay_alu instid0(VALU_DEP_2)
	v_lshrrev_b64 v[10:11], v21, v[10:11]
; %bb.3189:                             ;   in Loop: Header=BB4_2382 Depth=2
	s_and_not1_saveexec_b32 s11, s11
; %bb.3190:                             ;   in Loop: Header=BB4_2382 Depth=2
	s_delay_alu instid0(VALU_DEP_1)
	v_bfe_u32 v20, v10, 23, 1
; %bb.3191:                             ;   in Loop: Header=BB4_2382 Depth=2
	s_or_b32 exec_lo, exec_lo, s11
	s_delay_alu instid0(VALU_DEP_2) | instskip(NEXT) | instid1(VALU_DEP_2)
	v_lshrrev_b64 v[10:11], 21, v[10:11]
	v_cmp_gt_i32_e32 vcc_lo, 32, v20
	v_min_i32_e32 v21, 31, v20
	v_cmp_eq_u32_e64 s11, 0, v20
	s_delay_alu instid0(VALU_DEP_2) | instskip(SKIP_1) | instid1(VALU_DEP_2)
	v_dual_cndmask_b32 v11, 0, v11, vcc_lo :: v_dual_lshlrev_b32 v21, 2, v21
	v_cndmask_b32_e32 v10, 3, v10, vcc_lo
	v_and_b32_e32 v21, 0xfc, v21
	s_delay_alu instid0(VALU_DEP_2) | instskip(NEXT) | instid1(VALU_DEP_2)
	v_cmp_eq_u64_e32 vcc_lo, 0, v[10:11]
	v_and_or_b32 v10, v10, 3, v21
	s_and_b32 s11, s11, vcc_lo
	s_delay_alu instid0(VALU_DEP_1) | instid1(SALU_CYCLE_1)
	v_cndmask_b32_e64 v10, v10, 0, s11
	s_delay_alu instid0(VALU_DEP_1)
	v_or_b32_e32 v117, v10, v2
.LBB4_3192:                             ;   in Loop: Header=BB4_2382 Depth=2
	s_or_b32 exec_lo, exec_lo, s42
                                        ; implicit-def: $vgpr2
.LBB4_3193:                             ;   in Loop: Header=BB4_2382 Depth=2
	s_and_not1_saveexec_b32 s11, s41
; %bb.3194:                             ;   in Loop: Header=BB4_2382 Depth=2
	v_or_b32_e32 v117, 0x7b, v2
; %bb.3195:                             ;   in Loop: Header=BB4_2382 Depth=2
	s_or_b32 exec_lo, exec_lo, s11
                                        ; implicit-def: $vgpr96
                                        ; implicit-def: $vgpr10_vgpr11
                                        ; implicit-def: $vgpr2
.LBB4_3196:                             ;   in Loop: Header=BB4_2382 Depth=2
	s_and_not1_saveexec_b32 s11, s40
	s_cbranch_execz .LBB4_3202
; %bb.3197:                             ;   in Loop: Header=BB4_2382 Depth=2
	s_mov_b32 s40, exec_lo
                                        ; implicit-def: $vgpr117
	v_cmpx_ne_u64_e32 0, v[10:11]
	s_xor_b32 s40, exec_lo, s40
; %bb.3198:                             ;   in Loop: Header=BB4_2382 Depth=2
	v_or_b32_e32 v117, 0x7f, v2
                                        ; implicit-def: $vgpr96
; %bb.3199:                             ;   in Loop: Header=BB4_2382 Depth=2
	s_and_not1_saveexec_b32 s40, s40
; %bb.3200:                             ;   in Loop: Header=BB4_2382 Depth=2
	v_cmp_lt_i32_e32 vcc_lo, -1, v96
	v_cndmask_b32_e32 v117, 0xfc, v122, vcc_lo
; %bb.3201:                             ;   in Loop: Header=BB4_2382 Depth=2
	s_or_b32 exec_lo, exec_lo, s40
.LBB4_3202:                             ;   in Loop: Header=BB4_2382 Depth=2
	s_delay_alu instid0(SALU_CYCLE_1) | instskip(SKIP_2) | instid1(VALU_DEP_1)
	s_or_b32 exec_lo, exec_lo, s11
	v_dual_lshrrev_b32 v10, 16, v38 :: v_dual_mov_b32 v2, 0
	s_mov_b32 s11, exec_lo
	v_and_b32_e32 v11, 0xff, v10
	s_delay_alu instid0(VALU_DEP_1)
	v_cmpx_ne_u16_e32 0, v11
	s_cbranch_execz .LBB4_3212
; %bb.3203:                             ;   in Loop: Header=BB4_2382 Depth=2
	v_bfrev_b32_e32 v2, 1
	s_mov_b32 s40, exec_lo
	v_cmpx_ne_u16_e32 0x80, v11
	s_cbranch_execz .LBB4_3211
; %bb.3204:                             ;   in Loop: Header=BB4_2382 Depth=2
	v_and_b32_e32 v2, 0x7c0000, v38
	v_bfe_u32 v11, v38, 16, 2
	s_delay_alu instid0(VALU_DEP_2) | instskip(SKIP_1) | instid1(SALU_CYCLE_1)
	v_cmp_ne_u32_e32 vcc_lo, 0x7c0000, v2
                                        ; implicit-def: $vgpr2
	s_and_saveexec_b32 s41, vcc_lo
	s_xor_b32 s41, exec_lo, s41
	s_cbranch_execz .LBB4_3208
; %bb.3205:                             ;   in Loop: Header=BB4_2382 Depth=2
	v_bfe_u32 v2, v38, 18, 5
	s_mov_b32 s42, exec_lo
	s_delay_alu instid0(VALU_DEP_1)
	v_cmpx_eq_u32_e32 0, v2
; %bb.3206:                             ;   in Loop: Header=BB4_2382 Depth=2
	v_clz_i32_u32_e32 v2, v11
	s_delay_alu instid0(VALU_DEP_1) | instskip(NEXT) | instid1(VALU_DEP_1)
	v_min_u32_e32 v2, 32, v2
	v_subrev_nc_u32_e32 v11, 29, v2
	s_delay_alu instid0(VALU_DEP_1) | instskip(NEXT) | instid1(VALU_DEP_1)
	v_lshlrev_b64_e32 v[20:21], v11, v[10:11]
	v_dual_sub_nc_u32 v2, 30, v2 :: v_dual_bitop2_b32 v11, 3, v20 bitop3:0x40
; %bb.3207:                             ;   in Loop: Header=BB4_2382 Depth=2
	s_or_b32 exec_lo, exec_lo, s42
	v_lshlrev_b32_e32 v10, 24, v10
	s_delay_alu instid0(VALU_DEP_1) | instskip(NEXT) | instid1(VALU_DEP_1)
	v_and_b32_e32 v10, 0x80000000, v10
	v_lshl_add_u32 v2, v2, 23, v10
                                        ; implicit-def: $vgpr10
	s_delay_alu instid0(VALU_DEP_1) | instskip(NEXT) | instid1(VALU_DEP_1)
	v_lshl_or_b32 v2, v11, 21, v2
                                        ; implicit-def: $vgpr11
	v_add_nc_u32_e32 v2, 0x38000000, v2
.LBB4_3208:                             ;   in Loop: Header=BB4_2382 Depth=2
	s_and_not1_saveexec_b32 s41, s41
; %bb.3209:                             ;   in Loop: Header=BB4_2382 Depth=2
	v_bfe_i32 v2, v10, 0, 8
	s_delay_alu instid0(VALU_DEP_1) | instskip(SKIP_2) | instid1(VALU_DEP_2)
	v_cmp_lt_i16_e32 vcc_lo, -1, v2
	v_cndmask_b32_e32 v2, 0xff800000, v126, vcc_lo
	v_cmp_eq_u32_e32 vcc_lo, 0, v11
	v_cndmask_b32_e32 v2, 0x7f800001, v2, vcc_lo
; %bb.3210:                             ;   in Loop: Header=BB4_2382 Depth=2
	s_or_b32 exec_lo, exec_lo, s41
.LBB4_3211:                             ;   in Loop: Header=BB4_2382 Depth=2
	s_delay_alu instid0(SALU_CYCLE_1)
	s_or_b32 exec_lo, exec_lo, s40
.LBB4_3212:                             ;   in Loop: Header=BB4_2382 Depth=2
	s_delay_alu instid0(SALU_CYCLE_1) | instskip(SKIP_3) | instid1(VALU_DEP_1)
	s_or_b32 exec_lo, exec_lo, s11
	v_lshrrev_b32_e32 v10, 16, v12
	s_mov_b32 s40, 0
	s_mov_b32 s11, exec_lo
	v_and_b32_e32 v20, 0xff, v10
	s_delay_alu instid0(VALU_DEP_1)
	v_cmpx_lt_i16_e32 0x7f, v20
	s_xor_b32 s11, exec_lo, s11
	s_cbranch_execnz .LBB4_3429
; %bb.3213:                             ;   in Loop: Header=BB4_2382 Depth=2
	s_or_saveexec_b32 s11, s11
	v_bfrev_b32_e32 v11, 1
	s_xor_b32 exec_lo, exec_lo, s11
	s_cbranch_execnz .LBB4_3432
.LBB4_3214:                             ;   in Loop: Header=BB4_2382 Depth=2
	s_or_b32 exec_lo, exec_lo, s11
	s_and_saveexec_b32 s11, s40
	s_cbranch_execz .LBB4_3216
.LBB4_3215:                             ;   in Loop: Header=BB4_2382 Depth=2
	v_and_b32_e32 v11, 3, v10
	v_bfe_u32 v25, v12, 18, 5
	s_delay_alu instid0(VALU_DEP_2) | instskip(NEXT) | instid1(VALU_DEP_2)
	v_clz_i32_u32_e32 v20, v11
	v_cmp_eq_u32_e32 vcc_lo, 0, v25
	s_delay_alu instid0(VALU_DEP_2) | instskip(NEXT) | instid1(VALU_DEP_1)
	v_min_u32_e32 v24, 32, v20
	v_subrev_nc_u32_e32 v20, 29, v24
	v_sub_nc_u32_e32 v24, 30, v24
	s_delay_alu instid0(VALU_DEP_2) | instskip(NEXT) | instid1(VALU_DEP_2)
	v_lshlrev_b64_e32 v[20:21], v20, v[10:11]
	v_dual_cndmask_b32 v24, v25, v24 :: v_dual_lshlrev_b32 v21, 24, v10
	v_bfe_i32 v10, v10, 0, 8
	s_delay_alu instid0(VALU_DEP_2) | instskip(NEXT) | instid1(VALU_DEP_4)
	v_and_b32_e32 v21, 0x80000000, v21
	v_and_b32_e32 v20, 3, v20
	s_delay_alu instid0(VALU_DEP_2) | instskip(NEXT) | instid1(VALU_DEP_2)
	v_lshl_add_u32 v21, v24, 23, v21
	v_cndmask_b32_e32 v20, v11, v20, vcc_lo
	v_cmp_lt_i16_e32 vcc_lo, -1, v10
	s_delay_alu instid0(VALU_DEP_2) | instskip(SKIP_3) | instid1(VALU_DEP_4)
	v_lshl_or_b32 v20, v20, 21, v21
	v_cndmask_b32_e32 v10, 0xff800000, v126, vcc_lo
	v_and_b32_e32 v21, 0x7c0000, v12
	v_cmp_eq_u32_e32 vcc_lo, 0, v11
	v_add_nc_u32_e32 v11, 0x38000000, v20
	s_delay_alu instid0(VALU_DEP_4) | instskip(NEXT) | instid1(VALU_DEP_4)
	v_cndmask_b32_e32 v10, 0x7f800001, v10, vcc_lo
	v_cmp_eq_u32_e32 vcc_lo, 0x7c0000, v21
	s_delay_alu instid0(VALU_DEP_2)
	v_cndmask_b32_e32 v11, v11, v10, vcc_lo
.LBB4_3216:                             ;   in Loop: Header=BB4_2382 Depth=2
	s_or_b32 exec_lo, exec_lo, s11
	s_delay_alu instid0(VALU_DEP_1) | instskip(SKIP_2) | instid1(VALU_DEP_2)
	v_dual_add_f32 v96, v2, v11 :: v_dual_mov_b32 v21, v39
	v_mov_b32_e32 v11, v39
                                        ; implicit-def: $vgpr40
	s_mov_b32 s11, exec_lo
	v_and_b32_e32 v20, 0x7f800000, v96
	v_and_b32_e32 v10, 0x7fffff, v96
	v_lshrrev_b32_e32 v2, 24, v96
	s_delay_alu instid0(VALU_DEP_3)
	v_cmpx_ne_u64_e32 0x7f800000, v[20:21]
	s_xor_b32 s40, exec_lo, s11
	s_cbranch_execz .LBB4_3230
; %bb.3217:                             ;   in Loop: Header=BB4_2382 Depth=2
	v_and_b32_e32 v20, 0x7fffffff, v96
	v_mov_b32_e32 v21, v39
	v_and_b32_e32 v2, 0x80, v2
                                        ; implicit-def: $vgpr40
	s_mov_b32 s11, exec_lo
	s_delay_alu instid0(VALU_DEP_2)
	v_cmpx_gt_u64_e32 0x47600001, v[20:21]
	s_xor_b32 s41, exec_lo, s11
	s_cbranch_execz .LBB4_3227
; %bb.3218:                             ;   in Loop: Header=BB4_2382 Depth=2
	v_mov_b32_e32 v40, 0
	s_mov_b32 s42, exec_lo
	v_cmpx_ne_u32_e32 0, v96
	s_cbranch_execz .LBB4_3226
; %bb.3219:                             ;   in Loop: Header=BB4_2382 Depth=2
	v_bfe_u32 v20, v96, 23, 8
	v_or_b32_e32 v31, 0x800000, v10
	s_delay_alu instid0(VALU_DEP_2) | instskip(SKIP_1) | instid1(VALU_DEP_2)
	v_sub_nc_u32_e32 v21, 0x71, v20
	v_cmp_gt_u32_e32 vcc_lo, 0x72, v20
	v_cndmask_b32_e32 v21, 0, v21, vcc_lo
	v_cmp_eq_u32_e32 vcc_lo, 0, v20
	s_delay_alu instid0(VALU_DEP_2) | instskip(NEXT) | instid1(VALU_DEP_1)
	v_cndmask_b32_e64 v21, v21, 0x70, vcc_lo
	v_dual_cndmask_b32 v10, v31, v10, vcc_lo :: v_dual_add_nc_u32 v24, 21, v21
	v_add_nc_u32_e32 v96, 20, v21
	s_delay_alu instid0(VALU_DEP_2) | instskip(NEXT) | instid1(VALU_DEP_2)
	v_lshlrev_b64_e64 v[24:25], v24, -1
	v_lshlrev_b64_e64 v[96:97], v96, 1
	s_delay_alu instid0(VALU_DEP_2) | instskip(SKIP_1) | instid1(VALU_DEP_4)
	v_bfi_b32 v24, v24, 0, v10
	v_lshrrev_b64 v[10:11], v21, v[10:11]
	v_bfi_b32 v25, v25, 0, 0
	s_delay_alu instid0(VALU_DEP_1) | instskip(NEXT) | instid1(VALU_DEP_3)
	v_cmp_eq_u64_e64 s11, v[24:25], v[96:97]
	v_mov_b64_e32 v[96:97], v[10:11]
	s_and_saveexec_b32 s43, s11
; %bb.3220:                             ;   in Loop: Header=BB4_2382 Depth=2
	v_bfe_u32 v24, v10, 21, 1
	v_mov_b32_e32 v25, v39
	s_delay_alu instid0(VALU_DEP_1) | instskip(NEXT) | instid1(VALU_DEP_1)
	v_add_nc_u64_e32 v[24:25], v[10:11], v[24:25]
	v_add_nc_u64_e32 v[96:97], -1, v[24:25]
; %bb.3221:                             ;   in Loop: Header=BB4_2382 Depth=2
	s_or_b32 exec_lo, exec_lo, s43
	v_add_nc_u32_e32 v11, 0xffffff81, v20
	v_lshrrev_b32_e32 v20, 23, v10
	s_mov_b32 s11, exec_lo
	s_delay_alu instid0(VALU_DEP_2) | instskip(NEXT) | instid1(VALU_DEP_1)
	v_cndmask_b32_e64 v11, v11, 0xffffff82, vcc_lo
	v_add3_u32 v21, v21, v11, v20
	v_and_b32_e32 v11, 0x1fffff, v96
                                        ; implicit-def: $vgpr20
	s_delay_alu instid0(VALU_DEP_1) | instskip(SKIP_1) | instid1(VALU_DEP_2)
	v_dual_add_nc_u32 v96, 14, v21 :: v_dual_add_nc_u32 v10, v11, v10
	v_mov_b32_e32 v11, v39
	v_cmpx_ne_u32_e32 0, v96
	s_xor_b32 s11, exec_lo, s11
; %bb.3222:                             ;   in Loop: Header=BB4_2382 Depth=2
	s_delay_alu instid0(VALU_DEP_2) | instskip(SKIP_2) | instid1(VALU_DEP_2)
	v_cmp_lt_u64_e32 vcc_lo, 0xffffff, v[10:11]
	v_add_nc_u32_e32 v20, 15, v21
	v_cndmask_b32_e64 v21, 0, 1, vcc_lo
	v_cndmask_b32_e32 v20, v96, v20, vcc_lo
	s_delay_alu instid0(VALU_DEP_2)
	v_lshrrev_b64 v[10:11], v21, v[10:11]
; %bb.3223:                             ;   in Loop: Header=BB4_2382 Depth=2
	s_and_not1_saveexec_b32 s11, s11
; %bb.3224:                             ;   in Loop: Header=BB4_2382 Depth=2
	s_delay_alu instid0(VALU_DEP_1)
	v_bfe_u32 v20, v10, 23, 1
; %bb.3225:                             ;   in Loop: Header=BB4_2382 Depth=2
	s_or_b32 exec_lo, exec_lo, s11
	s_delay_alu instid0(VALU_DEP_2) | instskip(NEXT) | instid1(VALU_DEP_2)
	v_lshrrev_b64 v[10:11], 21, v[10:11]
	v_cmp_gt_i32_e32 vcc_lo, 32, v20
	v_min_i32_e32 v21, 31, v20
	v_cmp_eq_u32_e64 s11, 0, v20
	s_delay_alu instid0(VALU_DEP_2) | instskip(SKIP_1) | instid1(VALU_DEP_2)
	v_dual_cndmask_b32 v11, 0, v11, vcc_lo :: v_dual_lshlrev_b32 v21, 2, v21
	v_cndmask_b32_e32 v10, 3, v10, vcc_lo
	v_and_b32_e32 v21, 0xfc, v21
	s_delay_alu instid0(VALU_DEP_2) | instskip(NEXT) | instid1(VALU_DEP_2)
	v_cmp_eq_u64_e32 vcc_lo, 0, v[10:11]
	v_and_or_b32 v10, v10, 3, v21
	s_and_b32 s11, s11, vcc_lo
	s_delay_alu instid0(VALU_DEP_1) | instid1(SALU_CYCLE_1)
	v_cndmask_b32_e64 v10, v10, 0, s11
	s_delay_alu instid0(VALU_DEP_1)
	v_or_b32_e32 v40, v10, v2
.LBB4_3226:                             ;   in Loop: Header=BB4_2382 Depth=2
	s_or_b32 exec_lo, exec_lo, s42
                                        ; implicit-def: $vgpr2
.LBB4_3227:                             ;   in Loop: Header=BB4_2382 Depth=2
	s_and_not1_saveexec_b32 s11, s41
; %bb.3228:                             ;   in Loop: Header=BB4_2382 Depth=2
	v_or_b32_e32 v40, 0x7b, v2
; %bb.3229:                             ;   in Loop: Header=BB4_2382 Depth=2
	s_or_b32 exec_lo, exec_lo, s11
                                        ; implicit-def: $vgpr96
                                        ; implicit-def: $vgpr10_vgpr11
                                        ; implicit-def: $vgpr2
.LBB4_3230:                             ;   in Loop: Header=BB4_2382 Depth=2
	s_and_not1_saveexec_b32 s11, s40
	s_cbranch_execz .LBB4_3236
; %bb.3231:                             ;   in Loop: Header=BB4_2382 Depth=2
	s_mov_b32 s40, exec_lo
                                        ; implicit-def: $vgpr40
	v_cmpx_ne_u64_e32 0, v[10:11]
	s_xor_b32 s40, exec_lo, s40
; %bb.3232:                             ;   in Loop: Header=BB4_2382 Depth=2
	v_or_b32_e32 v40, 0x7f, v2
                                        ; implicit-def: $vgpr96
; %bb.3233:                             ;   in Loop: Header=BB4_2382 Depth=2
	s_and_not1_saveexec_b32 s40, s40
; %bb.3234:                             ;   in Loop: Header=BB4_2382 Depth=2
	v_cmp_lt_i32_e32 vcc_lo, -1, v96
	v_cndmask_b32_e32 v40, 0xfc, v122, vcc_lo
; %bb.3235:                             ;   in Loop: Header=BB4_2382 Depth=2
	s_or_b32 exec_lo, exec_lo, s40
.LBB4_3236:                             ;   in Loop: Header=BB4_2382 Depth=2
	s_delay_alu instid0(SALU_CYCLE_1)
	s_or_b32 exec_lo, exec_lo, s11
	v_mov_b32_e32 v2, 0
	s_mov_b32 s11, exec_lo
	v_cmpx_lt_u32_e32 0xffffff, v38
	s_cbranch_execz .LBB4_3246
; %bb.3237:                             ;   in Loop: Header=BB4_2382 Depth=2
	v_lshrrev_b32_e32 v10, 24, v38
	v_bfrev_b32_e32 v2, 1
	s_mov_b32 s40, exec_lo
	s_delay_alu instid0(VALU_DEP_2)
	v_cmpx_ne_u32_e32 0x80, v10
	s_cbranch_execz .LBB4_3245
; %bb.3238:                             ;   in Loop: Header=BB4_2382 Depth=2
	v_and_b32_e32 v2, 0x7c000000, v38
	v_bfe_u32 v11, v38, 24, 2
	s_delay_alu instid0(VALU_DEP_2) | instskip(SKIP_1) | instid1(SALU_CYCLE_1)
	v_cmp_ne_u32_e32 vcc_lo, 0x7c000000, v2
                                        ; implicit-def: $vgpr2
	s_and_saveexec_b32 s41, vcc_lo
	s_xor_b32 s41, exec_lo, s41
	s_cbranch_execz .LBB4_3242
; %bb.3239:                             ;   in Loop: Header=BB4_2382 Depth=2
	v_bfe_u32 v2, v38, 26, 5
	s_mov_b32 s42, exec_lo
	s_delay_alu instid0(VALU_DEP_1)
	v_cmpx_eq_u32_e32 0, v2
; %bb.3240:                             ;   in Loop: Header=BB4_2382 Depth=2
	v_clz_i32_u32_e32 v2, v11
	s_delay_alu instid0(VALU_DEP_1) | instskip(NEXT) | instid1(VALU_DEP_1)
	v_min_u32_e32 v2, 32, v2
	v_subrev_nc_u32_e32 v11, 29, v2
	v_sub_nc_u32_e32 v2, 30, v2
	s_delay_alu instid0(VALU_DEP_2) | instskip(NEXT) | instid1(VALU_DEP_1)
	v_lshlrev_b64_e32 v[10:11], v11, v[10:11]
	v_and_b32_e32 v11, 3, v10
; %bb.3241:                             ;   in Loop: Header=BB4_2382 Depth=2
	s_or_b32 exec_lo, exec_lo, s42
	v_and_b32_e32 v10, 0x80000000, v38
	s_delay_alu instid0(VALU_DEP_1) | instskip(NEXT) | instid1(VALU_DEP_1)
	v_lshl_add_u32 v2, v2, 23, v10
	v_lshl_or_b32 v2, v11, 21, v2
                                        ; implicit-def: $vgpr11
	s_delay_alu instid0(VALU_DEP_1)
	v_add_nc_u32_e32 v2, 0x38000000, v2
.LBB4_3242:                             ;   in Loop: Header=BB4_2382 Depth=2
	s_and_not1_saveexec_b32 s41, s41
; %bb.3243:                             ;   in Loop: Header=BB4_2382 Depth=2
	v_cmp_lt_i32_e32 vcc_lo, -1, v38
	v_cndmask_b32_e32 v2, 0xff800000, v126, vcc_lo
	v_cmp_eq_u32_e32 vcc_lo, 0, v11
	s_delay_alu instid0(VALU_DEP_2)
	v_cndmask_b32_e32 v2, 0x7f800001, v2, vcc_lo
; %bb.3244:                             ;   in Loop: Header=BB4_2382 Depth=2
	s_or_b32 exec_lo, exec_lo, s41
.LBB4_3245:                             ;   in Loop: Header=BB4_2382 Depth=2
	s_delay_alu instid0(SALU_CYCLE_1)
	s_or_b32 exec_lo, exec_lo, s40
.LBB4_3246:                             ;   in Loop: Header=BB4_2382 Depth=2
	s_delay_alu instid0(SALU_CYCLE_1) | instskip(SKIP_3) | instid1(VALU_DEP_2)
	s_or_b32 exec_lo, exec_lo, s11
	v_bfe_u32 v11, v12, 24, 2
	v_bfe_u32 v25, v12, 26, 5
                                        ; implicit-def: $vgpr42
	s_mov_b32 s11, exec_lo
	v_clz_i32_u32_e32 v10, v11
	s_delay_alu instid0(VALU_DEP_2) | instskip(NEXT) | instid1(VALU_DEP_2)
	v_cmp_eq_u32_e32 vcc_lo, 0, v25
	v_min_u32_e32 v24, 32, v10
	v_lshrrev_b32_e32 v10, 24, v12
	s_delay_alu instid0(VALU_DEP_2) | instskip(NEXT) | instid1(VALU_DEP_1)
	v_subrev_nc_u32_e32 v20, 29, v24
	v_lshlrev_b64_e32 v[20:21], v20, v[10:11]
	v_sub_nc_u32_e32 v21, 30, v24
	v_and_b32_e32 v24, 0x80000000, v12
	s_delay_alu instid0(VALU_DEP_2) | instskip(NEXT) | instid1(VALU_DEP_1)
	v_dual_cndmask_b32 v21, v25, v21, vcc_lo :: v_dual_bitop2_b32 v20, 3, v20 bitop3:0x40
	v_lshl_add_u32 v21, v21, 23, v24
	s_delay_alu instid0(VALU_DEP_2) | instskip(SKIP_1) | instid1(VALU_DEP_2)
	v_cndmask_b32_e32 v20, v11, v20, vcc_lo
	v_cmp_lt_i32_e32 vcc_lo, -1, v12
	v_lshl_or_b32 v20, v20, 21, v21
	v_cndmask_b32_e32 v24, 0xff800000, v126, vcc_lo
	v_and_b32_e32 v21, 0x7c000000, v12
	v_cmp_eq_u32_e32 vcc_lo, 0, v11
	s_delay_alu instid0(VALU_DEP_4) | instskip(NEXT) | instid1(VALU_DEP_4)
	v_add_nc_u32_e32 v20, 0x38000000, v20
	v_cndmask_b32_e32 v11, 0x7f800001, v24, vcc_lo
	s_delay_alu instid0(VALU_DEP_4) | instskip(NEXT) | instid1(VALU_DEP_2)
	v_cmp_eq_u32_e32 vcc_lo, 0x7c000000, v21
	v_dual_mov_b32 v21, v39 :: v_dual_cndmask_b32 v11, v20, v11, vcc_lo
	v_cmp_ne_u32_e32 vcc_lo, 0x80, v10
	s_delay_alu instid0(VALU_DEP_2) | instskip(SKIP_1) | instid1(VALU_DEP_2)
	v_cndmask_b32_e32 v10, 0x80000000, v11, vcc_lo
	v_cmp_lt_u32_e32 vcc_lo, 0xffffff, v12
	v_cndmask_b32_e32 v10, 0, v10, vcc_lo
	s_delay_alu instid0(VALU_DEP_1) | instskip(NEXT) | instid1(VALU_DEP_1)
	v_add_f32_e32 v10, v10, v2
	v_and_b32_e32 v20, 0x7f800000, v10
	v_and_b32_e32 v38, 0x7fffff, v10
	v_lshrrev_b32_e32 v2, 24, v10
	s_delay_alu instid0(VALU_DEP_3)
	v_cmpx_ne_u64_e32 0x7f800000, v[20:21]
	s_xor_b32 s40, exec_lo, s11
	s_cbranch_execz .LBB4_3260
; %bb.3247:                             ;   in Loop: Header=BB4_2382 Depth=2
	v_and_b32_e32 v20, 0x7fffffff, v10
	v_mov_b32_e32 v21, v39
	v_and_b32_e32 v2, 0x80, v2
                                        ; implicit-def: $vgpr42
	s_mov_b32 s11, exec_lo
	s_delay_alu instid0(VALU_DEP_2)
	v_cmpx_gt_u64_e32 0x47600001, v[20:21]
	s_xor_b32 s41, exec_lo, s11
	s_cbranch_execz .LBB4_3257
; %bb.3248:                             ;   in Loop: Header=BB4_2382 Depth=2
	v_mov_b32_e32 v42, 0
	s_mov_b32 s42, exec_lo
	v_cmpx_ne_u32_e32 0, v10
	s_cbranch_execz .LBB4_3256
; %bb.3249:                             ;   in Loop: Header=BB4_2382 Depth=2
	v_bfe_u32 v20, v10, 23, 8
	v_or_b32_e32 v24, 0x800000, v38
	s_delay_alu instid0(VALU_DEP_2) | instskip(SKIP_1) | instid1(VALU_DEP_2)
	v_dual_mov_b32 v25, v39 :: v_dual_sub_nc_u32 v10, 0x71, v20
	v_cmp_gt_u32_e32 vcc_lo, 0x72, v20
	v_cndmask_b32_e32 v10, 0, v10, vcc_lo
	v_cmp_eq_u32_e32 vcc_lo, 0, v20
	s_delay_alu instid0(VALU_DEP_2) | instskip(NEXT) | instid1(VALU_DEP_1)
	v_cndmask_b32_e64 v21, v10, 0x70, vcc_lo
	v_dual_cndmask_b32 v24, v24, v38, vcc_lo :: v_dual_add_nc_u32 v10, 21, v21
	v_add_nc_u32_e32 v31, 20, v21
	s_delay_alu instid0(VALU_DEP_2) | instskip(NEXT) | instid1(VALU_DEP_2)
	v_lshlrev_b64_e64 v[10:11], v10, -1
	v_lshlrev_b64_e64 v[96:97], v31, 1
	s_delay_alu instid0(VALU_DEP_2) | instskip(NEXT) | instid1(VALU_DEP_3)
	v_bfi_b32 v99, v11, 0, 0
	v_bfi_b32 v98, v10, 0, v24
	v_lshrrev_b64 v[10:11], v21, v[24:25]
	s_delay_alu instid0(VALU_DEP_2) | instskip(NEXT) | instid1(VALU_DEP_2)
	v_cmp_eq_u64_e64 s11, v[98:99], v[96:97]
	v_mov_b64_e32 v[96:97], v[10:11]
	s_and_saveexec_b32 s43, s11
; %bb.3250:                             ;   in Loop: Header=BB4_2382 Depth=2
	v_bfe_u32 v24, v10, 21, 1
	v_mov_b32_e32 v25, v39
	s_delay_alu instid0(VALU_DEP_1) | instskip(NEXT) | instid1(VALU_DEP_1)
	v_add_nc_u64_e32 v[24:25], v[10:11], v[24:25]
	v_add_nc_u64_e32 v[96:97], -1, v[24:25]
; %bb.3251:                             ;   in Loop: Header=BB4_2382 Depth=2
	s_or_b32 exec_lo, exec_lo, s43
	v_add_nc_u32_e32 v11, 0xffffff81, v20
	v_lshrrev_b32_e32 v20, 23, v10
	s_mov_b32 s11, exec_lo
	s_delay_alu instid0(VALU_DEP_2) | instskip(NEXT) | instid1(VALU_DEP_1)
	v_cndmask_b32_e64 v11, v11, 0xffffff82, vcc_lo
	v_add3_u32 v21, v21, v11, v20
	v_and_b32_e32 v11, 0x1fffff, v96
                                        ; implicit-def: $vgpr20
	s_delay_alu instid0(VALU_DEP_1) | instskip(NEXT) | instid1(VALU_DEP_1)
	v_dual_add_nc_u32 v96, 14, v21 :: v_dual_add_nc_u32 v38, v11, v10
                                        ; implicit-def: $vgpr10_vgpr11
	v_cmpx_ne_u32_e32 0, v96
	s_xor_b32 s11, exec_lo, s11
; %bb.3252:                             ;   in Loop: Header=BB4_2382 Depth=2
	s_delay_alu instid0(VALU_DEP_2) | instskip(SKIP_1) | instid1(VALU_DEP_1)
	v_cmp_lt_u64_e32 vcc_lo, 0xffffff, v[38:39]
	v_add_nc_u32_e32 v10, 15, v21
	v_cndmask_b32_e32 v20, v96, v10, vcc_lo
	v_cndmask_b32_e64 v10, 0, 1, vcc_lo
	s_delay_alu instid0(VALU_DEP_1)
	v_lshrrev_b64 v[10:11], v10, v[38:39]
; %bb.3253:                             ;   in Loop: Header=BB4_2382 Depth=2
	s_and_not1_saveexec_b32 s11, s11
; %bb.3254:                             ;   in Loop: Header=BB4_2382 Depth=2
	v_mov_b64_e32 v[10:11], v[38:39]
	v_bfe_u32 v20, v38, 23, 1
; %bb.3255:                             ;   in Loop: Header=BB4_2382 Depth=2
	s_or_b32 exec_lo, exec_lo, s11
	s_delay_alu instid0(VALU_DEP_2) | instskip(NEXT) | instid1(VALU_DEP_2)
	v_lshrrev_b64 v[10:11], 21, v[10:11]
	v_cmp_gt_i32_e32 vcc_lo, 32, v20
	v_min_i32_e32 v21, 31, v20
	v_cmp_eq_u32_e64 s11, 0, v20
	s_delay_alu instid0(VALU_DEP_2) | instskip(SKIP_1) | instid1(VALU_DEP_2)
	v_dual_cndmask_b32 v11, 0, v11, vcc_lo :: v_dual_lshlrev_b32 v21, 2, v21
	v_cndmask_b32_e32 v10, 3, v10, vcc_lo
	v_and_b32_e32 v21, 0xfc, v21
	s_delay_alu instid0(VALU_DEP_2) | instskip(NEXT) | instid1(VALU_DEP_2)
	v_cmp_eq_u64_e32 vcc_lo, 0, v[10:11]
	v_and_or_b32 v10, v10, 3, v21
	s_and_b32 s11, s11, vcc_lo
	s_delay_alu instid0(VALU_DEP_1) | instid1(SALU_CYCLE_1)
	v_cndmask_b32_e64 v10, v10, 0, s11
	s_delay_alu instid0(VALU_DEP_1)
	v_or_b32_e32 v42, v10, v2
.LBB4_3256:                             ;   in Loop: Header=BB4_2382 Depth=2
	s_or_b32 exec_lo, exec_lo, s42
                                        ; implicit-def: $vgpr2
.LBB4_3257:                             ;   in Loop: Header=BB4_2382 Depth=2
	s_and_not1_saveexec_b32 s11, s41
; %bb.3258:                             ;   in Loop: Header=BB4_2382 Depth=2
	v_or_b32_e32 v42, 0x7b, v2
; %bb.3259:                             ;   in Loop: Header=BB4_2382 Depth=2
	s_or_b32 exec_lo, exec_lo, s11
                                        ; implicit-def: $vgpr10
                                        ; implicit-def: $vgpr2
.LBB4_3260:                             ;   in Loop: Header=BB4_2382 Depth=2
	s_and_not1_saveexec_b32 s11, s40
	s_cbranch_execz .LBB4_3266
; %bb.3261:                             ;   in Loop: Header=BB4_2382 Depth=2
	s_mov_b32 s40, exec_lo
                                        ; implicit-def: $vgpr42
	v_cmpx_ne_u64_e32 0, v[38:39]
	s_xor_b32 s40, exec_lo, s40
; %bb.3262:                             ;   in Loop: Header=BB4_2382 Depth=2
	v_or_b32_e32 v42, 0x7f, v2
                                        ; implicit-def: $vgpr10
; %bb.3263:                             ;   in Loop: Header=BB4_2382 Depth=2
	s_and_not1_saveexec_b32 s40, s40
; %bb.3264:                             ;   in Loop: Header=BB4_2382 Depth=2
	v_cmp_lt_i32_e32 vcc_lo, -1, v10
	v_cndmask_b32_e32 v42, 0xfc, v122, vcc_lo
; %bb.3265:                             ;   in Loop: Header=BB4_2382 Depth=2
	s_or_b32 exec_lo, exec_lo, s40
.LBB4_3266:                             ;   in Loop: Header=BB4_2382 Depth=2
	s_delay_alu instid0(SALU_CYCLE_1) | instskip(SKIP_4) | instid1(VALU_DEP_2)
	s_or_b32 exec_lo, exec_lo, s11
	v_dual_lshlrev_b32 v10, 24, v119 :: v_dual_lshlrev_b32 v11, 16, v116
	v_lshl_or_b32 v2, v114, 8, v103
	v_mov_b32_e32 v96, 0
	s_mov_b32 s11, exec_lo
	v_or3_b32 v38, v11, v10, v2
	v_cmpx_ne_u32_e32 0, v103
	s_cbranch_execz .LBB4_3276
; %bb.3267:                             ;   in Loop: Header=BB4_2382 Depth=2
	v_bfrev_b32_e32 v96, 1
	s_mov_b32 s40, exec_lo
	v_cmpx_ne_u32_e32 0x80, v103
	s_cbranch_execz .LBB4_3275
; %bb.3268:                             ;   in Loop: Header=BB4_2382 Depth=2
	v_and_b32_e32 v11, 0x7c, v103
	v_and_b32_e32 v10, 3, v103
	s_mov_b32 s41, exec_lo
                                        ; implicit-def: $vgpr96
	s_delay_alu instid0(VALU_DEP_2)
	v_cmpx_ne_u32_e32 0x7c, v11
	s_xor_b32 s41, exec_lo, s41
	s_cbranch_execz .LBB4_3272
; %bb.3269:                             ;   in Loop: Header=BB4_2382 Depth=2
	v_bfe_u32 v11, v103, 2, 5
	s_mov_b32 s42, exec_lo
	s_delay_alu instid0(VALU_DEP_1)
	v_cmpx_eq_u32_e32 0, v11
; %bb.3270:                             ;   in Loop: Header=BB4_2382 Depth=2
	v_clz_i32_u32_e32 v10, v10
	s_delay_alu instid0(VALU_DEP_1) | instskip(NEXT) | instid1(VALU_DEP_1)
	v_min_u32_e32 v20, 32, v10
	v_subrev_nc_u32_e32 v10, 29, v20
	s_delay_alu instid0(VALU_DEP_1) | instskip(NEXT) | instid1(VALU_DEP_1)
	v_lshlrev_b64_e32 v[10:11], v10, v[38:39]
	v_dual_sub_nc_u32 v11, 30, v20 :: v_dual_bitop2_b32 v10, 3, v10 bitop3:0x40
; %bb.3271:                             ;   in Loop: Header=BB4_2382 Depth=2
	s_or_b32 exec_lo, exec_lo, s42
	v_lshlrev_b32_e32 v20, 24, v103
                                        ; implicit-def: $vgpr103
	s_delay_alu instid0(VALU_DEP_1) | instskip(NEXT) | instid1(VALU_DEP_1)
	v_and_b32_e32 v20, 0x80000000, v20
	v_lshl_add_u32 v11, v11, 23, v20
	s_delay_alu instid0(VALU_DEP_1) | instskip(NEXT) | instid1(VALU_DEP_1)
	v_lshl_or_b32 v10, v10, 21, v11
	v_add_nc_u32_e32 v96, 0x38000000, v10
                                        ; implicit-def: $vgpr10
.LBB4_3272:                             ;   in Loop: Header=BB4_2382 Depth=2
	s_and_not1_saveexec_b32 s41, s41
; %bb.3273:                             ;   in Loop: Header=BB4_2382 Depth=2
	v_and_b32_e32 v11, 0x80, v103
	s_delay_alu instid0(VALU_DEP_1) | instskip(SKIP_2) | instid1(VALU_DEP_2)
	v_cmp_eq_u32_e32 vcc_lo, 0, v11
	v_cndmask_b32_e32 v11, 0xff800000, v126, vcc_lo
	v_cmp_eq_u32_e32 vcc_lo, 0, v10
	v_cndmask_b32_e32 v96, 0x7f800001, v11, vcc_lo
; %bb.3274:                             ;   in Loop: Header=BB4_2382 Depth=2
	s_or_b32 exec_lo, exec_lo, s41
.LBB4_3275:                             ;   in Loop: Header=BB4_2382 Depth=2
	s_delay_alu instid0(SALU_CYCLE_1)
	s_or_b32 exec_lo, exec_lo, s40
.LBB4_3276:                             ;   in Loop: Header=BB4_2382 Depth=2
	s_delay_alu instid0(SALU_CYCLE_1) | instskip(SKIP_4) | instid1(VALU_DEP_2)
	s_or_b32 exec_lo, exec_lo, s11
	v_and_b32_e32 v11, 0xff, v13
	v_mov_b32_e32 v10, v13
	s_mov_b32 s40, 0
	s_mov_b32 s11, exec_lo
	v_cmpx_lt_i16_e32 0x7f, v11
	s_xor_b32 s11, exec_lo, s11
	s_cbranch_execnz .LBB4_3433
; %bb.3277:                             ;   in Loop: Header=BB4_2382 Depth=2
	s_or_saveexec_b32 s11, s11
	v_bfrev_b32_e32 v20, 1
	s_xor_b32 exec_lo, exec_lo, s11
	s_cbranch_execnz .LBB4_3436
.LBB4_3278:                             ;   in Loop: Header=BB4_2382 Depth=2
	s_or_b32 exec_lo, exec_lo, s11
	v_mov_b32_e32 v11, v39
	s_and_saveexec_b32 s11, s40
	s_cbranch_execz .LBB4_3280
.LBB4_3279:                             ;   in Loop: Header=BB4_2382 Depth=2
	v_and_b32_e32 v24, 3, v13
	s_delay_alu instid0(VALU_DEP_1) | instskip(NEXT) | instid1(VALU_DEP_1)
	v_clz_i32_u32_e32 v20, v24
	v_min_u32_e32 v25, 32, v20
	s_delay_alu instid0(VALU_DEP_1) | instskip(NEXT) | instid1(VALU_DEP_1)
	v_subrev_nc_u32_e32 v20, 29, v25
	v_lshlrev_b64_e32 v[20:21], v20, v[10:11]
	v_bfe_u32 v21, v13, 2, 5
	v_lshlrev_b32_e32 v11, 24, v13
	v_sub_nc_u32_e32 v25, 30, v25
	s_delay_alu instid0(VALU_DEP_3) | instskip(NEXT) | instid1(VALU_DEP_3)
	v_cmp_eq_u32_e32 vcc_lo, 0, v21
	v_and_b32_e32 v11, 0x80000000, v11
	s_delay_alu instid0(VALU_DEP_3) | instskip(SKIP_1) | instid1(VALU_DEP_2)
	v_dual_cndmask_b32 v21, v21, v25, vcc_lo :: v_dual_bitop2_b32 v20, 3, v20 bitop3:0x40
	v_bfe_i32 v25, v13, 0, 8
	v_cndmask_b32_e32 v20, v24, v20, vcc_lo
	s_delay_alu instid0(VALU_DEP_3) | instskip(NEXT) | instid1(VALU_DEP_3)
	v_lshl_add_u32 v11, v21, 23, v11
	v_cmp_lt_i16_e32 vcc_lo, -1, v25
	s_delay_alu instid0(VALU_DEP_2) | instskip(SKIP_3) | instid1(VALU_DEP_4)
	v_lshl_or_b32 v11, v20, 21, v11
	v_cndmask_b32_e32 v21, 0xff800000, v126, vcc_lo
	v_and_b32_e32 v20, 0x7c, v13
	v_cmp_eq_u32_e32 vcc_lo, 0, v24
	v_add_nc_u32_e32 v11, 0x38000000, v11
	s_delay_alu instid0(VALU_DEP_4) | instskip(NEXT) | instid1(VALU_DEP_4)
	v_cndmask_b32_e32 v21, 0x7f800001, v21, vcc_lo
	v_cmp_eq_u32_e32 vcc_lo, 0x7c, v20
	s_delay_alu instid0(VALU_DEP_2)
	v_cndmask_b32_e32 v20, v11, v21, vcc_lo
.LBB4_3280:                             ;   in Loop: Header=BB4_2382 Depth=2
	s_or_b32 exec_lo, exec_lo, s11
	s_delay_alu instid0(VALU_DEP_1) | instskip(SKIP_2) | instid1(VALU_DEP_2)
	v_dual_add_f32 v99, v96, v20 :: v_dual_mov_b32 v21, v39
	v_mov_b32_e32 v97, v39
                                        ; implicit-def: $vgpr98
	s_mov_b32 s11, exec_lo
	v_and_b32_e32 v20, 0x7f800000, v99
	v_and_b32_e32 v96, 0x7fffff, v99
	v_lshrrev_b32_e32 v11, 24, v99
	s_delay_alu instid0(VALU_DEP_3)
	v_cmpx_ne_u64_e32 0x7f800000, v[20:21]
	s_xor_b32 s40, exec_lo, s11
	s_cbranch_execz .LBB4_3294
; %bb.3281:                             ;   in Loop: Header=BB4_2382 Depth=2
	v_and_b32_e32 v20, 0x7fffffff, v99
	v_mov_b32_e32 v21, v39
	v_and_b32_e32 v11, 0x80, v11
                                        ; implicit-def: $vgpr98
	s_mov_b32 s11, exec_lo
	s_delay_alu instid0(VALU_DEP_2)
	v_cmpx_gt_u64_e32 0x47600001, v[20:21]
	s_xor_b32 s41, exec_lo, s11
	s_cbranch_execz .LBB4_3291
; %bb.3282:                             ;   in Loop: Header=BB4_2382 Depth=2
	v_mov_b32_e32 v98, 0
	s_mov_b32 s42, exec_lo
	v_cmpx_ne_u32_e32 0, v99
	s_cbranch_execz .LBB4_3290
; %bb.3283:                             ;   in Loop: Header=BB4_2382 Depth=2
	v_bfe_u32 v20, v99, 23, 8
	v_or_b32_e32 v31, 0x800000, v96
	s_delay_alu instid0(VALU_DEP_2) | instskip(SKIP_1) | instid1(VALU_DEP_2)
	v_sub_nc_u32_e32 v21, 0x71, v20
	v_cmp_gt_u32_e32 vcc_lo, 0x72, v20
	v_cndmask_b32_e32 v21, 0, v21, vcc_lo
	v_cmp_eq_u32_e32 vcc_lo, 0, v20
	v_cndmask_b32_e32 v96, v31, v96, vcc_lo
	s_delay_alu instid0(VALU_DEP_3) | instskip(NEXT) | instid1(VALU_DEP_1)
	v_cndmask_b32_e64 v21, v21, 0x70, vcc_lo
	v_dual_add_nc_u32 v24, 21, v21 :: v_dual_add_nc_u32 v98, 20, v21
	s_delay_alu instid0(VALU_DEP_1) | instskip(NEXT) | instid1(VALU_DEP_2)
	v_lshlrev_b64_e64 v[24:25], v24, -1
	v_lshlrev_b64_e64 v[98:99], v98, 1
	s_delay_alu instid0(VALU_DEP_2) | instskip(SKIP_1) | instid1(VALU_DEP_4)
	v_bfi_b32 v24, v24, 0, v96
	v_lshrrev_b64 v[96:97], v21, v[96:97]
	v_bfi_b32 v25, v25, 0, 0
	s_delay_alu instid0(VALU_DEP_1) | instskip(NEXT) | instid1(VALU_DEP_3)
	v_cmp_eq_u64_e64 s11, v[24:25], v[98:99]
	v_mov_b64_e32 v[98:99], v[96:97]
	s_and_saveexec_b32 s43, s11
; %bb.3284:                             ;   in Loop: Header=BB4_2382 Depth=2
	v_bfe_u32 v24, v96, 21, 1
	v_mov_b32_e32 v25, v39
	s_delay_alu instid0(VALU_DEP_1) | instskip(NEXT) | instid1(VALU_DEP_1)
	v_add_nc_u64_e32 v[24:25], v[96:97], v[24:25]
	v_add_nc_u64_e32 v[98:99], -1, v[24:25]
; %bb.3285:                             ;   in Loop: Header=BB4_2382 Depth=2
	s_or_b32 exec_lo, exec_lo, s43
	v_dual_mov_b32 v97, v39 :: v_dual_add_nc_u32 v20, 0xffffff81, v20
	v_lshrrev_b32_e32 v24, 23, v96
	s_mov_b32 s11, exec_lo
	s_delay_alu instid0(VALU_DEP_2) | instskip(NEXT) | instid1(VALU_DEP_1)
	v_cndmask_b32_e64 v20, v20, 0xffffff82, vcc_lo
	v_add3_u32 v21, v21, v20, v24
	v_and_b32_e32 v20, 0x1fffff, v98
	s_delay_alu instid0(VALU_DEP_1) | instskip(NEXT) | instid1(VALU_DEP_1)
	v_dual_add_nc_u32 v98, 14, v21 :: v_dual_add_nc_u32 v96, v20, v96
                                        ; implicit-def: $vgpr20
	v_cmpx_ne_u32_e32 0, v98
	s_xor_b32 s11, exec_lo, s11
; %bb.3286:                             ;   in Loop: Header=BB4_2382 Depth=2
	s_delay_alu instid0(VALU_DEP_2) | instskip(SKIP_2) | instid1(VALU_DEP_2)
	v_cmp_lt_u64_e32 vcc_lo, 0xffffff, v[96:97]
	v_add_nc_u32_e32 v20, 15, v21
	v_cndmask_b32_e64 v21, 0, 1, vcc_lo
	v_cndmask_b32_e32 v20, v98, v20, vcc_lo
	s_delay_alu instid0(VALU_DEP_2)
	v_lshrrev_b64 v[96:97], v21, v[96:97]
; %bb.3287:                             ;   in Loop: Header=BB4_2382 Depth=2
	s_and_not1_saveexec_b32 s11, s11
; %bb.3288:                             ;   in Loop: Header=BB4_2382 Depth=2
	s_delay_alu instid0(VALU_DEP_1)
	v_bfe_u32 v20, v96, 23, 1
; %bb.3289:                             ;   in Loop: Header=BB4_2382 Depth=2
	s_or_b32 exec_lo, exec_lo, s11
	s_delay_alu instid0(VALU_DEP_2) | instskip(NEXT) | instid1(VALU_DEP_2)
	v_lshrrev_b64 v[24:25], 21, v[96:97]
	v_cmp_gt_i32_e32 vcc_lo, 32, v20
	v_min_i32_e32 v21, 31, v20
	v_cmp_eq_u32_e64 s11, 0, v20
	s_delay_alu instid0(VALU_DEP_4) | instskip(NEXT) | instid1(VALU_DEP_3)
	v_cndmask_b32_e32 v25, 0, v25, vcc_lo
	v_dual_cndmask_b32 v24, 3, v24 :: v_dual_lshlrev_b32 v21, 2, v21
	s_delay_alu instid0(VALU_DEP_1) | instskip(NEXT) | instid1(VALU_DEP_2)
	v_and_b32_e32 v21, 0xfc, v21
	v_cmp_eq_u64_e32 vcc_lo, 0, v[24:25]
	s_delay_alu instid0(VALU_DEP_2)
	v_and_or_b32 v20, v24, 3, v21
	s_and_b32 s11, s11, vcc_lo
	s_delay_alu instid0(VALU_DEP_1) | instid1(SALU_CYCLE_1)
	v_cndmask_b32_e64 v20, v20, 0, s11
	s_delay_alu instid0(VALU_DEP_1)
	v_or_b32_e32 v98, v20, v11
.LBB4_3290:                             ;   in Loop: Header=BB4_2382 Depth=2
	s_or_b32 exec_lo, exec_lo, s42
                                        ; implicit-def: $vgpr11
.LBB4_3291:                             ;   in Loop: Header=BB4_2382 Depth=2
	s_and_not1_saveexec_b32 s11, s41
; %bb.3292:                             ;   in Loop: Header=BB4_2382 Depth=2
	v_or_b32_e32 v98, 0x7b, v11
; %bb.3293:                             ;   in Loop: Header=BB4_2382 Depth=2
	s_or_b32 exec_lo, exec_lo, s11
                                        ; implicit-def: $vgpr99
                                        ; implicit-def: $vgpr96_vgpr97
                                        ; implicit-def: $vgpr11
.LBB4_3294:                             ;   in Loop: Header=BB4_2382 Depth=2
	s_and_not1_saveexec_b32 s11, s40
	s_cbranch_execz .LBB4_3300
; %bb.3295:                             ;   in Loop: Header=BB4_2382 Depth=2
	s_mov_b32 s40, exec_lo
                                        ; implicit-def: $vgpr98
	v_cmpx_ne_u64_e32 0, v[96:97]
	s_xor_b32 s40, exec_lo, s40
; %bb.3296:                             ;   in Loop: Header=BB4_2382 Depth=2
	v_or_b32_e32 v98, 0x7f, v11
                                        ; implicit-def: $vgpr99
; %bb.3297:                             ;   in Loop: Header=BB4_2382 Depth=2
	s_and_not1_saveexec_b32 s40, s40
; %bb.3298:                             ;   in Loop: Header=BB4_2382 Depth=2
	v_cmp_lt_i32_e32 vcc_lo, -1, v99
	v_cndmask_b32_e32 v98, 0xfc, v122, vcc_lo
; %bb.3299:                             ;   in Loop: Header=BB4_2382 Depth=2
	s_or_b32 exec_lo, exec_lo, s40
.LBB4_3300:                             ;   in Loop: Header=BB4_2382 Depth=2
	s_delay_alu instid0(SALU_CYCLE_1) | instskip(SKIP_3) | instid1(VALU_DEP_2)
	s_or_b32 exec_lo, exec_lo, s11
	v_lshrrev_b16 v96, 8, v2
	v_mov_b32_e32 v11, 0
	s_mov_b32 s11, exec_lo
	v_cmpx_ne_u16_e32 0, v96
	s_cbranch_execz .LBB4_3310
; %bb.3301:                             ;   in Loop: Header=BB4_2382 Depth=2
	v_bfrev_b32_e32 v11, 1
	s_mov_b32 s40, exec_lo
	v_cmpx_ne_u16_e32 0x80, v96
	s_cbranch_execz .LBB4_3309
; %bb.3302:                             ;   in Loop: Header=BB4_2382 Depth=2
	v_and_b32_e32 v21, 0xffff, v96
	s_delay_alu instid0(VALU_DEP_1) | instskip(SKIP_1) | instid1(VALU_DEP_2)
	v_and_b32_e32 v11, 0x7c, v21
	v_and_b32_e32 v20, 3, v21
	v_cmp_ne_u32_e32 vcc_lo, 0x7c, v11
                                        ; implicit-def: $vgpr11
	s_and_saveexec_b32 s41, vcc_lo
	s_delay_alu instid0(SALU_CYCLE_1)
	s_xor_b32 s41, exec_lo, s41
	s_cbranch_execz .LBB4_3306
; %bb.3303:                             ;   in Loop: Header=BB4_2382 Depth=2
	v_bfe_u32 v11, v21, 2, 5
	s_mov_b32 s42, exec_lo
	s_delay_alu instid0(VALU_DEP_1)
	v_cmpx_eq_u32_e32 0, v11
	s_cbranch_execz .LBB4_3305
; %bb.3304:                             ;   in Loop: Header=BB4_2382 Depth=2
	v_clz_i32_u32_e32 v11, v20
	s_delay_alu instid0(VALU_DEP_1) | instskip(SKIP_1) | instid1(VALU_DEP_2)
	v_min_u32_e32 v11, 32, v11
	v_mov_b32_e32 v97, v39
	v_subrev_nc_u32_e32 v20, 29, v11
	v_sub_nc_u32_e32 v11, 30, v11
	s_delay_alu instid0(VALU_DEP_2) | instskip(NEXT) | instid1(VALU_DEP_1)
	v_lshlrev_b64_e32 v[20:21], v20, v[96:97]
	v_and_b32_e32 v20, 3, v20
.LBB4_3305:                             ;   in Loop: Header=BB4_2382 Depth=2
	s_or_b32 exec_lo, exec_lo, s42
	v_lshlrev_b32_e32 v2, 16, v2
	s_delay_alu instid0(VALU_DEP_1) | instskip(NEXT) | instid1(VALU_DEP_1)
	v_and_b32_e32 v2, 0x80000000, v2
	v_lshl_add_u32 v2, v11, 23, v2
	s_delay_alu instid0(VALU_DEP_1) | instskip(NEXT) | instid1(VALU_DEP_1)
	v_lshl_or_b32 v2, v20, 21, v2
                                        ; implicit-def: $vgpr20
	v_add_nc_u32_e32 v11, 0x38000000, v2
                                        ; implicit-def: $vgpr2
.LBB4_3306:                             ;   in Loop: Header=BB4_2382 Depth=2
	s_and_not1_saveexec_b32 s41, s41
; %bb.3307:                             ;   in Loop: Header=BB4_2382 Depth=2
	v_cmp_lt_i16_e32 vcc_lo, -1, v2
	v_cndmask_b32_e32 v2, 0xff800000, v126, vcc_lo
	v_cmp_eq_u32_e32 vcc_lo, 0, v20
	s_delay_alu instid0(VALU_DEP_2)
	v_cndmask_b32_e32 v11, 0x7f800001, v2, vcc_lo
; %bb.3308:                             ;   in Loop: Header=BB4_2382 Depth=2
	s_or_b32 exec_lo, exec_lo, s41
.LBB4_3309:                             ;   in Loop: Header=BB4_2382 Depth=2
	s_delay_alu instid0(SALU_CYCLE_1)
	s_or_b32 exec_lo, exec_lo, s40
.LBB4_3310:                             ;   in Loop: Header=BB4_2382 Depth=2
	s_delay_alu instid0(SALU_CYCLE_1) | instskip(SKIP_3) | instid1(VALU_DEP_1)
	s_or_b32 exec_lo, exec_lo, s11
	v_lshrrev_b16 v96, 8, v10
	s_mov_b32 s40, 0
	s_mov_b32 s11, exec_lo
	v_cmpx_lt_i16_e32 0x7f, v96
	s_xor_b32 s11, exec_lo, s11
	s_cbranch_execnz .LBB4_3437
; %bb.3311:                             ;   in Loop: Header=BB4_2382 Depth=2
	s_or_saveexec_b32 s11, s11
	v_bfrev_b32_e32 v2, 1
	s_xor_b32 exec_lo, exec_lo, s11
	s_cbranch_execnz .LBB4_3440
.LBB4_3312:                             ;   in Loop: Header=BB4_2382 Depth=2
	s_or_b32 exec_lo, exec_lo, s11
	s_and_saveexec_b32 s11, s40
	s_cbranch_execz .LBB4_3314
.LBB4_3313:                             ;   in Loop: Header=BB4_2382 Depth=2
	v_and_b32_e32 v2, 0xffff, v96
	s_delay_alu instid0(VALU_DEP_1) | instskip(SKIP_2) | instid1(VALU_DEP_3)
	v_dual_mov_b32 v97, v39 :: v_dual_bitop2_b32 v24, 3, v2 bitop3:0x40
	v_bfe_u32 v31, v2, 2, 5
	v_and_b32_e32 v2, 0x7c, v2
	v_clz_i32_u32_e32 v20, v24
	s_delay_alu instid0(VALU_DEP_3) | instskip(NEXT) | instid1(VALU_DEP_2)
	v_cmp_eq_u32_e32 vcc_lo, 0, v31
	v_min_u32_e32 v25, 32, v20
	s_delay_alu instid0(VALU_DEP_1) | instskip(SKIP_1) | instid1(VALU_DEP_2)
	v_subrev_nc_u32_e32 v20, 29, v25
	v_sub_nc_u32_e32 v25, 30, v25
	v_lshlrev_b64_e32 v[20:21], v20, v[96:97]
	s_delay_alu instid0(VALU_DEP_2) | instskip(NEXT) | instid1(VALU_DEP_1)
	v_dual_lshlrev_b32 v21, 24, v96 :: v_dual_cndmask_b32 v25, v31, v25, vcc_lo
	v_and_b32_e32 v21, 0x80000000, v21
	s_delay_alu instid0(VALU_DEP_3) | instskip(NEXT) | instid1(VALU_DEP_2)
	v_and_b32_e32 v20, 3, v20
	v_lshl_add_u32 v21, v25, 23, v21
	s_delay_alu instid0(VALU_DEP_2) | instskip(SKIP_1) | instid1(VALU_DEP_2)
	v_cndmask_b32_e32 v20, v24, v20, vcc_lo
	v_cmp_lt_i16_e32 vcc_lo, -1, v10
	v_lshl_or_b32 v20, v20, 21, v21
	v_cndmask_b32_e32 v10, 0xff800000, v126, vcc_lo
	v_cmp_eq_u32_e32 vcc_lo, 0, v24
	s_delay_alu instid0(VALU_DEP_3) | instskip(NEXT) | instid1(VALU_DEP_3)
	v_add_nc_u32_e32 v20, 0x38000000, v20
	v_cndmask_b32_e32 v10, 0x7f800001, v10, vcc_lo
	v_cmp_eq_u32_e32 vcc_lo, 0x7c, v2
	s_delay_alu instid0(VALU_DEP_2)
	v_cndmask_b32_e32 v2, v20, v10, vcc_lo
.LBB4_3314:                             ;   in Loop: Header=BB4_2382 Depth=2
	s_or_b32 exec_lo, exec_lo, s11
	s_delay_alu instid0(VALU_DEP_1) | instskip(SKIP_1) | instid1(VALU_DEP_2)
	v_add_f32_e32 v96, v11, v2
	v_dual_mov_b32 v21, v39 :: v_dual_mov_b32 v11, v39
                                        ; implicit-def: $vgpr2
	v_and_b32_e32 v20, 0x7f800000, v96
	v_and_b32_e32 v10, 0x7fffff, v96
	s_delay_alu instid0(VALU_DEP_2) | instskip(SKIP_2) | instid1(SALU_CYCLE_1)
	v_cmp_ne_u64_e32 vcc_lo, 0x7f800000, v[20:21]
	v_lshrrev_b32_e32 v20, 24, v96
	s_and_saveexec_b32 s11, vcc_lo
	s_xor_b32 s40, exec_lo, s11
	s_cbranch_execz .LBB4_3328
; %bb.3315:                             ;   in Loop: Header=BB4_2382 Depth=2
	v_and_b32_e32 v24, 0x7fffffff, v96
	v_mov_b32_e32 v25, v39
	v_and_b32_e32 v99, 0x80, v20
                                        ; implicit-def: $vgpr2
	s_mov_b32 s11, exec_lo
	s_delay_alu instid0(VALU_DEP_2)
	v_cmpx_gt_u64_e32 0x47600001, v[24:25]
	s_xor_b32 s41, exec_lo, s11
	s_cbranch_execz .LBB4_3325
; %bb.3316:                             ;   in Loop: Header=BB4_2382 Depth=2
	v_mov_b32_e32 v2, 0
	s_mov_b32 s42, exec_lo
	v_cmpx_ne_u32_e32 0, v96
	s_cbranch_execz .LBB4_3324
; %bb.3317:                             ;   in Loop: Header=BB4_2382 Depth=2
	v_bfe_u32 v2, v96, 23, 8
	v_or_b32_e32 v31, 0x800000, v10
	s_delay_alu instid0(VALU_DEP_2) | instskip(SKIP_1) | instid1(VALU_DEP_2)
	v_sub_nc_u32_e32 v20, 0x71, v2
	v_cmp_gt_u32_e32 vcc_lo, 0x72, v2
	v_cndmask_b32_e32 v20, 0, v20, vcc_lo
	v_cmp_eq_u32_e32 vcc_lo, 0, v2
	v_cndmask_b32_e32 v10, v31, v10, vcc_lo
	s_delay_alu instid0(VALU_DEP_3) | instskip(NEXT) | instid1(VALU_DEP_1)
	v_cndmask_b32_e64 v20, v20, 0x70, vcc_lo
	v_add_nc_u32_e32 v21, 21, v20
	s_delay_alu instid0(VALU_DEP_1) | instskip(SKIP_1) | instid1(VALU_DEP_1)
	v_lshlrev_b64_e64 v[24:25], v21, -1
	v_add_nc_u32_e32 v21, 20, v20
	v_lshlrev_b64_e64 v[96:97], v21, 1
	s_delay_alu instid0(VALU_DEP_3) | instskip(SKIP_2) | instid1(VALU_DEP_1)
	v_bfi_b32 v24, v24, 0, v10
	v_lshrrev_b64 v[10:11], v20, v[10:11]
	v_bfi_b32 v25, v25, 0, 0
	v_cmp_eq_u64_e64 s11, v[24:25], v[96:97]
	s_delay_alu instid0(VALU_DEP_3)
	v_mov_b64_e32 v[96:97], v[10:11]
	s_and_saveexec_b32 s43, s11
; %bb.3318:                             ;   in Loop: Header=BB4_2382 Depth=2
	v_bfe_u32 v24, v10, 21, 1
	v_mov_b32_e32 v25, v39
	s_delay_alu instid0(VALU_DEP_1) | instskip(NEXT) | instid1(VALU_DEP_1)
	v_add_nc_u64_e32 v[24:25], v[10:11], v[24:25]
	v_add_nc_u64_e32 v[96:97], -1, v[24:25]
; %bb.3319:                             ;   in Loop: Header=BB4_2382 Depth=2
	s_or_b32 exec_lo, exec_lo, s43
	v_add_nc_u32_e32 v2, 0xffffff81, v2
	v_lshrrev_b32_e32 v11, 23, v10
	s_mov_b32 s11, exec_lo
	s_delay_alu instid0(VALU_DEP_2) | instskip(NEXT) | instid1(VALU_DEP_1)
	v_cndmask_b32_e64 v2, v2, 0xffffff82, vcc_lo
	v_add3_u32 v20, v20, v2, v11
	v_and_b32_e32 v2, 0x1fffff, v96
	s_delay_alu instid0(VALU_DEP_2) | instskip(NEXT) | instid1(VALU_DEP_2)
	v_dual_mov_b32 v11, v39 :: v_dual_add_nc_u32 v21, 14, v20
	v_add_nc_u32_e32 v10, v2, v10
                                        ; implicit-def: $vgpr2
	s_delay_alu instid0(VALU_DEP_2)
	v_cmpx_ne_u32_e32 0, v21
	s_xor_b32 s11, exec_lo, s11
; %bb.3320:                             ;   in Loop: Header=BB4_2382 Depth=2
	s_delay_alu instid0(VALU_DEP_2) | instskip(SKIP_2) | instid1(VALU_DEP_2)
	v_cmp_lt_u64_e32 vcc_lo, 0xffffff, v[10:11]
	v_add_nc_u32_e32 v2, 15, v20
	v_cndmask_b32_e64 v20, 0, 1, vcc_lo
	v_cndmask_b32_e32 v2, v21, v2, vcc_lo
	s_delay_alu instid0(VALU_DEP_2)
	v_lshrrev_b64 v[10:11], v20, v[10:11]
; %bb.3321:                             ;   in Loop: Header=BB4_2382 Depth=2
	s_and_not1_saveexec_b32 s11, s11
; %bb.3322:                             ;   in Loop: Header=BB4_2382 Depth=2
	s_delay_alu instid0(VALU_DEP_1)
	v_bfe_u32 v2, v10, 23, 1
; %bb.3323:                             ;   in Loop: Header=BB4_2382 Depth=2
	s_or_b32 exec_lo, exec_lo, s11
	s_delay_alu instid0(VALU_DEP_2) | instskip(NEXT) | instid1(VALU_DEP_2)
	v_lshrrev_b64 v[10:11], 21, v[10:11]
	v_cmp_gt_i32_e32 vcc_lo, 32, v2
	v_min_i32_e32 v20, 31, v2
	v_cmp_eq_u32_e64 s11, 0, v2
	s_delay_alu instid0(VALU_DEP_2) | instskip(SKIP_1) | instid1(VALU_DEP_2)
	v_dual_cndmask_b32 v11, 0, v11 :: v_dual_lshlrev_b32 v20, 2, v20
	v_cndmask_b32_e32 v10, 3, v10, vcc_lo
	v_and_b32_e32 v20, 0xfc, v20
	s_delay_alu instid0(VALU_DEP_2) | instskip(NEXT) | instid1(VALU_DEP_2)
	v_cmp_eq_u64_e32 vcc_lo, 0, v[10:11]
	v_and_or_b32 v2, v10, 3, v20
	s_and_b32 s11, s11, vcc_lo
	s_delay_alu instid0(VALU_DEP_1) | instid1(SALU_CYCLE_1)
	v_cndmask_b32_e64 v2, v2, 0, s11
	s_delay_alu instid0(VALU_DEP_1)
	v_or_b32_e32 v2, v2, v99
.LBB4_3324:                             ;   in Loop: Header=BB4_2382 Depth=2
	s_or_b32 exec_lo, exec_lo, s42
                                        ; implicit-def: $vgpr99
.LBB4_3325:                             ;   in Loop: Header=BB4_2382 Depth=2
	s_and_not1_saveexec_b32 s11, s41
; %bb.3326:                             ;   in Loop: Header=BB4_2382 Depth=2
	v_or_b32_e32 v2, 0x7b, v99
; %bb.3327:                             ;   in Loop: Header=BB4_2382 Depth=2
	s_or_b32 exec_lo, exec_lo, s11
                                        ; implicit-def: $vgpr96
                                        ; implicit-def: $vgpr10_vgpr11
                                        ; implicit-def: $vgpr20
.LBB4_3328:                             ;   in Loop: Header=BB4_2382 Depth=2
	s_and_not1_saveexec_b32 s11, s40
	s_cbranch_execz .LBB4_3334
; %bb.3329:                             ;   in Loop: Header=BB4_2382 Depth=2
	s_mov_b32 s40, exec_lo
                                        ; implicit-def: $vgpr2
	v_cmpx_ne_u64_e32 0, v[10:11]
	s_xor_b32 s40, exec_lo, s40
; %bb.3330:                             ;   in Loop: Header=BB4_2382 Depth=2
	v_or_b32_e32 v2, 0x7f, v20
                                        ; implicit-def: $vgpr96
; %bb.3331:                             ;   in Loop: Header=BB4_2382 Depth=2
	s_and_not1_saveexec_b32 s40, s40
; %bb.3332:                             ;   in Loop: Header=BB4_2382 Depth=2
	v_cmp_lt_i32_e32 vcc_lo, -1, v96
	v_cndmask_b32_e32 v2, 0xfc, v122, vcc_lo
; %bb.3333:                             ;   in Loop: Header=BB4_2382 Depth=2
	s_or_b32 exec_lo, exec_lo, s40
.LBB4_3334:                             ;   in Loop: Header=BB4_2382 Depth=2
	s_delay_alu instid0(SALU_CYCLE_1) | instskip(SKIP_2) | instid1(VALU_DEP_1)
	s_or_b32 exec_lo, exec_lo, s11
	v_dual_mov_b32 v11, 0 :: v_dual_lshrrev_b32 v10, 16, v38
	s_mov_b32 s11, exec_lo
	v_and_b32_e32 v20, 0xff, v10
	s_delay_alu instid0(VALU_DEP_1)
	v_cmpx_ne_u16_e32 0, v20
	s_cbranch_execz .LBB4_3344
; %bb.3335:                             ;   in Loop: Header=BB4_2382 Depth=2
	v_bfrev_b32_e32 v11, 1
	s_mov_b32 s40, exec_lo
	v_cmpx_ne_u16_e32 0x80, v20
	s_cbranch_execz .LBB4_3343
; %bb.3336:                             ;   in Loop: Header=BB4_2382 Depth=2
	v_and_b32_e32 v11, 0x7c0000, v38
	v_bfe_u32 v20, v38, 16, 2
	s_delay_alu instid0(VALU_DEP_2) | instskip(SKIP_1) | instid1(SALU_CYCLE_1)
	v_cmp_ne_u32_e32 vcc_lo, 0x7c0000, v11
                                        ; implicit-def: $vgpr11
	s_and_saveexec_b32 s41, vcc_lo
	s_xor_b32 s41, exec_lo, s41
	s_cbranch_execz .LBB4_3340
; %bb.3337:                             ;   in Loop: Header=BB4_2382 Depth=2
	v_bfe_u32 v11, v38, 18, 5
	s_mov_b32 s42, exec_lo
	s_delay_alu instid0(VALU_DEP_1)
	v_cmpx_eq_u32_e32 0, v11
; %bb.3338:                             ;   in Loop: Header=BB4_2382 Depth=2
	v_clz_i32_u32_e32 v11, v20
	s_delay_alu instid0(VALU_DEP_1) | instskip(NEXT) | instid1(VALU_DEP_1)
	v_min_u32_e32 v11, 32, v11
	v_subrev_nc_u32_e32 v20, 29, v11
	s_delay_alu instid0(VALU_DEP_1) | instskip(NEXT) | instid1(VALU_DEP_1)
	v_lshlrev_b64_e32 v[20:21], v20, v[10:11]
	v_dual_sub_nc_u32 v11, 30, v11 :: v_dual_bitop2_b32 v20, 3, v20 bitop3:0x40
; %bb.3339:                             ;   in Loop: Header=BB4_2382 Depth=2
	s_or_b32 exec_lo, exec_lo, s42
	v_lshlrev_b32_e32 v10, 24, v10
	s_delay_alu instid0(VALU_DEP_1) | instskip(NEXT) | instid1(VALU_DEP_1)
	v_and_b32_e32 v10, 0x80000000, v10
	v_lshl_add_u32 v10, v11, 23, v10
	s_delay_alu instid0(VALU_DEP_1) | instskip(NEXT) | instid1(VALU_DEP_1)
	v_lshl_or_b32 v10, v20, 21, v10
                                        ; implicit-def: $vgpr20
	v_add_nc_u32_e32 v11, 0x38000000, v10
                                        ; implicit-def: $vgpr10
.LBB4_3340:                             ;   in Loop: Header=BB4_2382 Depth=2
	s_and_not1_saveexec_b32 s41, s41
; %bb.3341:                             ;   in Loop: Header=BB4_2382 Depth=2
	v_bfe_i32 v10, v10, 0, 8
	s_delay_alu instid0(VALU_DEP_1) | instskip(SKIP_2) | instid1(VALU_DEP_2)
	v_cmp_lt_i16_e32 vcc_lo, -1, v10
	v_cndmask_b32_e32 v10, 0xff800000, v126, vcc_lo
	v_cmp_eq_u32_e32 vcc_lo, 0, v20
	v_cndmask_b32_e32 v11, 0x7f800001, v10, vcc_lo
; %bb.3342:                             ;   in Loop: Header=BB4_2382 Depth=2
	s_or_b32 exec_lo, exec_lo, s41
.LBB4_3343:                             ;   in Loop: Header=BB4_2382 Depth=2
	s_delay_alu instid0(SALU_CYCLE_1)
	s_or_b32 exec_lo, exec_lo, s40
.LBB4_3344:                             ;   in Loop: Header=BB4_2382 Depth=2
	s_delay_alu instid0(SALU_CYCLE_1) | instskip(SKIP_3) | instid1(VALU_DEP_1)
	s_or_b32 exec_lo, exec_lo, s11
	v_lshrrev_b32_e32 v10, 16, v13
	s_mov_b32 s40, 0
	s_mov_b32 s11, exec_lo
	v_and_b32_e32 v21, 0xff, v10
	s_delay_alu instid0(VALU_DEP_1)
	v_cmpx_lt_i16_e32 0x7f, v21
	s_xor_b32 s11, exec_lo, s11
	s_cbranch_execnz .LBB4_3441
; %bb.3345:                             ;   in Loop: Header=BB4_2382 Depth=2
	s_or_saveexec_b32 s11, s11
	v_bfrev_b32_e32 v20, 1
	s_xor_b32 exec_lo, exec_lo, s11
	s_cbranch_execnz .LBB4_3444
.LBB4_3346:                             ;   in Loop: Header=BB4_2382 Depth=2
	s_or_b32 exec_lo, exec_lo, s11
	s_and_saveexec_b32 s11, s40
	s_cbranch_execz .LBB4_3348
.LBB4_3347:                             ;   in Loop: Header=BB4_2382 Depth=2
	v_and_b32_e32 v24, 3, v10
	v_bfe_u32 v31, v13, 18, 5
	s_delay_alu instid0(VALU_DEP_2) | instskip(NEXT) | instid1(VALU_DEP_2)
	v_clz_i32_u32_e32 v20, v24
	v_cmp_eq_u32_e32 vcc_lo, 0, v31
	s_delay_alu instid0(VALU_DEP_2) | instskip(NEXT) | instid1(VALU_DEP_1)
	v_min_u32_e32 v25, 32, v20
	v_subrev_nc_u32_e32 v20, 29, v25
	s_delay_alu instid0(VALU_DEP_1) | instskip(SKIP_2) | instid1(VALU_DEP_2)
	v_lshlrev_b64_e32 v[20:21], v20, v[10:11]
	v_dual_lshlrev_b32 v21, 24, v10 :: v_dual_sub_nc_u32 v25, 30, v25
	v_bfe_i32 v10, v10, 0, 8
	v_and_b32_e32 v21, 0x80000000, v21
	s_delay_alu instid0(VALU_DEP_3) | instskip(NEXT) | instid1(VALU_DEP_1)
	v_dual_cndmask_b32 v25, v31, v25, vcc_lo :: v_dual_bitop2_b32 v20, 3, v20 bitop3:0x40
	v_cndmask_b32_e32 v20, v24, v20, vcc_lo
	s_delay_alu instid0(VALU_DEP_2) | instskip(SKIP_1) | instid1(VALU_DEP_2)
	v_lshl_add_u32 v21, v25, 23, v21
	v_cmp_lt_i16_e32 vcc_lo, -1, v10
	v_lshl_or_b32 v20, v20, 21, v21
	v_cndmask_b32_e32 v10, 0xff800000, v126, vcc_lo
	v_and_b32_e32 v21, 0x7c0000, v13
	v_cmp_eq_u32_e32 vcc_lo, 0, v24
	s_delay_alu instid0(VALU_DEP_4) | instskip(NEXT) | instid1(VALU_DEP_4)
	v_add_nc_u32_e32 v20, 0x38000000, v20
	v_cndmask_b32_e32 v10, 0x7f800001, v10, vcc_lo
	s_delay_alu instid0(VALU_DEP_4) | instskip(NEXT) | instid1(VALU_DEP_2)
	v_cmp_eq_u32_e32 vcc_lo, 0x7c0000, v21
	v_cndmask_b32_e32 v20, v20, v10, vcc_lo
.LBB4_3348:                             ;   in Loop: Header=BB4_2382 Depth=2
	s_or_b32 exec_lo, exec_lo, s11
	s_delay_alu instid0(VALU_DEP_1) | instskip(SKIP_1) | instid1(VALU_DEP_2)
	v_add_f32_e32 v97, v11, v20
	v_dual_mov_b32 v21, v39 :: v_dual_mov_b32 v11, v39
                                        ; implicit-def: $vgpr96
	v_and_b32_e32 v20, 0x7f800000, v97
	v_and_b32_e32 v10, 0x7fffff, v97
	s_delay_alu instid0(VALU_DEP_2) | instskip(SKIP_2) | instid1(SALU_CYCLE_1)
	v_cmp_ne_u64_e32 vcc_lo, 0x7f800000, v[20:21]
	v_lshrrev_b32_e32 v20, 24, v97
	s_and_saveexec_b32 s11, vcc_lo
	s_xor_b32 s40, exec_lo, s11
	s_cbranch_execz .LBB4_3362
; %bb.3349:                             ;   in Loop: Header=BB4_2382 Depth=2
	v_and_b32_e32 v24, 0x7fffffff, v97
	v_mov_b32_e32 v25, v39
	v_and_b32_e32 v99, 0x80, v20
                                        ; implicit-def: $vgpr96
	s_mov_b32 s11, exec_lo
	s_delay_alu instid0(VALU_DEP_2)
	v_cmpx_gt_u64_e32 0x47600001, v[24:25]
	s_xor_b32 s41, exec_lo, s11
	s_cbranch_execz .LBB4_3359
; %bb.3350:                             ;   in Loop: Header=BB4_2382 Depth=2
	v_mov_b32_e32 v96, 0
	s_mov_b32 s42, exec_lo
	v_cmpx_ne_u32_e32 0, v97
	s_cbranch_execz .LBB4_3358
; %bb.3351:                             ;   in Loop: Header=BB4_2382 Depth=2
	v_bfe_u32 v20, v97, 23, 8
	v_or_b32_e32 v31, 0x800000, v10
	s_delay_alu instid0(VALU_DEP_2) | instskip(SKIP_1) | instid1(VALU_DEP_2)
	v_sub_nc_u32_e32 v21, 0x71, v20
	v_cmp_gt_u32_e32 vcc_lo, 0x72, v20
	v_cndmask_b32_e32 v21, 0, v21, vcc_lo
	v_cmp_eq_u32_e32 vcc_lo, 0, v20
	s_delay_alu instid0(VALU_DEP_2) | instskip(NEXT) | instid1(VALU_DEP_1)
	v_cndmask_b32_e64 v21, v21, 0x70, vcc_lo
	v_dual_cndmask_b32 v10, v31, v10, vcc_lo :: v_dual_add_nc_u32 v24, 21, v21
	v_add_nc_u32_e32 v96, 20, v21
	s_delay_alu instid0(VALU_DEP_2) | instskip(NEXT) | instid1(VALU_DEP_2)
	v_lshlrev_b64_e64 v[24:25], v24, -1
	v_lshlrev_b64_e64 v[96:97], v96, 1
	s_delay_alu instid0(VALU_DEP_2) | instskip(SKIP_1) | instid1(VALU_DEP_4)
	v_bfi_b32 v24, v24, 0, v10
	v_lshrrev_b64 v[10:11], v21, v[10:11]
	v_bfi_b32 v25, v25, 0, 0
	s_delay_alu instid0(VALU_DEP_1) | instskip(NEXT) | instid1(VALU_DEP_3)
	v_cmp_eq_u64_e64 s11, v[24:25], v[96:97]
	v_mov_b64_e32 v[96:97], v[10:11]
	s_and_saveexec_b32 s43, s11
; %bb.3352:                             ;   in Loop: Header=BB4_2382 Depth=2
	v_bfe_u32 v24, v10, 21, 1
	v_mov_b32_e32 v25, v39
	s_delay_alu instid0(VALU_DEP_1) | instskip(NEXT) | instid1(VALU_DEP_1)
	v_add_nc_u64_e32 v[24:25], v[10:11], v[24:25]
	v_add_nc_u64_e32 v[96:97], -1, v[24:25]
; %bb.3353:                             ;   in Loop: Header=BB4_2382 Depth=2
	s_or_b32 exec_lo, exec_lo, s43
	v_add_nc_u32_e32 v11, 0xffffff81, v20
	v_lshrrev_b32_e32 v20, 23, v10
	s_mov_b32 s11, exec_lo
	s_delay_alu instid0(VALU_DEP_2) | instskip(NEXT) | instid1(VALU_DEP_1)
	v_cndmask_b32_e64 v11, v11, 0xffffff82, vcc_lo
	v_add3_u32 v21, v21, v11, v20
	v_and_b32_e32 v11, 0x1fffff, v96
                                        ; implicit-def: $vgpr20
	s_delay_alu instid0(VALU_DEP_1) | instskip(SKIP_1) | instid1(VALU_DEP_2)
	v_dual_add_nc_u32 v96, 14, v21 :: v_dual_add_nc_u32 v10, v11, v10
	v_mov_b32_e32 v11, v39
	v_cmpx_ne_u32_e32 0, v96
	s_xor_b32 s11, exec_lo, s11
; %bb.3354:                             ;   in Loop: Header=BB4_2382 Depth=2
	s_delay_alu instid0(VALU_DEP_2) | instskip(SKIP_2) | instid1(VALU_DEP_2)
	v_cmp_lt_u64_e32 vcc_lo, 0xffffff, v[10:11]
	v_add_nc_u32_e32 v20, 15, v21
	v_cndmask_b32_e64 v21, 0, 1, vcc_lo
	v_cndmask_b32_e32 v20, v96, v20, vcc_lo
	s_delay_alu instid0(VALU_DEP_2)
	v_lshrrev_b64 v[10:11], v21, v[10:11]
; %bb.3355:                             ;   in Loop: Header=BB4_2382 Depth=2
	s_and_not1_saveexec_b32 s11, s11
; %bb.3356:                             ;   in Loop: Header=BB4_2382 Depth=2
	s_delay_alu instid0(VALU_DEP_1)
	v_bfe_u32 v20, v10, 23, 1
; %bb.3357:                             ;   in Loop: Header=BB4_2382 Depth=2
	s_or_b32 exec_lo, exec_lo, s11
	s_delay_alu instid0(VALU_DEP_2) | instskip(NEXT) | instid1(VALU_DEP_2)
	v_lshrrev_b64 v[10:11], 21, v[10:11]
	v_cmp_gt_i32_e32 vcc_lo, 32, v20
	v_min_i32_e32 v21, 31, v20
	v_cmp_eq_u32_e64 s11, 0, v20
	s_delay_alu instid0(VALU_DEP_2) | instskip(SKIP_1) | instid1(VALU_DEP_2)
	v_dual_cndmask_b32 v11, 0, v11, vcc_lo :: v_dual_lshlrev_b32 v21, 2, v21
	v_cndmask_b32_e32 v10, 3, v10, vcc_lo
	v_and_b32_e32 v21, 0xfc, v21
	s_delay_alu instid0(VALU_DEP_2) | instskip(NEXT) | instid1(VALU_DEP_2)
	v_cmp_eq_u64_e32 vcc_lo, 0, v[10:11]
	v_and_or_b32 v10, v10, 3, v21
	s_and_b32 s11, s11, vcc_lo
	s_delay_alu instid0(VALU_DEP_1) | instid1(SALU_CYCLE_1)
	v_cndmask_b32_e64 v10, v10, 0, s11
	s_delay_alu instid0(VALU_DEP_1)
	v_or_b32_e32 v96, v10, v99
.LBB4_3358:                             ;   in Loop: Header=BB4_2382 Depth=2
	s_or_b32 exec_lo, exec_lo, s42
                                        ; implicit-def: $vgpr99
.LBB4_3359:                             ;   in Loop: Header=BB4_2382 Depth=2
	s_and_not1_saveexec_b32 s11, s41
; %bb.3360:                             ;   in Loop: Header=BB4_2382 Depth=2
	v_or_b32_e32 v96, 0x7b, v99
; %bb.3361:                             ;   in Loop: Header=BB4_2382 Depth=2
	s_or_b32 exec_lo, exec_lo, s11
                                        ; implicit-def: $vgpr97
                                        ; implicit-def: $vgpr10_vgpr11
                                        ; implicit-def: $vgpr20
.LBB4_3362:                             ;   in Loop: Header=BB4_2382 Depth=2
	s_and_not1_saveexec_b32 s11, s40
	s_cbranch_execz .LBB4_3368
; %bb.3363:                             ;   in Loop: Header=BB4_2382 Depth=2
	s_mov_b32 s40, exec_lo
                                        ; implicit-def: $vgpr96
	v_cmpx_ne_u64_e32 0, v[10:11]
	s_xor_b32 s40, exec_lo, s40
; %bb.3364:                             ;   in Loop: Header=BB4_2382 Depth=2
	v_or_b32_e32 v96, 0x7f, v20
                                        ; implicit-def: $vgpr97
; %bb.3365:                             ;   in Loop: Header=BB4_2382 Depth=2
	s_and_not1_saveexec_b32 s40, s40
; %bb.3366:                             ;   in Loop: Header=BB4_2382 Depth=2
	v_cmp_lt_i32_e32 vcc_lo, -1, v97
	v_cndmask_b32_e32 v96, 0xfc, v122, vcc_lo
; %bb.3367:                             ;   in Loop: Header=BB4_2382 Depth=2
	s_or_b32 exec_lo, exec_lo, s40
.LBB4_3368:                             ;   in Loop: Header=BB4_2382 Depth=2
	s_delay_alu instid0(SALU_CYCLE_1)
	s_or_b32 exec_lo, exec_lo, s11
	v_mov_b32_e32 v11, 0
	s_mov_b32 s11, exec_lo
	v_cmpx_lt_u32_e32 0xffffff, v38
	s_cbranch_execz .LBB4_3378
; %bb.3369:                             ;   in Loop: Header=BB4_2382 Depth=2
	v_lshrrev_b32_e32 v10, 24, v38
	v_bfrev_b32_e32 v11, 1
	s_mov_b32 s40, exec_lo
	s_delay_alu instid0(VALU_DEP_2)
	v_cmpx_ne_u32_e32 0x80, v10
	s_cbranch_execz .LBB4_3377
; %bb.3370:                             ;   in Loop: Header=BB4_2382 Depth=2
	v_and_b32_e32 v11, 0x7c000000, v38
	v_bfe_u32 v20, v38, 24, 2
	s_delay_alu instid0(VALU_DEP_2) | instskip(SKIP_1) | instid1(SALU_CYCLE_1)
	v_cmp_ne_u32_e32 vcc_lo, 0x7c000000, v11
                                        ; implicit-def: $vgpr11
	s_and_saveexec_b32 s41, vcc_lo
	s_xor_b32 s41, exec_lo, s41
	s_cbranch_execz .LBB4_3374
; %bb.3371:                             ;   in Loop: Header=BB4_2382 Depth=2
	v_bfe_u32 v11, v38, 26, 5
	s_mov_b32 s42, exec_lo
	s_delay_alu instid0(VALU_DEP_1)
	v_cmpx_eq_u32_e32 0, v11
; %bb.3372:                             ;   in Loop: Header=BB4_2382 Depth=2
	v_clz_i32_u32_e32 v11, v20
	s_delay_alu instid0(VALU_DEP_1) | instskip(NEXT) | instid1(VALU_DEP_1)
	v_min_u32_e32 v20, 32, v11
	v_subrev_nc_u32_e32 v11, 29, v20
	s_delay_alu instid0(VALU_DEP_1) | instskip(NEXT) | instid1(VALU_DEP_1)
	v_lshlrev_b64_e32 v[10:11], v11, v[10:11]
	v_dual_sub_nc_u32 v11, 30, v20 :: v_dual_bitop2_b32 v20, 3, v10 bitop3:0x40
; %bb.3373:                             ;   in Loop: Header=BB4_2382 Depth=2
	s_or_b32 exec_lo, exec_lo, s42
	v_and_b32_e32 v10, 0x80000000, v38
	s_delay_alu instid0(VALU_DEP_1) | instskip(NEXT) | instid1(VALU_DEP_1)
	v_lshl_add_u32 v10, v11, 23, v10
	v_lshl_or_b32 v10, v20, 21, v10
                                        ; implicit-def: $vgpr20
	s_delay_alu instid0(VALU_DEP_1)
	v_add_nc_u32_e32 v11, 0x38000000, v10
.LBB4_3374:                             ;   in Loop: Header=BB4_2382 Depth=2
	s_and_not1_saveexec_b32 s41, s41
; %bb.3375:                             ;   in Loop: Header=BB4_2382 Depth=2
	v_cmp_lt_i32_e32 vcc_lo, -1, v38
	v_cndmask_b32_e32 v10, 0xff800000, v126, vcc_lo
	v_cmp_eq_u32_e32 vcc_lo, 0, v20
	s_delay_alu instid0(VALU_DEP_2)
	v_cndmask_b32_e32 v11, 0x7f800001, v10, vcc_lo
; %bb.3376:                             ;   in Loop: Header=BB4_2382 Depth=2
	s_or_b32 exec_lo, exec_lo, s41
.LBB4_3377:                             ;   in Loop: Header=BB4_2382 Depth=2
	s_delay_alu instid0(SALU_CYCLE_1)
	s_or_b32 exec_lo, exec_lo, s40
.LBB4_3378:                             ;   in Loop: Header=BB4_2382 Depth=2
	s_delay_alu instid0(SALU_CYCLE_1) | instskip(SKIP_2) | instid1(VALU_DEP_2)
	s_or_b32 exec_lo, exec_lo, s11
	v_bfe_u32 v24, v13, 24, 2
	v_bfe_u32 v31, v13, 26, 5
	v_clz_i32_u32_e32 v10, v24
	s_delay_alu instid0(VALU_DEP_2) | instskip(NEXT) | instid1(VALU_DEP_2)
	v_cmp_eq_u32_e32 vcc_lo, 0, v31
	v_min_u32_e32 v25, 32, v10
	v_lshrrev_b32_e32 v10, 24, v13
	s_delay_alu instid0(VALU_DEP_2) | instskip(NEXT) | instid1(VALU_DEP_1)
	v_subrev_nc_u32_e32 v20, 29, v25
	v_lshlrev_b64_e32 v[20:21], v20, v[10:11]
	s_delay_alu instid0(VALU_DEP_1) | instskip(SKIP_1) | instid1(VALU_DEP_2)
	v_dual_sub_nc_u32 v21, 30, v25 :: v_dual_bitop2_b32 v20, 3, v20 bitop3:0x40
	v_and_b32_e32 v25, 0x80000000, v13
	v_dual_cndmask_b32 v20, v24, v20 :: v_dual_cndmask_b32 v21, v31, v21
	v_cmp_lt_i64_e32 vcc_lo, -1, v[12:13]
	s_delay_alu instid0(VALU_DEP_2) | instskip(SKIP_2) | instid1(VALU_DEP_3)
	v_lshl_add_u32 v21, v21, 23, v25
	v_cndmask_b32_e32 v25, 0xff800000, v126, vcc_lo
	v_cmp_eq_u32_e32 vcc_lo, 0, v24
	v_lshl_or_b32 v20, v20, 21, v21
	v_and_b32_e32 v21, 0x7c000000, v13
	s_delay_alu instid0(VALU_DEP_4) | instskip(NEXT) | instid1(VALU_DEP_3)
	v_cndmask_b32_e32 v24, 0x7f800001, v25, vcc_lo
	v_add_nc_u32_e32 v20, 0x38000000, v20
	s_delay_alu instid0(VALU_DEP_3) | instskip(NEXT) | instid1(VALU_DEP_2)
	v_cmp_eq_u32_e32 vcc_lo, 0x7c000000, v21
	v_cndmask_b32_e32 v20, v20, v24, vcc_lo
	v_cmp_ne_u32_e32 vcc_lo, 0x80, v10
	s_delay_alu instid0(VALU_DEP_2) | instskip(SKIP_1) | instid1(VALU_DEP_2)
	v_cndmask_b32_e32 v10, 0x80000000, v20, vcc_lo
	v_cmp_lt_u64_e32 vcc_lo, s[12:13], v[12:13]
	v_dual_mov_b32 v13, v39 :: v_dual_cndmask_b32 v10, 0, v10
	s_delay_alu instid0(VALU_DEP_1) | instskip(NEXT) | instid1(VALU_DEP_1)
	v_add_f32_e32 v11, v10, v11
                                        ; implicit-def: $vgpr10
	v_and_b32_e32 v12, 0x7f800000, v11
	v_and_b32_e32 v38, 0x7fffff, v11
	s_delay_alu instid0(VALU_DEP_2) | instskip(SKIP_2) | instid1(SALU_CYCLE_1)
	v_cmp_ne_u64_e32 vcc_lo, 0x7f800000, v[12:13]
	v_lshrrev_b32_e32 v12, 24, v11
	s_and_saveexec_b32 s11, vcc_lo
	s_xor_b32 s40, exec_lo, s11
	s_cbranch_execz .LBB4_3392
; %bb.3379:                             ;   in Loop: Header=BB4_2382 Depth=2
	v_and_b32_e32 v20, 0x7fffffff, v11
	v_mov_b32_e32 v21, v39
	v_and_b32_e32 v97, 0x80, v12
                                        ; implicit-def: $vgpr10
	s_mov_b32 s11, exec_lo
	s_delay_alu instid0(VALU_DEP_2)
	v_cmpx_gt_u64_e32 0x47600001, v[20:21]
	s_xor_b32 s41, exec_lo, s11
	s_cbranch_execz .LBB4_3389
; %bb.3380:                             ;   in Loop: Header=BB4_2382 Depth=2
	v_mov_b32_e32 v10, 0
	s_mov_b32 s42, exec_lo
	v_cmpx_ne_u32_e32 0, v11
	s_cbranch_execz .LBB4_3388
; %bb.3381:                             ;   in Loop: Header=BB4_2382 Depth=2
	v_bfe_u32 v20, v11, 23, 8
	v_or_b32_e32 v12, 0x800000, v38
	s_mov_b32 s43, exec_lo
	s_delay_alu instid0(VALU_DEP_2) | instskip(SKIP_1) | instid1(VALU_DEP_2)
	v_dual_mov_b32 v13, v39 :: v_dual_sub_nc_u32 v10, 0x71, v20
	v_cmp_gt_u32_e32 vcc_lo, 0x72, v20
	v_cndmask_b32_e32 v10, 0, v10, vcc_lo
	v_cmp_eq_u32_e32 vcc_lo, 0, v20
	s_delay_alu instid0(VALU_DEP_2) | instskip(NEXT) | instid1(VALU_DEP_1)
	v_cndmask_b32_e64 v21, v10, 0x70, vcc_lo
	v_dual_cndmask_b32 v12, v12, v38, vcc_lo :: v_dual_add_nc_u32 v10, 21, v21
	v_add_nc_u32_e32 v24, 20, v21
	s_delay_alu instid0(VALU_DEP_2) | instskip(NEXT) | instid1(VALU_DEP_2)
	v_lshlrev_b64_e64 v[10:11], v10, -1
	v_lshlrev_b64_e64 v[24:25], v24, 1
	s_delay_alu instid0(VALU_DEP_2) | instskip(NEXT) | instid1(VALU_DEP_3)
	v_bfi_b32 v45, v11, 0, 0
	v_bfi_b32 v44, v10, 0, v12
	v_lshrrev_b64 v[10:11], v21, v[12:13]
	s_delay_alu instid0(VALU_DEP_1) | instskip(NEXT) | instid1(VALU_DEP_3)
	v_mov_b64_e32 v[12:13], v[10:11]
	v_cmpx_eq_u64_e64 v[44:45], v[24:25]
; %bb.3382:                             ;   in Loop: Header=BB4_2382 Depth=2
	v_bfe_u32 v12, v10, 21, 1
	v_mov_b32_e32 v13, v39
	s_delay_alu instid0(VALU_DEP_1) | instskip(NEXT) | instid1(VALU_DEP_1)
	v_add_nc_u64_e32 v[12:13], v[10:11], v[12:13]
	v_add_nc_u64_e32 v[12:13], -1, v[12:13]
; %bb.3383:                             ;   in Loop: Header=BB4_2382 Depth=2
	s_or_b32 exec_lo, exec_lo, s43
	v_add_nc_u32_e32 v11, 0xffffff81, v20
	v_lshrrev_b32_e32 v13, 23, v10
	s_mov_b32 s11, exec_lo
	s_delay_alu instid0(VALU_DEP_2) | instskip(NEXT) | instid1(VALU_DEP_1)
	v_cndmask_b32_e64 v11, v11, 0xffffff82, vcc_lo
	v_add3_u32 v13, v21, v11, v13
	v_and_b32_e32 v11, 0x1fffff, v12
                                        ; implicit-def: $vgpr12
	s_delay_alu instid0(VALU_DEP_1) | instskip(NEXT) | instid1(VALU_DEP_1)
	v_dual_add_nc_u32 v20, 14, v13 :: v_dual_add_nc_u32 v38, v11, v10
                                        ; implicit-def: $vgpr10_vgpr11
	v_cmpx_ne_u32_e32 0, v20
	s_xor_b32 s11, exec_lo, s11
; %bb.3384:                             ;   in Loop: Header=BB4_2382 Depth=2
	s_delay_alu instid0(VALU_DEP_2) | instskip(SKIP_1) | instid1(VALU_DEP_1)
	v_cmp_lt_u64_e32 vcc_lo, 0xffffff, v[38:39]
	v_add_nc_u32_e32 v10, 15, v13
	v_cndmask_b32_e32 v12, v20, v10, vcc_lo
	v_cndmask_b32_e64 v10, 0, 1, vcc_lo
	s_delay_alu instid0(VALU_DEP_1)
	v_lshrrev_b64 v[10:11], v10, v[38:39]
; %bb.3385:                             ;   in Loop: Header=BB4_2382 Depth=2
	s_and_not1_saveexec_b32 s11, s11
; %bb.3386:                             ;   in Loop: Header=BB4_2382 Depth=2
	v_mov_b64_e32 v[10:11], v[38:39]
	v_bfe_u32 v12, v38, 23, 1
; %bb.3387:                             ;   in Loop: Header=BB4_2382 Depth=2
	s_or_b32 exec_lo, exec_lo, s11
	s_delay_alu instid0(VALU_DEP_2) | instskip(NEXT) | instid1(VALU_DEP_2)
	v_lshrrev_b64 v[10:11], 21, v[10:11]
	v_cmp_gt_i32_e32 vcc_lo, 32, v12
	v_min_i32_e32 v13, 31, v12
	v_cmp_eq_u32_e64 s11, 0, v12
	s_delay_alu instid0(VALU_DEP_2) | instskip(SKIP_1) | instid1(VALU_DEP_2)
	v_dual_cndmask_b32 v11, 0, v11, vcc_lo :: v_dual_lshlrev_b32 v13, 2, v13
	v_cndmask_b32_e32 v10, 3, v10, vcc_lo
	v_and_b32_e32 v13, 0xfc, v13
	s_delay_alu instid0(VALU_DEP_2) | instskip(NEXT) | instid1(VALU_DEP_2)
	v_cmp_eq_u64_e32 vcc_lo, 0, v[10:11]
	v_and_or_b32 v10, v10, 3, v13
	s_and_b32 s11, s11, vcc_lo
	s_delay_alu instid0(VALU_DEP_1) | instid1(SALU_CYCLE_1)
	v_cndmask_b32_e64 v10, v10, 0, s11
	s_delay_alu instid0(VALU_DEP_1)
	v_or_b32_e32 v10, v10, v97
.LBB4_3388:                             ;   in Loop: Header=BB4_2382 Depth=2
	s_or_b32 exec_lo, exec_lo, s42
                                        ; implicit-def: $vgpr97
.LBB4_3389:                             ;   in Loop: Header=BB4_2382 Depth=2
	s_and_not1_saveexec_b32 s11, s41
; %bb.3390:                             ;   in Loop: Header=BB4_2382 Depth=2
	v_or_b32_e32 v10, 0x7b, v97
; %bb.3391:                             ;   in Loop: Header=BB4_2382 Depth=2
	s_or_b32 exec_lo, exec_lo, s11
                                        ; implicit-def: $vgpr11
                                        ; implicit-def: $vgpr12
.LBB4_3392:                             ;   in Loop: Header=BB4_2382 Depth=2
	s_and_not1_saveexec_b32 s11, s40
	s_cbranch_execz .LBB4_2381
; %bb.3393:                             ;   in Loop: Header=BB4_2382 Depth=2
	s_mov_b32 s40, exec_lo
                                        ; implicit-def: $vgpr10
	v_cmpx_ne_u64_e32 0, v[38:39]
	s_xor_b32 s40, exec_lo, s40
; %bb.3394:                             ;   in Loop: Header=BB4_2382 Depth=2
	v_or_b32_e32 v10, 0x7f, v12
                                        ; implicit-def: $vgpr11
; %bb.3395:                             ;   in Loop: Header=BB4_2382 Depth=2
	s_and_not1_saveexec_b32 s40, s40
	s_cbranch_execz .LBB4_2380
; %bb.3396:                             ;   in Loop: Header=BB4_2382 Depth=2
	v_cmp_lt_i32_e32 vcc_lo, -1, v11
	v_cndmask_b32_e32 v10, 0xfc, v122, vcc_lo
	s_branch .LBB4_2380
.LBB4_3397:                             ;   in Loop: Header=BB4_2382 Depth=2
	s_mov_b32 s40, -1
	s_mov_b32 s41, exec_lo
	v_cmpx_eq_u16_e32 0x80, v21
; %bb.3398:                             ;   in Loop: Header=BB4_2382 Depth=2
	s_xor_b32 s40, exec_lo, -1
; %bb.3399:                             ;   in Loop: Header=BB4_2382 Depth=2
	s_or_b32 exec_lo, exec_lo, s41
	s_delay_alu instid0(SALU_CYCLE_1)
	s_and_b32 s40, s40, exec_lo
                                        ; implicit-def: $vgpr21
	s_or_saveexec_b32 s11, s11
	v_bfrev_b32_e32 v20, 1
	s_xor_b32 exec_lo, exec_lo, s11
	s_cbranch_execz .LBB4_2882
.LBB4_3400:                             ;   in Loop: Header=BB4_2382 Depth=2
	v_cmp_ne_u16_e32 vcc_lo, 0, v21
	v_mov_b32_e32 v20, 0
	s_and_not1_b32 s40, s40, exec_lo
	s_and_b32 s41, vcc_lo, exec_lo
	s_delay_alu instid0(SALU_CYCLE_1)
	s_or_b32 s40, s40, s41
	s_or_b32 exec_lo, exec_lo, s11
	s_and_saveexec_b32 s11, s40
	s_cbranch_execnz .LBB4_2883
	s_branch .LBB4_2884
.LBB4_3401:                             ;   in Loop: Header=BB4_2382 Depth=2
	s_mov_b32 s40, -1
	s_mov_b32 s41, exec_lo
	v_cmpx_eq_u16_e32 0x80, v96
; %bb.3402:                             ;   in Loop: Header=BB4_2382 Depth=2
	s_xor_b32 s40, exec_lo, -1
; %bb.3403:                             ;   in Loop: Header=BB4_2382 Depth=2
	s_or_b32 exec_lo, exec_lo, s41
	s_delay_alu instid0(SALU_CYCLE_1)
	s_and_b32 s40, s40, exec_lo
	s_or_saveexec_b32 s11, s11
	v_bfrev_b32_e32 v2, 1
	s_xor_b32 exec_lo, exec_lo, s11
	s_cbranch_execz .LBB4_2916
.LBB4_3404:                             ;   in Loop: Header=BB4_2382 Depth=2
	v_cmp_ne_u16_e32 vcc_lo, 0, v96
	v_mov_b32_e32 v2, 0
	s_and_not1_b32 s40, s40, exec_lo
	s_and_b32 s41, vcc_lo, exec_lo
	s_delay_alu instid0(SALU_CYCLE_1)
	s_or_b32 s40, s40, s41
	s_or_b32 exec_lo, exec_lo, s11
	s_and_saveexec_b32 s11, s40
	s_cbranch_execnz .LBB4_2917
	s_branch .LBB4_2918
.LBB4_3405:                             ;   in Loop: Header=BB4_2382 Depth=2
	s_mov_b32 s40, -1
	s_mov_b32 s41, exec_lo
	v_cmpx_eq_u16_e32 0x80, v21
; %bb.3406:                             ;   in Loop: Header=BB4_2382 Depth=2
	s_xor_b32 s40, exec_lo, -1
; %bb.3407:                             ;   in Loop: Header=BB4_2382 Depth=2
	s_or_b32 exec_lo, exec_lo, s41
	s_delay_alu instid0(SALU_CYCLE_1)
	s_and_b32 s40, s40, exec_lo
                                        ; implicit-def: $vgpr21
	s_or_saveexec_b32 s11, s11
	v_bfrev_b32_e32 v20, 1
	s_xor_b32 exec_lo, exec_lo, s11
	s_cbranch_execz .LBB4_2950
.LBB4_3408:                             ;   in Loop: Header=BB4_2382 Depth=2
	v_cmp_ne_u16_e32 vcc_lo, 0, v21
	v_mov_b32_e32 v20, 0
	s_and_not1_b32 s40, s40, exec_lo
	s_and_b32 s41, vcc_lo, exec_lo
	s_delay_alu instid0(SALU_CYCLE_1)
	s_or_b32 s40, s40, s41
	s_or_b32 exec_lo, exec_lo, s11
	s_and_saveexec_b32 s11, s40
	s_cbranch_execnz .LBB4_2951
	s_branch .LBB4_2952
.LBB4_3409:                             ;   in Loop: Header=BB4_2382 Depth=2
	s_mov_b32 s40, -1
	s_mov_b32 s41, exec_lo
	v_cmpx_eq_u16_e32 0x80, v21
; %bb.3410:                             ;   in Loop: Header=BB4_2382 Depth=2
	s_xor_b32 s40, exec_lo, -1
; %bb.3411:                             ;   in Loop: Header=BB4_2382 Depth=2
	s_or_b32 exec_lo, exec_lo, s41
	s_delay_alu instid0(SALU_CYCLE_1)
	s_and_b32 s40, s40, exec_lo
                                        ; implicit-def: $vgpr21
	s_or_saveexec_b32 s11, s11
	v_bfrev_b32_e32 v20, 1
	s_xor_b32 exec_lo, exec_lo, s11
	s_cbranch_execz .LBB4_3014
.LBB4_3412:                             ;   in Loop: Header=BB4_2382 Depth=2
	v_cmp_ne_u16_e32 vcc_lo, 0, v21
	v_mov_b32_e32 v20, 0
	s_and_not1_b32 s40, s40, exec_lo
	s_and_b32 s41, vcc_lo, exec_lo
	s_delay_alu instid0(SALU_CYCLE_1)
	s_or_b32 s40, s40, s41
	s_or_b32 exec_lo, exec_lo, s11
	v_mov_b32_e32 v97, v39
	s_and_saveexec_b32 s11, s40
	s_cbranch_execnz .LBB4_3015
	s_branch .LBB4_3016
.LBB4_3413:                             ;   in Loop: Header=BB4_2382 Depth=2
	s_mov_b32 s40, -1
	s_mov_b32 s41, exec_lo
	v_cmpx_eq_u16_e32 0x80, v98
; %bb.3414:                             ;   in Loop: Header=BB4_2382 Depth=2
	s_xor_b32 s40, exec_lo, -1
; %bb.3415:                             ;   in Loop: Header=BB4_2382 Depth=2
	s_or_b32 exec_lo, exec_lo, s41
	s_delay_alu instid0(SALU_CYCLE_1)
	s_and_b32 s40, s40, exec_lo
	s_or_saveexec_b32 s11, s11
	v_bfrev_b32_e32 v2, 1
	s_xor_b32 exec_lo, exec_lo, s11
	s_cbranch_execz .LBB4_3048
.LBB4_3416:                             ;   in Loop: Header=BB4_2382 Depth=2
	v_cmp_ne_u16_e32 vcc_lo, 0, v98
	v_mov_b32_e32 v2, 0
	s_and_not1_b32 s40, s40, exec_lo
	s_and_b32 s41, vcc_lo, exec_lo
	s_delay_alu instid0(SALU_CYCLE_1)
	s_or_b32 s40, s40, s41
	s_or_b32 exec_lo, exec_lo, s11
	s_and_saveexec_b32 s11, s40
	s_cbranch_execnz .LBB4_3049
	s_branch .LBB4_3050
.LBB4_3417:                             ;   in Loop: Header=BB4_2382 Depth=2
	s_mov_b32 s40, -1
	s_mov_b32 s41, exec_lo
	v_cmpx_eq_u16_e32 0x80, v21
; %bb.3418:                             ;   in Loop: Header=BB4_2382 Depth=2
	s_xor_b32 s40, exec_lo, -1
; %bb.3419:                             ;   in Loop: Header=BB4_2382 Depth=2
	s_or_b32 exec_lo, exec_lo, s41
	s_delay_alu instid0(SALU_CYCLE_1)
	s_and_b32 s40, s40, exec_lo
                                        ; implicit-def: $vgpr21
	s_or_saveexec_b32 s11, s11
	v_bfrev_b32_e32 v20, 1
	s_xor_b32 exec_lo, exec_lo, s11
	s_cbranch_execz .LBB4_3082
.LBB4_3420:                             ;   in Loop: Header=BB4_2382 Depth=2
	v_cmp_ne_u16_e32 vcc_lo, 0, v21
	v_mov_b32_e32 v20, 0
	s_and_not1_b32 s40, s40, exec_lo
	s_and_b32 s41, vcc_lo, exec_lo
	s_delay_alu instid0(SALU_CYCLE_1)
	s_or_b32 s40, s40, s41
	s_or_b32 exec_lo, exec_lo, s11
	s_and_saveexec_b32 s11, s40
	s_cbranch_execnz .LBB4_3083
	s_branch .LBB4_3084
.LBB4_3421:                             ;   in Loop: Header=BB4_2382 Depth=2
	s_mov_b32 s40, -1
	s_mov_b32 s41, exec_lo
	v_cmpx_eq_u16_e32 0x80, v20
; %bb.3422:                             ;   in Loop: Header=BB4_2382 Depth=2
	s_xor_b32 s40, exec_lo, -1
; %bb.3423:                             ;   in Loop: Header=BB4_2382 Depth=2
	s_or_b32 exec_lo, exec_lo, s41
	s_delay_alu instid0(SALU_CYCLE_1)
	s_and_b32 s40, s40, exec_lo
                                        ; implicit-def: $vgpr20
	s_or_saveexec_b32 s11, s11
	v_bfrev_b32_e32 v11, 1
	s_xor_b32 exec_lo, exec_lo, s11
	s_cbranch_execz .LBB4_3146
.LBB4_3424:                             ;   in Loop: Header=BB4_2382 Depth=2
	v_cmp_ne_u16_e32 vcc_lo, 0, v20
	v_mov_b32_e32 v11, 0
	s_and_not1_b32 s40, s40, exec_lo
	s_and_b32 s41, vcc_lo, exec_lo
	s_delay_alu instid0(SALU_CYCLE_1)
	s_or_b32 s40, s40, s41
	s_or_b32 exec_lo, exec_lo, s11
	s_and_saveexec_b32 s11, s40
	s_cbranch_execnz .LBB4_3147
	s_branch .LBB4_3148
.LBB4_3425:                             ;   in Loop: Header=BB4_2382 Depth=2
	s_mov_b32 s40, -1
	s_mov_b32 s41, exec_lo
	v_cmpx_eq_u16_e32 0x80, v10
; %bb.3426:                             ;   in Loop: Header=BB4_2382 Depth=2
	s_xor_b32 s40, exec_lo, -1
; %bb.3427:                             ;   in Loop: Header=BB4_2382 Depth=2
	s_or_b32 exec_lo, exec_lo, s41
	s_delay_alu instid0(SALU_CYCLE_1)
	s_and_b32 s40, s40, exec_lo
	s_or_saveexec_b32 s11, s11
	v_bfrev_b32_e32 v2, 1
	s_xor_b32 exec_lo, exec_lo, s11
	s_cbranch_execz .LBB4_3180
.LBB4_3428:                             ;   in Loop: Header=BB4_2382 Depth=2
	v_cmp_ne_u16_e32 vcc_lo, 0, v10
	v_mov_b32_e32 v2, 0
	s_and_not1_b32 s40, s40, exec_lo
	s_and_b32 s41, vcc_lo, exec_lo
	s_delay_alu instid0(SALU_CYCLE_1)
	s_or_b32 s40, s40, s41
	s_or_b32 exec_lo, exec_lo, s11
	s_and_saveexec_b32 s11, s40
	s_cbranch_execnz .LBB4_3181
	s_branch .LBB4_3182
.LBB4_3429:                             ;   in Loop: Header=BB4_2382 Depth=2
	s_mov_b32 s40, -1
	s_mov_b32 s41, exec_lo
	v_cmpx_eq_u16_e32 0x80, v20
; %bb.3430:                             ;   in Loop: Header=BB4_2382 Depth=2
	s_xor_b32 s40, exec_lo, -1
; %bb.3431:                             ;   in Loop: Header=BB4_2382 Depth=2
	s_or_b32 exec_lo, exec_lo, s41
	s_delay_alu instid0(SALU_CYCLE_1)
	s_and_b32 s40, s40, exec_lo
                                        ; implicit-def: $vgpr20
	s_or_saveexec_b32 s11, s11
	v_bfrev_b32_e32 v11, 1
	s_xor_b32 exec_lo, exec_lo, s11
	s_cbranch_execz .LBB4_3214
.LBB4_3432:                             ;   in Loop: Header=BB4_2382 Depth=2
	v_cmp_ne_u16_e32 vcc_lo, 0, v20
	v_mov_b32_e32 v11, 0
	s_and_not1_b32 s40, s40, exec_lo
	s_and_b32 s41, vcc_lo, exec_lo
	s_delay_alu instid0(SALU_CYCLE_1)
	s_or_b32 s40, s40, s41
	s_or_b32 exec_lo, exec_lo, s11
	s_and_saveexec_b32 s11, s40
	s_cbranch_execnz .LBB4_3215
	s_branch .LBB4_3216
.LBB4_3433:                             ;   in Loop: Header=BB4_2382 Depth=2
	s_mov_b32 s40, -1
	s_mov_b32 s41, exec_lo
	v_cmpx_eq_u16_e32 0x80, v11
; %bb.3434:                             ;   in Loop: Header=BB4_2382 Depth=2
	s_xor_b32 s40, exec_lo, -1
; %bb.3435:                             ;   in Loop: Header=BB4_2382 Depth=2
	s_or_b32 exec_lo, exec_lo, s41
	s_delay_alu instid0(SALU_CYCLE_1)
	s_and_b32 s40, s40, exec_lo
                                        ; implicit-def: $vgpr11
	s_or_saveexec_b32 s11, s11
	v_bfrev_b32_e32 v20, 1
	s_xor_b32 exec_lo, exec_lo, s11
	s_cbranch_execz .LBB4_3278
.LBB4_3436:                             ;   in Loop: Header=BB4_2382 Depth=2
	v_cmp_ne_u16_e32 vcc_lo, 0, v11
	v_mov_b32_e32 v20, 0
	s_and_not1_b32 s40, s40, exec_lo
	s_and_b32 s41, vcc_lo, exec_lo
	s_delay_alu instid0(SALU_CYCLE_1)
	s_or_b32 s40, s40, s41
	s_or_b32 exec_lo, exec_lo, s11
	v_mov_b32_e32 v11, v39
	s_and_saveexec_b32 s11, s40
	s_cbranch_execnz .LBB4_3279
	s_branch .LBB4_3280
.LBB4_3437:                             ;   in Loop: Header=BB4_2382 Depth=2
	s_mov_b32 s40, -1
	s_mov_b32 s41, exec_lo
	v_cmpx_eq_u16_e32 0x80, v96
; %bb.3438:                             ;   in Loop: Header=BB4_2382 Depth=2
	s_xor_b32 s40, exec_lo, -1
; %bb.3439:                             ;   in Loop: Header=BB4_2382 Depth=2
	s_or_b32 exec_lo, exec_lo, s41
	s_delay_alu instid0(SALU_CYCLE_1)
	s_and_b32 s40, s40, exec_lo
	s_or_saveexec_b32 s11, s11
	v_bfrev_b32_e32 v2, 1
	s_xor_b32 exec_lo, exec_lo, s11
	s_cbranch_execz .LBB4_3312
.LBB4_3440:                             ;   in Loop: Header=BB4_2382 Depth=2
	v_cmp_ne_u16_e32 vcc_lo, 0, v96
	v_mov_b32_e32 v2, 0
	s_and_not1_b32 s40, s40, exec_lo
	s_and_b32 s41, vcc_lo, exec_lo
	s_delay_alu instid0(SALU_CYCLE_1)
	s_or_b32 s40, s40, s41
	s_or_b32 exec_lo, exec_lo, s11
	s_and_saveexec_b32 s11, s40
	s_cbranch_execnz .LBB4_3313
	s_branch .LBB4_3314
.LBB4_3441:                             ;   in Loop: Header=BB4_2382 Depth=2
	s_mov_b32 s40, -1
	s_mov_b32 s41, exec_lo
	v_cmpx_eq_u16_e32 0x80, v21
; %bb.3442:                             ;   in Loop: Header=BB4_2382 Depth=2
	s_xor_b32 s40, exec_lo, -1
; %bb.3443:                             ;   in Loop: Header=BB4_2382 Depth=2
	s_or_b32 exec_lo, exec_lo, s41
	s_delay_alu instid0(SALU_CYCLE_1)
	s_and_b32 s40, s40, exec_lo
                                        ; implicit-def: $vgpr21
	s_or_saveexec_b32 s11, s11
	v_bfrev_b32_e32 v20, 1
	s_xor_b32 exec_lo, exec_lo, s11
	s_cbranch_execz .LBB4_3346
.LBB4_3444:                             ;   in Loop: Header=BB4_2382 Depth=2
	v_cmp_ne_u16_e32 vcc_lo, 0, v21
	v_mov_b32_e32 v20, 0
	s_and_not1_b32 s40, s40, exec_lo
	s_and_b32 s41, vcc_lo, exec_lo
	s_delay_alu instid0(SALU_CYCLE_1)
	s_or_b32 s40, s40, s41
	s_or_b32 exec_lo, exec_lo, s11
	s_and_saveexec_b32 s11, s40
	s_cbranch_execnz .LBB4_3347
	s_branch .LBB4_3348
.LBB4_3445:                             ;   in Loop: Header=BB4_49 Depth=1
	s_or_b32 exec_lo, exec_lo, s27
.LBB4_3446:                             ;   in Loop: Header=BB4_49 Depth=1
	s_delay_alu instid0(SALU_CYCLE_1) | instskip(NEXT) | instid1(VALU_DEP_2)
	s_or_b32 exec_lo, exec_lo, s26
	v_cmp_lt_i32_e32 vcc_lo, 0, v81
	v_and_b32_e32 v2, 15, v123
	v_and_b32_e32 v10, 0x1f0, v123
	s_delay_alu instid0(VALU_DEP_2) | instskip(NEXT) | instid1(VALU_DEP_1)
	v_dual_cndmask_b32 v11, 0, v48, vcc_lo :: v_dual_cndmask_b32 v71, v3, v2, s10
	v_dual_cndmask_b32 v2, 0, v10, s10 :: v_dual_sub_nc_u32 v3, v11, v81
	s_delay_alu instid0(VALU_DEP_2) | instskip(NEXT) | instid1(VALU_DEP_2)
	v_cmp_ne_u32_e32 vcc_lo, 0, v71
	v_and_or_b32 v30, 0x3ffffe00, v123, v2
	s_delay_alu instid0(VALU_DEP_3)
	v_lshl_add_u32 v0, v3, 5, v0
	s_and_b32 s10, vcc_lo, exec_lo
.LBB4_3447:                             ;   in Loop: Header=BB4_49 Depth=1
	s_or_b32 exec_lo, exec_lo, s25
	s_and_saveexec_b32 s25, s10
	s_cbranch_execz .LBB4_4798
.LBB4_3448:                             ;   in Loop: Header=BB4_49 Depth=1
	v_dual_ashrrev_i32 v2, 31, v0 :: v_dual_lshrrev_b32 v10, 9, v71
	s_mov_b32 s26, exec_lo
	s_delay_alu instid0(VALU_DEP_1) | instskip(NEXT) | instid1(VALU_DEP_1)
	v_lshrrev_b32_e32 v2, 27, v2
	v_add_nc_u32_e32 v2, v0, v2
	s_delay_alu instid0(VALU_DEP_1) | instskip(NEXT) | instid1(VALU_DEP_1)
	v_ashrrev_i32_e32 v3, 5, v2
	v_sub_nc_u32_e32 v81, v10, v3
	s_delay_alu instid0(VALU_DEP_1)
	v_cmpx_lt_i32_e32 0, v81
	s_cbranch_execz .LBB4_4708
; %bb.3449:                             ;   in Loop: Header=BB4_49 Depth=1
	v_and_b32_e32 v2, 0xffffffe0, v2
	s_trap 2
	ds_load_b64 v[12:13], v0
	v_lshlrev_b32_e32 v10, 9, v3
	v_add_nc_u64_e32 v[16:17], 0x1e0, v[84:85]
	v_sub_nc_u32_e32 v2, v0, v2
	s_mov_b32 s27, 0
	s_delay_alu instid0(VALU_DEP_1) | instskip(NEXT) | instid1(VALU_DEP_1)
	v_add3_u32 v14, v30, v2, v10
	v_ashrrev_i32_e32 v15, 31, v14
	s_delay_alu instid0(VALU_DEP_1)
	v_add_nc_u64_e32 v[10:11], v[14:15], v[82:83]
	s_wait_dscnt 0x0
	v_add_nc_u64_e32 v[12:13], v[12:13], v[14:15]
	v_add_nc_u64_e32 v[14:15], v[16:17], v[14:15]
	s_branch .LBB4_3452
.LBB4_3450:                             ;   in Loop: Header=BB4_3452 Depth=2
	s_or_b32 exec_lo, exec_lo, s11
.LBB4_3451:                             ;   in Loop: Header=BB4_3452 Depth=2
	s_delay_alu instid0(SALU_CYCLE_1)
	s_or_b32 exec_lo, exec_lo, s10
	v_sub_nc_u32_e32 v81, v81, v48
	s_clause 0xf
	flat_store_b8 v[14:15], v110 offset:-480 th:TH_STORE_NT
	flat_store_b8 v[14:15], v62 offset:-448 th:TH_STORE_NT
	;; [unrolled: 1-line block ×15, first 2 shown]
	flat_store_b8 v[14:15], v17 th:TH_STORE_NT
	v_add_nc_u64_e32 v[10:11], v[10:11], v[54:55]
	v_add_nc_u64_e32 v[12:13], v[12:13], v[54:55]
	v_cmp_gt_i32_e32 vcc_lo, 1, v81
	s_wait_xcnt 0x0
	v_add_nc_u64_e32 v[14:15], v[14:15], v[54:55]
	s_or_b32 s27, vcc_lo, s27
	s_delay_alu instid0(SALU_CYCLE_1)
	s_and_not1_b32 exec_lo, exec_lo, s27
	s_cbranch_execz .LBB4_4707
.LBB4_3452:                             ;   Parent Loop BB4_49 Depth=1
                                        ; =>  This Inner Loop Header: Depth=2
	s_trap 2
	ds_load_b64 v[16:17], v0
	s_mov_b32 s28, 0
	s_wait_dscnt 0x0
	v_and_b32_e32 v2, 0xff, v16
	v_readfirstlane_b32 s10, v16
	v_readfirstlane_b32 s11, v17
	s_delay_alu instid0(VALU_DEP_3)
	v_cmp_eq_u32_e32 vcc_lo, 0, v2
	s_cbranch_vccnz .LBB4_3460
; %bb.3453:                             ;   in Loop: Header=BB4_3452 Depth=2
	s_bfe_i32 s40, s10, 0x80000
	s_delay_alu instid0(SALU_CYCLE_1) | instskip(NEXT) | instid1(SALU_CYCLE_1)
	s_and_b32 s28, 0xffff, s40
	s_cmp_eq_u32 s28, 0xff80
	s_brev_b32 s28, 1
	s_cbranch_scc1 .LBB4_3460
; %bb.3454:                             ;   in Loop: Header=BB4_3452 Depth=2
	s_and_b32 s28, s10, 0x7c
	s_and_b32 s29, s10, 3
	s_mov_b32 s41, -1
	s_cmp_lg_u32 s28, 0x7c
	s_sext_i32_i16 s40, s40
                                        ; implicit-def: $sgpr28
	s_cbranch_scc0 .LBB4_3458
; %bb.3455:                             ;   in Loop: Header=BB4_3452 Depth=2
	s_bfe_u32 s28, s10, 0x50002
	s_mov_b32 s41, s29
	s_cmp_lg_u32 s28, 0
	s_cbranch_scc1 .LBB4_3457
; %bb.3456:                             ;   in Loop: Header=BB4_3452 Depth=2
	s_clz_i32_u32 s28, s29
	s_delay_alu instid0(SALU_CYCLE_1) | instskip(NEXT) | instid1(SALU_CYCLE_1)
	s_min_u32 s28, s28, 32
	s_sub_co_i32 s41, s28, 29
	s_sub_co_i32 s28, 30, s28
	s_lshl_b64 s[10:11], s[10:11], s41
	s_delay_alu instid0(SALU_CYCLE_1)
	s_and_b32 s41, s10, 3
.LBB4_3457:                             ;   in Loop: Header=BB4_3452 Depth=2
	s_and_b32 s10, s40, 0x80000000
	s_lshl_b32 s11, s28, 23
	s_lshl_b32 s28, s41, 21
	s_add_co_i32 s11, s11, s10
	s_mov_b32 s41, 0
	s_or_b32 s10, s11, s28
	s_delay_alu instid0(SALU_CYCLE_1)
	s_add_co_i32 s28, s10, 0x38000000
.LBB4_3458:                             ;   in Loop: Header=BB4_3452 Depth=2
	s_and_b32 vcc_lo, exec_lo, s41
	s_cbranch_vccz .LBB4_3460
; %bb.3459:                             ;   in Loop: Header=BB4_3452 Depth=2
	s_cmp_gt_i32 s40, -1
	s_cselect_b32 s10, s22, 0xff800000
	s_cmp_eq_u32 s29, 0
	s_cselect_b32 s28, s10, 0x7f800001
.LBB4_3460:                             ;   in Loop: Header=BB4_3452 Depth=2
	flat_load_i8 v16, v[10:11] th:TH_LOAD_NT
	v_mov_b32_e32 v17, 0
	s_mov_b32 s10, exec_lo
	s_wait_loadcnt_dscnt 0x0
	v_cmpx_ne_u16_e32 0, v16
	s_cbranch_execz .LBB4_3470
; %bb.3461:                             ;   in Loop: Header=BB4_3452 Depth=2
	v_bfrev_b32_e32 v17, 1
	s_mov_b32 s11, exec_lo
	v_cmpx_ne_u16_e32 0xff80, v16
	s_cbranch_execz .LBB4_3469
; %bb.3462:                             ;   in Loop: Header=BB4_3452 Depth=2
	v_and_b32_e32 v17, 0x7c, v16
	v_and_b32_e32 v2, 3, v16
	s_delay_alu instid0(VALU_DEP_2) | instskip(SKIP_1) | instid1(SALU_CYCLE_1)
	v_cmp_ne_u32_e32 vcc_lo, 0x7c, v17
                                        ; implicit-def: $vgpr17
	s_and_saveexec_b32 s29, vcc_lo
	s_xor_b32 s29, exec_lo, s29
	s_cbranch_execz .LBB4_3466
; %bb.3463:                             ;   in Loop: Header=BB4_3452 Depth=2
	v_and_b32_e32 v17, 0xff, v16
	s_mov_b32 s40, exec_lo
	s_delay_alu instid0(VALU_DEP_1) | instskip(NEXT) | instid1(VALU_DEP_1)
	v_bfe_u32 v17, v17, 2, 5
	v_cmpx_eq_u32_e32 0, v17
; %bb.3464:                             ;   in Loop: Header=BB4_3452 Depth=2
	v_clz_i32_u32_e32 v2, v2
	v_mov_b32_e32 v17, v39
	s_delay_alu instid0(VALU_DEP_2) | instskip(NEXT) | instid1(VALU_DEP_1)
	v_min_u32_e32 v2, 32, v2
	v_subrev_nc_u32_e32 v20, 29, v2
	s_delay_alu instid0(VALU_DEP_1) | instskip(NEXT) | instid1(VALU_DEP_1)
	v_lshlrev_b64_e32 v[20:21], v20, v[16:17]
	v_dual_sub_nc_u32 v17, 30, v2 :: v_dual_bitop2_b32 v2, 3, v20 bitop3:0x40
; %bb.3465:                             ;   in Loop: Header=BB4_3452 Depth=2
	s_or_b32 exec_lo, exec_lo, s40
	v_bfe_i32 v16, v16, 0, 16
	s_delay_alu instid0(VALU_DEP_1) | instskip(NEXT) | instid1(VALU_DEP_1)
	v_and_b32_e32 v16, 0x80000000, v16
	v_lshl_add_u32 v16, v17, 23, v16
	s_delay_alu instid0(VALU_DEP_1) | instskip(NEXT) | instid1(VALU_DEP_1)
	v_lshl_or_b32 v2, v2, 21, v16
                                        ; implicit-def: $vgpr16
	v_add_nc_u32_e32 v17, 0x38000000, v2
                                        ; implicit-def: $vgpr2
.LBB4_3466:                             ;   in Loop: Header=BB4_3452 Depth=2
	s_and_not1_saveexec_b32 s29, s29
; %bb.3467:                             ;   in Loop: Header=BB4_3452 Depth=2
	v_cmp_lt_i16_e32 vcc_lo, -1, v16
	v_cndmask_b32_e32 v16, 0xff800000, v126, vcc_lo
	v_cmp_eq_u32_e32 vcc_lo, 0, v2
	s_delay_alu instid0(VALU_DEP_2)
	v_cndmask_b32_e32 v17, 0x7f800001, v16, vcc_lo
; %bb.3468:                             ;   in Loop: Header=BB4_3452 Depth=2
	s_or_b32 exec_lo, exec_lo, s29
.LBB4_3469:                             ;   in Loop: Header=BB4_3452 Depth=2
	s_delay_alu instid0(SALU_CYCLE_1)
	s_or_b32 exec_lo, exec_lo, s11
.LBB4_3470:                             ;   in Loop: Header=BB4_3452 Depth=2
	s_delay_alu instid0(SALU_CYCLE_1) | instskip(NEXT) | instid1(VALU_DEP_1)
	s_or_b32 exec_lo, exec_lo, s10
	v_dual_mul_f32 v16, s28, v17 :: v_dual_mov_b32 v21, v39
                                        ; implicit-def: $vgpr62
	s_mov_b32 s10, exec_lo
	s_delay_alu instid0(VALU_DEP_1) | instskip(SKIP_1) | instid1(VALU_DEP_2)
	v_and_b32_e32 v20, 0x7f800000, v16
	v_and_b32_e32 v38, 0x7fffff, v16
	v_cmpx_ne_u64_e32 0x7f800000, v[20:21]
	s_xor_b32 s11, exec_lo, s10
	s_cbranch_execz .LBB4_3488
; %bb.3471:                             ;   in Loop: Header=BB4_3452 Depth=2
	v_dual_mov_b32 v21, v39 :: v_dual_lshrrev_b32 v2, 24, v16
	v_and_b32_e32 v20, 0x7fffffff, v16
                                        ; implicit-def: $vgpr62
	s_mov_b32 s10, exec_lo
	s_delay_alu instid0(VALU_DEP_2) | instskip(NEXT) | instid1(VALU_DEP_2)
	v_and_b32_e32 v2, 0x80, v2
	v_cmpx_gt_u64_e32 0x47600001, v[20:21]
	s_xor_b32 s29, exec_lo, s10
	s_cbranch_execz .LBB4_3485
; %bb.3472:                             ;   in Loop: Header=BB4_3452 Depth=2
	v_mov_b32_e32 v62, 0
	s_mov_b32 s40, exec_lo
	v_cmpx_ne_u32_e32 0, v16
	s_cbranch_execz .LBB4_3484
; %bb.3473:                             ;   in Loop: Header=BB4_3452 Depth=2
	v_bfe_u32 v20, v16, 23, 8
	v_or_b32_e32 v24, 0x800000, v38
	s_delay_alu instid0(VALU_DEP_2) | instskip(SKIP_1) | instid1(VALU_DEP_2)
	v_dual_mov_b32 v25, v39 :: v_dual_sub_nc_u32 v16, 0x71, v20
	v_cmp_gt_u32_e32 vcc_lo, 0x72, v20
	v_cndmask_b32_e32 v16, 0, v16, vcc_lo
	v_cmp_eq_u32_e32 vcc_lo, 0, v20
	s_delay_alu instid0(VALU_DEP_2) | instskip(NEXT) | instid1(VALU_DEP_1)
	v_cndmask_b32_e64 v21, v16, 0x70, vcc_lo
	v_dual_cndmask_b32 v24, v24, v38, vcc_lo :: v_dual_add_nc_u32 v16, 21, v21
	v_add_nc_u32_e32 v31, 20, v21
	s_delay_alu instid0(VALU_DEP_2) | instskip(NEXT) | instid1(VALU_DEP_2)
	v_lshlrev_b64_e64 v[16:17], v16, -1
	v_lshlrev_b64_e64 v[82:83], v31, 1
	s_delay_alu instid0(VALU_DEP_2) | instskip(NEXT) | instid1(VALU_DEP_3)
	v_bfi_b32 v85, v17, 0, 0
	v_bfi_b32 v84, v16, 0, v24
	v_lshrrev_b64 v[16:17], v21, v[24:25]
	s_delay_alu instid0(VALU_DEP_2) | instskip(NEXT) | instid1(VALU_DEP_2)
	v_cmp_eq_u64_e64 s10, v[84:85], v[82:83]
	v_mov_b64_e32 v[82:83], v[16:17]
	s_and_saveexec_b32 s41, s10
; %bb.3474:                             ;   in Loop: Header=BB4_3452 Depth=2
	v_bfe_u32 v24, v16, 21, 1
	v_mov_b32_e32 v25, v39
	s_delay_alu instid0(VALU_DEP_1) | instskip(NEXT) | instid1(VALU_DEP_1)
	v_add_nc_u64_e32 v[24:25], v[16:17], v[24:25]
	v_add_nc_u64_e32 v[82:83], -1, v[24:25]
; %bb.3475:                             ;   in Loop: Header=BB4_3452 Depth=2
	s_or_b32 exec_lo, exec_lo, s41
	v_add_nc_u32_e32 v17, 0xffffff81, v20
	v_lshrrev_b32_e32 v20, 23, v16
	s_mov_b32 s10, exec_lo
	s_delay_alu instid0(VALU_DEP_2) | instskip(NEXT) | instid1(VALU_DEP_1)
	v_cndmask_b32_e64 v17, v17, 0xffffff82, vcc_lo
	v_add3_u32 v21, v21, v17, v20
	v_and_b32_e32 v17, 0x1fffff, v82
                                        ; implicit-def: $vgpr20
	s_delay_alu instid0(VALU_DEP_1) | instskip(NEXT) | instid1(VALU_DEP_1)
	v_dual_add_nc_u32 v82, 14, v21 :: v_dual_add_nc_u32 v38, v17, v16
                                        ; implicit-def: $vgpr16_vgpr17
	v_cmpx_ne_u32_e32 0, v82
	s_xor_b32 s10, exec_lo, s10
; %bb.3476:                             ;   in Loop: Header=BB4_3452 Depth=2
	s_delay_alu instid0(VALU_DEP_2) | instskip(SKIP_1) | instid1(VALU_DEP_1)
	v_cmp_lt_u64_e32 vcc_lo, 0xffffff, v[38:39]
	v_add_nc_u32_e32 v16, 15, v21
	v_cndmask_b32_e32 v20, v82, v16, vcc_lo
	v_cndmask_b32_e64 v16, 0, 1, vcc_lo
	s_delay_alu instid0(VALU_DEP_1)
	v_lshrrev_b64 v[16:17], v16, v[38:39]
; %bb.3477:                             ;   in Loop: Header=BB4_3452 Depth=2
	s_and_not1_saveexec_b32 s10, s10
; %bb.3478:                             ;   in Loop: Header=BB4_3452 Depth=2
	v_mov_b64_e32 v[16:17], v[38:39]
	v_bfe_u32 v20, v38, 23, 1
; %bb.3479:                             ;   in Loop: Header=BB4_3452 Depth=2
	s_or_b32 exec_lo, exec_lo, s10
	s_delay_alu instid0(VALU_DEP_2) | instskip(NEXT) | instid1(VALU_DEP_2)
	v_lshrrev_b64 v[16:17], 21, v[16:17]
	v_cmp_gt_i32_e32 vcc_lo, 32, v20
	v_cmp_ne_u32_e64 s10, 0, v20
                                        ; implicit-def: $vgpr62
	s_delay_alu instid0(VALU_DEP_3) | instskip(NEXT) | instid1(VALU_DEP_1)
	v_dual_cndmask_b32 v17, 0, v17 :: v_dual_cndmask_b32 v16, 3, v16
	v_cmp_ne_u64_e32 vcc_lo, 0, v[16:17]
	s_or_b32 s10, s10, vcc_lo
	s_delay_alu instid0(SALU_CYCLE_1) | instskip(NEXT) | instid1(SALU_CYCLE_1)
	s_and_saveexec_b32 s41, s10
	s_xor_b32 s10, exec_lo, s41
; %bb.3480:                             ;   in Loop: Header=BB4_3452 Depth=2
	v_min_i32_e32 v17, 31, v20
	s_delay_alu instid0(VALU_DEP_1) | instskip(NEXT) | instid1(VALU_DEP_1)
	v_lshl_or_b32 v2, v17, 2, v2
	v_and_or_b32 v62, v16, 3, v2
                                        ; implicit-def: $vgpr2
; %bb.3481:                             ;   in Loop: Header=BB4_3452 Depth=2
	s_and_not1_saveexec_b32 s10, s10
; %bb.3482:                             ;   in Loop: Header=BB4_3452 Depth=2
	v_mov_b32_e32 v62, v2
; %bb.3483:                             ;   in Loop: Header=BB4_3452 Depth=2
	s_or_b32 exec_lo, exec_lo, s10
.LBB4_3484:                             ;   in Loop: Header=BB4_3452 Depth=2
	s_delay_alu instid0(SALU_CYCLE_1)
	s_or_b32 exec_lo, exec_lo, s40
                                        ; implicit-def: $vgpr2
.LBB4_3485:                             ;   in Loop: Header=BB4_3452 Depth=2
	s_and_not1_saveexec_b32 s10, s29
; %bb.3486:                             ;   in Loop: Header=BB4_3452 Depth=2
	v_or_b32_e32 v62, 0x7b, v2
; %bb.3487:                             ;   in Loop: Header=BB4_3452 Depth=2
	s_or_b32 exec_lo, exec_lo, s10
                                        ; implicit-def: $vgpr16
.LBB4_3488:                             ;   in Loop: Header=BB4_3452 Depth=2
	s_and_not1_saveexec_b32 s10, s11
	s_cbranch_execz .LBB4_3494
; %bb.3489:                             ;   in Loop: Header=BB4_3452 Depth=2
	s_mov_b32 s11, exec_lo
                                        ; implicit-def: $vgpr62
	v_cmpx_ne_u64_e32 0, v[38:39]
	s_xor_b32 s11, exec_lo, s11
; %bb.3490:                             ;   in Loop: Header=BB4_3452 Depth=2
	v_lshrrev_b32_e32 v2, 24, v16
                                        ; implicit-def: $vgpr16
	s_delay_alu instid0(VALU_DEP_1)
	v_or_b32_e32 v62, 0x7f, v2
; %bb.3491:                             ;   in Loop: Header=BB4_3452 Depth=2
	s_and_not1_saveexec_b32 s11, s11
; %bb.3492:                             ;   in Loop: Header=BB4_3452 Depth=2
	v_cmp_lt_i32_e32 vcc_lo, -1, v16
	v_cndmask_b32_e64 v62, -4, 0x7c, vcc_lo
; %bb.3493:                             ;   in Loop: Header=BB4_3452 Depth=2
	s_or_b32 exec_lo, exec_lo, s11
.LBB4_3494:                             ;   in Loop: Header=BB4_3452 Depth=2
	s_delay_alu instid0(SALU_CYCLE_1)
	s_or_b32 exec_lo, exec_lo, s10
	flat_load_i8 v16, v[10:11] offset:32 th:TH_LOAD_NT
	v_mov_b32_e32 v17, 0
	s_mov_b32 s10, exec_lo
	s_wait_loadcnt_dscnt 0x0
	v_cmpx_ne_u16_e32 0, v16
	s_cbranch_execz .LBB4_3504
; %bb.3495:                             ;   in Loop: Header=BB4_3452 Depth=2
	v_bfrev_b32_e32 v17, 1
	s_mov_b32 s11, exec_lo
	v_cmpx_ne_u16_e32 0xff80, v16
	s_cbranch_execz .LBB4_3503
; %bb.3496:                             ;   in Loop: Header=BB4_3452 Depth=2
	v_and_b32_e32 v17, 0x7c, v16
	v_and_b32_e32 v2, 3, v16
	s_delay_alu instid0(VALU_DEP_2) | instskip(SKIP_1) | instid1(SALU_CYCLE_1)
	v_cmp_ne_u32_e32 vcc_lo, 0x7c, v17
                                        ; implicit-def: $vgpr17
	s_and_saveexec_b32 s29, vcc_lo
	s_xor_b32 s29, exec_lo, s29
	s_cbranch_execz .LBB4_3500
; %bb.3497:                             ;   in Loop: Header=BB4_3452 Depth=2
	v_and_b32_e32 v17, 0xff, v16
	s_mov_b32 s40, exec_lo
	s_delay_alu instid0(VALU_DEP_1) | instskip(NEXT) | instid1(VALU_DEP_1)
	v_bfe_u32 v17, v17, 2, 5
	v_cmpx_eq_u32_e32 0, v17
; %bb.3498:                             ;   in Loop: Header=BB4_3452 Depth=2
	v_clz_i32_u32_e32 v2, v2
	v_mov_b32_e32 v17, v39
	s_delay_alu instid0(VALU_DEP_2) | instskip(NEXT) | instid1(VALU_DEP_1)
	v_min_u32_e32 v2, 32, v2
	v_subrev_nc_u32_e32 v20, 29, v2
	s_delay_alu instid0(VALU_DEP_1) | instskip(NEXT) | instid1(VALU_DEP_1)
	v_lshlrev_b64_e32 v[20:21], v20, v[16:17]
	v_dual_sub_nc_u32 v17, 30, v2 :: v_dual_bitop2_b32 v2, 3, v20 bitop3:0x40
; %bb.3499:                             ;   in Loop: Header=BB4_3452 Depth=2
	s_or_b32 exec_lo, exec_lo, s40
	v_bfe_i32 v16, v16, 0, 16
	s_delay_alu instid0(VALU_DEP_1) | instskip(NEXT) | instid1(VALU_DEP_1)
	v_and_b32_e32 v16, 0x80000000, v16
	v_lshl_add_u32 v16, v17, 23, v16
	s_delay_alu instid0(VALU_DEP_1) | instskip(NEXT) | instid1(VALU_DEP_1)
	v_lshl_or_b32 v2, v2, 21, v16
                                        ; implicit-def: $vgpr16
	v_add_nc_u32_e32 v17, 0x38000000, v2
                                        ; implicit-def: $vgpr2
.LBB4_3500:                             ;   in Loop: Header=BB4_3452 Depth=2
	s_and_not1_saveexec_b32 s29, s29
; %bb.3501:                             ;   in Loop: Header=BB4_3452 Depth=2
	v_cmp_lt_i16_e32 vcc_lo, -1, v16
	v_cndmask_b32_e32 v16, 0xff800000, v126, vcc_lo
	v_cmp_eq_u32_e32 vcc_lo, 0, v2
	s_delay_alu instid0(VALU_DEP_2)
	v_cndmask_b32_e32 v17, 0x7f800001, v16, vcc_lo
; %bb.3502:                             ;   in Loop: Header=BB4_3452 Depth=2
	s_or_b32 exec_lo, exec_lo, s29
.LBB4_3503:                             ;   in Loop: Header=BB4_3452 Depth=2
	s_delay_alu instid0(SALU_CYCLE_1)
	s_or_b32 exec_lo, exec_lo, s11
.LBB4_3504:                             ;   in Loop: Header=BB4_3452 Depth=2
	s_delay_alu instid0(SALU_CYCLE_1) | instskip(NEXT) | instid1(VALU_DEP_1)
	s_or_b32 exec_lo, exec_lo, s10
	v_dual_mul_f32 v16, s28, v17 :: v_dual_mov_b32 v21, v39
                                        ; implicit-def: $vgpr58
	s_mov_b32 s10, exec_lo
	s_delay_alu instid0(VALU_DEP_1) | instskip(SKIP_1) | instid1(VALU_DEP_2)
	v_and_b32_e32 v20, 0x7f800000, v16
	v_and_b32_e32 v38, 0x7fffff, v16
	v_cmpx_ne_u64_e32 0x7f800000, v[20:21]
	s_xor_b32 s11, exec_lo, s10
	s_cbranch_execz .LBB4_3522
; %bb.3505:                             ;   in Loop: Header=BB4_3452 Depth=2
	v_dual_mov_b32 v21, v39 :: v_dual_lshrrev_b32 v2, 24, v16
	v_and_b32_e32 v20, 0x7fffffff, v16
                                        ; implicit-def: $vgpr58
	s_mov_b32 s10, exec_lo
	s_delay_alu instid0(VALU_DEP_2) | instskip(NEXT) | instid1(VALU_DEP_2)
	v_and_b32_e32 v2, 0x80, v2
	v_cmpx_gt_u64_e32 0x47600001, v[20:21]
	s_xor_b32 s29, exec_lo, s10
	s_cbranch_execz .LBB4_3519
; %bb.3506:                             ;   in Loop: Header=BB4_3452 Depth=2
	v_mov_b32_e32 v58, 0
	s_mov_b32 s40, exec_lo
	v_cmpx_ne_u32_e32 0, v16
	s_cbranch_execz .LBB4_3518
; %bb.3507:                             ;   in Loop: Header=BB4_3452 Depth=2
	v_bfe_u32 v20, v16, 23, 8
	v_or_b32_e32 v24, 0x800000, v38
	s_delay_alu instid0(VALU_DEP_2) | instskip(SKIP_1) | instid1(VALU_DEP_2)
	v_dual_mov_b32 v25, v39 :: v_dual_sub_nc_u32 v16, 0x71, v20
	v_cmp_gt_u32_e32 vcc_lo, 0x72, v20
	v_cndmask_b32_e32 v16, 0, v16, vcc_lo
	v_cmp_eq_u32_e32 vcc_lo, 0, v20
	s_delay_alu instid0(VALU_DEP_2) | instskip(NEXT) | instid1(VALU_DEP_1)
	v_cndmask_b32_e64 v21, v16, 0x70, vcc_lo
	v_dual_cndmask_b32 v24, v24, v38, vcc_lo :: v_dual_add_nc_u32 v16, 21, v21
	v_add_nc_u32_e32 v31, 20, v21
	s_delay_alu instid0(VALU_DEP_2) | instskip(NEXT) | instid1(VALU_DEP_2)
	v_lshlrev_b64_e64 v[16:17], v16, -1
	v_lshlrev_b64_e64 v[82:83], v31, 1
	s_delay_alu instid0(VALU_DEP_2) | instskip(NEXT) | instid1(VALU_DEP_3)
	v_bfi_b32 v85, v17, 0, 0
	v_bfi_b32 v84, v16, 0, v24
	v_lshrrev_b64 v[16:17], v21, v[24:25]
	s_delay_alu instid0(VALU_DEP_2) | instskip(NEXT) | instid1(VALU_DEP_2)
	v_cmp_eq_u64_e64 s10, v[84:85], v[82:83]
	v_mov_b64_e32 v[82:83], v[16:17]
	s_and_saveexec_b32 s41, s10
; %bb.3508:                             ;   in Loop: Header=BB4_3452 Depth=2
	v_bfe_u32 v24, v16, 21, 1
	v_mov_b32_e32 v25, v39
	s_delay_alu instid0(VALU_DEP_1) | instskip(NEXT) | instid1(VALU_DEP_1)
	v_add_nc_u64_e32 v[24:25], v[16:17], v[24:25]
	v_add_nc_u64_e32 v[82:83], -1, v[24:25]
; %bb.3509:                             ;   in Loop: Header=BB4_3452 Depth=2
	s_or_b32 exec_lo, exec_lo, s41
	v_add_nc_u32_e32 v17, 0xffffff81, v20
	v_lshrrev_b32_e32 v20, 23, v16
	s_mov_b32 s10, exec_lo
	s_delay_alu instid0(VALU_DEP_2) | instskip(NEXT) | instid1(VALU_DEP_1)
	v_cndmask_b32_e64 v17, v17, 0xffffff82, vcc_lo
	v_add3_u32 v21, v21, v17, v20
	v_and_b32_e32 v17, 0x1fffff, v82
                                        ; implicit-def: $vgpr20
	s_delay_alu instid0(VALU_DEP_1) | instskip(NEXT) | instid1(VALU_DEP_1)
	v_dual_add_nc_u32 v82, 14, v21 :: v_dual_add_nc_u32 v38, v17, v16
                                        ; implicit-def: $vgpr16_vgpr17
	v_cmpx_ne_u32_e32 0, v82
	s_xor_b32 s10, exec_lo, s10
; %bb.3510:                             ;   in Loop: Header=BB4_3452 Depth=2
	s_delay_alu instid0(VALU_DEP_2) | instskip(SKIP_1) | instid1(VALU_DEP_1)
	v_cmp_lt_u64_e32 vcc_lo, 0xffffff, v[38:39]
	v_add_nc_u32_e32 v16, 15, v21
	v_cndmask_b32_e32 v20, v82, v16, vcc_lo
	v_cndmask_b32_e64 v16, 0, 1, vcc_lo
	s_delay_alu instid0(VALU_DEP_1)
	v_lshrrev_b64 v[16:17], v16, v[38:39]
; %bb.3511:                             ;   in Loop: Header=BB4_3452 Depth=2
	s_and_not1_saveexec_b32 s10, s10
; %bb.3512:                             ;   in Loop: Header=BB4_3452 Depth=2
	v_mov_b64_e32 v[16:17], v[38:39]
	v_bfe_u32 v20, v38, 23, 1
; %bb.3513:                             ;   in Loop: Header=BB4_3452 Depth=2
	s_or_b32 exec_lo, exec_lo, s10
	s_delay_alu instid0(VALU_DEP_2) | instskip(NEXT) | instid1(VALU_DEP_2)
	v_lshrrev_b64 v[16:17], 21, v[16:17]
	v_cmp_gt_i32_e32 vcc_lo, 32, v20
	v_cmp_ne_u32_e64 s10, 0, v20
                                        ; implicit-def: $vgpr58
	s_delay_alu instid0(VALU_DEP_3) | instskip(NEXT) | instid1(VALU_DEP_1)
	v_dual_cndmask_b32 v17, 0, v17 :: v_dual_cndmask_b32 v16, 3, v16
	v_cmp_ne_u64_e32 vcc_lo, 0, v[16:17]
	s_or_b32 s10, s10, vcc_lo
	s_delay_alu instid0(SALU_CYCLE_1) | instskip(NEXT) | instid1(SALU_CYCLE_1)
	s_and_saveexec_b32 s41, s10
	s_xor_b32 s10, exec_lo, s41
; %bb.3514:                             ;   in Loop: Header=BB4_3452 Depth=2
	v_min_i32_e32 v17, 31, v20
	s_delay_alu instid0(VALU_DEP_1) | instskip(NEXT) | instid1(VALU_DEP_1)
	v_lshl_or_b32 v2, v17, 2, v2
	v_and_or_b32 v58, v16, 3, v2
                                        ; implicit-def: $vgpr2
; %bb.3515:                             ;   in Loop: Header=BB4_3452 Depth=2
	s_and_not1_saveexec_b32 s10, s10
; %bb.3516:                             ;   in Loop: Header=BB4_3452 Depth=2
	v_mov_b32_e32 v58, v2
; %bb.3517:                             ;   in Loop: Header=BB4_3452 Depth=2
	s_or_b32 exec_lo, exec_lo, s10
.LBB4_3518:                             ;   in Loop: Header=BB4_3452 Depth=2
	s_delay_alu instid0(SALU_CYCLE_1)
	s_or_b32 exec_lo, exec_lo, s40
                                        ; implicit-def: $vgpr2
.LBB4_3519:                             ;   in Loop: Header=BB4_3452 Depth=2
	s_and_not1_saveexec_b32 s10, s29
; %bb.3520:                             ;   in Loop: Header=BB4_3452 Depth=2
	v_or_b32_e32 v58, 0x7b, v2
; %bb.3521:                             ;   in Loop: Header=BB4_3452 Depth=2
	s_or_b32 exec_lo, exec_lo, s10
                                        ; implicit-def: $vgpr16
.LBB4_3522:                             ;   in Loop: Header=BB4_3452 Depth=2
	s_and_not1_saveexec_b32 s10, s11
	s_cbranch_execz .LBB4_3528
; %bb.3523:                             ;   in Loop: Header=BB4_3452 Depth=2
	s_mov_b32 s11, exec_lo
                                        ; implicit-def: $vgpr58
	v_cmpx_ne_u64_e32 0, v[38:39]
	s_xor_b32 s11, exec_lo, s11
; %bb.3524:                             ;   in Loop: Header=BB4_3452 Depth=2
	v_lshrrev_b32_e32 v2, 24, v16
                                        ; implicit-def: $vgpr16
	s_delay_alu instid0(VALU_DEP_1)
	v_or_b32_e32 v58, 0x7f, v2
; %bb.3525:                             ;   in Loop: Header=BB4_3452 Depth=2
	s_and_not1_saveexec_b32 s11, s11
; %bb.3526:                             ;   in Loop: Header=BB4_3452 Depth=2
	v_cmp_lt_i32_e32 vcc_lo, -1, v16
	v_cndmask_b32_e64 v58, -4, 0x7c, vcc_lo
; %bb.3527:                             ;   in Loop: Header=BB4_3452 Depth=2
	s_or_b32 exec_lo, exec_lo, s11
.LBB4_3528:                             ;   in Loop: Header=BB4_3452 Depth=2
	s_delay_alu instid0(SALU_CYCLE_1)
	s_or_b32 exec_lo, exec_lo, s10
	flat_load_i8 v16, v[10:11] offset:64 th:TH_LOAD_NT
	v_mov_b32_e32 v17, 0
	s_mov_b32 s10, exec_lo
	s_wait_loadcnt_dscnt 0x0
	v_cmpx_ne_u16_e32 0, v16
	s_cbranch_execz .LBB4_3538
; %bb.3529:                             ;   in Loop: Header=BB4_3452 Depth=2
	v_bfrev_b32_e32 v17, 1
	s_mov_b32 s11, exec_lo
	v_cmpx_ne_u16_e32 0xff80, v16
	s_cbranch_execz .LBB4_3537
; %bb.3530:                             ;   in Loop: Header=BB4_3452 Depth=2
	v_and_b32_e32 v17, 0x7c, v16
	v_and_b32_e32 v2, 3, v16
	s_delay_alu instid0(VALU_DEP_2) | instskip(SKIP_1) | instid1(SALU_CYCLE_1)
	v_cmp_ne_u32_e32 vcc_lo, 0x7c, v17
                                        ; implicit-def: $vgpr17
	s_and_saveexec_b32 s29, vcc_lo
	s_xor_b32 s29, exec_lo, s29
	s_cbranch_execz .LBB4_3534
; %bb.3531:                             ;   in Loop: Header=BB4_3452 Depth=2
	v_and_b32_e32 v17, 0xff, v16
	s_mov_b32 s40, exec_lo
	s_delay_alu instid0(VALU_DEP_1) | instskip(NEXT) | instid1(VALU_DEP_1)
	v_bfe_u32 v17, v17, 2, 5
	v_cmpx_eq_u32_e32 0, v17
; %bb.3532:                             ;   in Loop: Header=BB4_3452 Depth=2
	v_clz_i32_u32_e32 v2, v2
	v_mov_b32_e32 v17, v39
	s_delay_alu instid0(VALU_DEP_2) | instskip(NEXT) | instid1(VALU_DEP_1)
	v_min_u32_e32 v2, 32, v2
	v_subrev_nc_u32_e32 v20, 29, v2
	s_delay_alu instid0(VALU_DEP_1) | instskip(NEXT) | instid1(VALU_DEP_1)
	v_lshlrev_b64_e32 v[20:21], v20, v[16:17]
	v_dual_sub_nc_u32 v17, 30, v2 :: v_dual_bitop2_b32 v2, 3, v20 bitop3:0x40
; %bb.3533:                             ;   in Loop: Header=BB4_3452 Depth=2
	s_or_b32 exec_lo, exec_lo, s40
	v_bfe_i32 v16, v16, 0, 16
	s_delay_alu instid0(VALU_DEP_1) | instskip(NEXT) | instid1(VALU_DEP_1)
	v_and_b32_e32 v16, 0x80000000, v16
	v_lshl_add_u32 v16, v17, 23, v16
	s_delay_alu instid0(VALU_DEP_1) | instskip(NEXT) | instid1(VALU_DEP_1)
	v_lshl_or_b32 v2, v2, 21, v16
                                        ; implicit-def: $vgpr16
	v_add_nc_u32_e32 v17, 0x38000000, v2
                                        ; implicit-def: $vgpr2
.LBB4_3534:                             ;   in Loop: Header=BB4_3452 Depth=2
	s_and_not1_saveexec_b32 s29, s29
; %bb.3535:                             ;   in Loop: Header=BB4_3452 Depth=2
	v_cmp_lt_i16_e32 vcc_lo, -1, v16
	v_cndmask_b32_e32 v16, 0xff800000, v126, vcc_lo
	v_cmp_eq_u32_e32 vcc_lo, 0, v2
	s_delay_alu instid0(VALU_DEP_2)
	v_cndmask_b32_e32 v17, 0x7f800001, v16, vcc_lo
; %bb.3536:                             ;   in Loop: Header=BB4_3452 Depth=2
	s_or_b32 exec_lo, exec_lo, s29
.LBB4_3537:                             ;   in Loop: Header=BB4_3452 Depth=2
	s_delay_alu instid0(SALU_CYCLE_1)
	s_or_b32 exec_lo, exec_lo, s11
.LBB4_3538:                             ;   in Loop: Header=BB4_3452 Depth=2
	s_delay_alu instid0(SALU_CYCLE_1) | instskip(NEXT) | instid1(VALU_DEP_1)
	s_or_b32 exec_lo, exec_lo, s10
	v_dual_mul_f32 v16, s28, v17 :: v_dual_mov_b32 v21, v39
                                        ; implicit-def: $vgpr56
	s_mov_b32 s10, exec_lo
	s_delay_alu instid0(VALU_DEP_1) | instskip(SKIP_1) | instid1(VALU_DEP_2)
	v_and_b32_e32 v20, 0x7f800000, v16
	v_and_b32_e32 v38, 0x7fffff, v16
	v_cmpx_ne_u64_e32 0x7f800000, v[20:21]
	s_xor_b32 s11, exec_lo, s10
	s_cbranch_execz .LBB4_3556
; %bb.3539:                             ;   in Loop: Header=BB4_3452 Depth=2
	v_dual_mov_b32 v21, v39 :: v_dual_lshrrev_b32 v2, 24, v16
	v_and_b32_e32 v20, 0x7fffffff, v16
                                        ; implicit-def: $vgpr56
	s_mov_b32 s10, exec_lo
	s_delay_alu instid0(VALU_DEP_2) | instskip(NEXT) | instid1(VALU_DEP_2)
	v_and_b32_e32 v2, 0x80, v2
	v_cmpx_gt_u64_e32 0x47600001, v[20:21]
	s_xor_b32 s29, exec_lo, s10
	s_cbranch_execz .LBB4_3553
; %bb.3540:                             ;   in Loop: Header=BB4_3452 Depth=2
	v_mov_b32_e32 v56, 0
	s_mov_b32 s40, exec_lo
	v_cmpx_ne_u32_e32 0, v16
	s_cbranch_execz .LBB4_3552
; %bb.3541:                             ;   in Loop: Header=BB4_3452 Depth=2
	v_bfe_u32 v20, v16, 23, 8
	v_or_b32_e32 v24, 0x800000, v38
	s_delay_alu instid0(VALU_DEP_2) | instskip(SKIP_1) | instid1(VALU_DEP_2)
	v_dual_mov_b32 v25, v39 :: v_dual_sub_nc_u32 v16, 0x71, v20
	v_cmp_gt_u32_e32 vcc_lo, 0x72, v20
	v_cndmask_b32_e32 v16, 0, v16, vcc_lo
	v_cmp_eq_u32_e32 vcc_lo, 0, v20
	s_delay_alu instid0(VALU_DEP_2) | instskip(NEXT) | instid1(VALU_DEP_1)
	v_cndmask_b32_e64 v21, v16, 0x70, vcc_lo
	v_dual_cndmask_b32 v24, v24, v38, vcc_lo :: v_dual_add_nc_u32 v16, 21, v21
	v_add_nc_u32_e32 v31, 20, v21
	s_delay_alu instid0(VALU_DEP_2) | instskip(NEXT) | instid1(VALU_DEP_2)
	v_lshlrev_b64_e64 v[16:17], v16, -1
	v_lshlrev_b64_e64 v[82:83], v31, 1
	s_delay_alu instid0(VALU_DEP_2) | instskip(NEXT) | instid1(VALU_DEP_3)
	v_bfi_b32 v85, v17, 0, 0
	v_bfi_b32 v84, v16, 0, v24
	v_lshrrev_b64 v[16:17], v21, v[24:25]
	s_delay_alu instid0(VALU_DEP_2) | instskip(NEXT) | instid1(VALU_DEP_2)
	v_cmp_eq_u64_e64 s10, v[84:85], v[82:83]
	v_mov_b64_e32 v[82:83], v[16:17]
	s_and_saveexec_b32 s41, s10
; %bb.3542:                             ;   in Loop: Header=BB4_3452 Depth=2
	v_bfe_u32 v24, v16, 21, 1
	v_mov_b32_e32 v25, v39
	s_delay_alu instid0(VALU_DEP_1) | instskip(NEXT) | instid1(VALU_DEP_1)
	v_add_nc_u64_e32 v[24:25], v[16:17], v[24:25]
	v_add_nc_u64_e32 v[82:83], -1, v[24:25]
; %bb.3543:                             ;   in Loop: Header=BB4_3452 Depth=2
	s_or_b32 exec_lo, exec_lo, s41
	v_add_nc_u32_e32 v17, 0xffffff81, v20
	v_lshrrev_b32_e32 v20, 23, v16
	s_mov_b32 s10, exec_lo
	s_delay_alu instid0(VALU_DEP_2) | instskip(NEXT) | instid1(VALU_DEP_1)
	v_cndmask_b32_e64 v17, v17, 0xffffff82, vcc_lo
	v_add3_u32 v21, v21, v17, v20
	v_and_b32_e32 v17, 0x1fffff, v82
                                        ; implicit-def: $vgpr20
	s_delay_alu instid0(VALU_DEP_1) | instskip(NEXT) | instid1(VALU_DEP_1)
	v_dual_add_nc_u32 v82, 14, v21 :: v_dual_add_nc_u32 v38, v17, v16
                                        ; implicit-def: $vgpr16_vgpr17
	v_cmpx_ne_u32_e32 0, v82
	s_xor_b32 s10, exec_lo, s10
; %bb.3544:                             ;   in Loop: Header=BB4_3452 Depth=2
	s_delay_alu instid0(VALU_DEP_2) | instskip(SKIP_1) | instid1(VALU_DEP_1)
	v_cmp_lt_u64_e32 vcc_lo, 0xffffff, v[38:39]
	v_add_nc_u32_e32 v16, 15, v21
	v_cndmask_b32_e32 v20, v82, v16, vcc_lo
	v_cndmask_b32_e64 v16, 0, 1, vcc_lo
	s_delay_alu instid0(VALU_DEP_1)
	v_lshrrev_b64 v[16:17], v16, v[38:39]
; %bb.3545:                             ;   in Loop: Header=BB4_3452 Depth=2
	s_and_not1_saveexec_b32 s10, s10
; %bb.3546:                             ;   in Loop: Header=BB4_3452 Depth=2
	v_mov_b64_e32 v[16:17], v[38:39]
	v_bfe_u32 v20, v38, 23, 1
; %bb.3547:                             ;   in Loop: Header=BB4_3452 Depth=2
	s_or_b32 exec_lo, exec_lo, s10
	s_delay_alu instid0(VALU_DEP_2) | instskip(NEXT) | instid1(VALU_DEP_2)
	v_lshrrev_b64 v[16:17], 21, v[16:17]
	v_cmp_gt_i32_e32 vcc_lo, 32, v20
	v_cmp_ne_u32_e64 s10, 0, v20
                                        ; implicit-def: $vgpr56
	s_delay_alu instid0(VALU_DEP_3) | instskip(NEXT) | instid1(VALU_DEP_1)
	v_dual_cndmask_b32 v17, 0, v17 :: v_dual_cndmask_b32 v16, 3, v16
	v_cmp_ne_u64_e32 vcc_lo, 0, v[16:17]
	s_or_b32 s10, s10, vcc_lo
	s_delay_alu instid0(SALU_CYCLE_1) | instskip(NEXT) | instid1(SALU_CYCLE_1)
	s_and_saveexec_b32 s41, s10
	s_xor_b32 s10, exec_lo, s41
; %bb.3548:                             ;   in Loop: Header=BB4_3452 Depth=2
	v_min_i32_e32 v17, 31, v20
	s_delay_alu instid0(VALU_DEP_1) | instskip(NEXT) | instid1(VALU_DEP_1)
	v_lshl_or_b32 v2, v17, 2, v2
	v_and_or_b32 v56, v16, 3, v2
                                        ; implicit-def: $vgpr2
; %bb.3549:                             ;   in Loop: Header=BB4_3452 Depth=2
	s_and_not1_saveexec_b32 s10, s10
; %bb.3550:                             ;   in Loop: Header=BB4_3452 Depth=2
	v_mov_b32_e32 v56, v2
; %bb.3551:                             ;   in Loop: Header=BB4_3452 Depth=2
	s_or_b32 exec_lo, exec_lo, s10
.LBB4_3552:                             ;   in Loop: Header=BB4_3452 Depth=2
	s_delay_alu instid0(SALU_CYCLE_1)
	s_or_b32 exec_lo, exec_lo, s40
                                        ; implicit-def: $vgpr2
.LBB4_3553:                             ;   in Loop: Header=BB4_3452 Depth=2
	s_and_not1_saveexec_b32 s10, s29
; %bb.3554:                             ;   in Loop: Header=BB4_3452 Depth=2
	v_or_b32_e32 v56, 0x7b, v2
; %bb.3555:                             ;   in Loop: Header=BB4_3452 Depth=2
	s_or_b32 exec_lo, exec_lo, s10
                                        ; implicit-def: $vgpr16
.LBB4_3556:                             ;   in Loop: Header=BB4_3452 Depth=2
	s_and_not1_saveexec_b32 s10, s11
	s_cbranch_execz .LBB4_3562
; %bb.3557:                             ;   in Loop: Header=BB4_3452 Depth=2
	s_mov_b32 s11, exec_lo
                                        ; implicit-def: $vgpr56
	v_cmpx_ne_u64_e32 0, v[38:39]
	s_xor_b32 s11, exec_lo, s11
; %bb.3558:                             ;   in Loop: Header=BB4_3452 Depth=2
	v_lshrrev_b32_e32 v2, 24, v16
                                        ; implicit-def: $vgpr16
	s_delay_alu instid0(VALU_DEP_1)
	v_or_b32_e32 v56, 0x7f, v2
; %bb.3559:                             ;   in Loop: Header=BB4_3452 Depth=2
	s_and_not1_saveexec_b32 s11, s11
; %bb.3560:                             ;   in Loop: Header=BB4_3452 Depth=2
	v_cmp_lt_i32_e32 vcc_lo, -1, v16
	v_cndmask_b32_e64 v56, -4, 0x7c, vcc_lo
; %bb.3561:                             ;   in Loop: Header=BB4_3452 Depth=2
	s_or_b32 exec_lo, exec_lo, s11
.LBB4_3562:                             ;   in Loop: Header=BB4_3452 Depth=2
	s_delay_alu instid0(SALU_CYCLE_1)
	s_or_b32 exec_lo, exec_lo, s10
	flat_load_i8 v16, v[10:11] offset:96 th:TH_LOAD_NT
	v_mov_b32_e32 v17, 0
	s_mov_b32 s10, exec_lo
	s_wait_loadcnt_dscnt 0x0
	v_cmpx_ne_u16_e32 0, v16
	s_cbranch_execz .LBB4_3572
; %bb.3563:                             ;   in Loop: Header=BB4_3452 Depth=2
	v_bfrev_b32_e32 v17, 1
	s_mov_b32 s11, exec_lo
	v_cmpx_ne_u16_e32 0xff80, v16
	s_cbranch_execz .LBB4_3571
; %bb.3564:                             ;   in Loop: Header=BB4_3452 Depth=2
	v_and_b32_e32 v17, 0x7c, v16
	v_and_b32_e32 v2, 3, v16
	s_delay_alu instid0(VALU_DEP_2) | instskip(SKIP_1) | instid1(SALU_CYCLE_1)
	v_cmp_ne_u32_e32 vcc_lo, 0x7c, v17
                                        ; implicit-def: $vgpr17
	s_and_saveexec_b32 s29, vcc_lo
	s_xor_b32 s29, exec_lo, s29
	s_cbranch_execz .LBB4_3568
; %bb.3565:                             ;   in Loop: Header=BB4_3452 Depth=2
	v_and_b32_e32 v17, 0xff, v16
	s_mov_b32 s40, exec_lo
	s_delay_alu instid0(VALU_DEP_1) | instskip(NEXT) | instid1(VALU_DEP_1)
	v_bfe_u32 v17, v17, 2, 5
	v_cmpx_eq_u32_e32 0, v17
; %bb.3566:                             ;   in Loop: Header=BB4_3452 Depth=2
	v_clz_i32_u32_e32 v2, v2
	v_mov_b32_e32 v17, v39
	s_delay_alu instid0(VALU_DEP_2) | instskip(NEXT) | instid1(VALU_DEP_1)
	v_min_u32_e32 v2, 32, v2
	v_subrev_nc_u32_e32 v20, 29, v2
	s_delay_alu instid0(VALU_DEP_1) | instskip(NEXT) | instid1(VALU_DEP_1)
	v_lshlrev_b64_e32 v[20:21], v20, v[16:17]
	v_dual_sub_nc_u32 v17, 30, v2 :: v_dual_bitop2_b32 v2, 3, v20 bitop3:0x40
; %bb.3567:                             ;   in Loop: Header=BB4_3452 Depth=2
	s_or_b32 exec_lo, exec_lo, s40
	v_bfe_i32 v16, v16, 0, 16
	s_delay_alu instid0(VALU_DEP_1) | instskip(NEXT) | instid1(VALU_DEP_1)
	v_and_b32_e32 v16, 0x80000000, v16
	v_lshl_add_u32 v16, v17, 23, v16
	s_delay_alu instid0(VALU_DEP_1) | instskip(NEXT) | instid1(VALU_DEP_1)
	v_lshl_or_b32 v2, v2, 21, v16
                                        ; implicit-def: $vgpr16
	v_add_nc_u32_e32 v17, 0x38000000, v2
                                        ; implicit-def: $vgpr2
.LBB4_3568:                             ;   in Loop: Header=BB4_3452 Depth=2
	s_and_not1_saveexec_b32 s29, s29
; %bb.3569:                             ;   in Loop: Header=BB4_3452 Depth=2
	v_cmp_lt_i16_e32 vcc_lo, -1, v16
	v_cndmask_b32_e32 v16, 0xff800000, v126, vcc_lo
	v_cmp_eq_u32_e32 vcc_lo, 0, v2
	s_delay_alu instid0(VALU_DEP_2)
	v_cndmask_b32_e32 v17, 0x7f800001, v16, vcc_lo
; %bb.3570:                             ;   in Loop: Header=BB4_3452 Depth=2
	s_or_b32 exec_lo, exec_lo, s29
.LBB4_3571:                             ;   in Loop: Header=BB4_3452 Depth=2
	s_delay_alu instid0(SALU_CYCLE_1)
	s_or_b32 exec_lo, exec_lo, s11
.LBB4_3572:                             ;   in Loop: Header=BB4_3452 Depth=2
	s_delay_alu instid0(SALU_CYCLE_1) | instskip(NEXT) | instid1(VALU_DEP_1)
	s_or_b32 exec_lo, exec_lo, s10
	v_dual_mul_f32 v16, s28, v17 :: v_dual_mov_b32 v21, v39
                                        ; implicit-def: $vgpr46
	s_mov_b32 s10, exec_lo
	s_delay_alu instid0(VALU_DEP_1) | instskip(SKIP_1) | instid1(VALU_DEP_2)
	v_and_b32_e32 v20, 0x7f800000, v16
	v_and_b32_e32 v38, 0x7fffff, v16
	v_cmpx_ne_u64_e32 0x7f800000, v[20:21]
	s_xor_b32 s11, exec_lo, s10
	s_cbranch_execz .LBB4_3590
; %bb.3573:                             ;   in Loop: Header=BB4_3452 Depth=2
	v_dual_mov_b32 v21, v39 :: v_dual_lshrrev_b32 v2, 24, v16
	v_and_b32_e32 v20, 0x7fffffff, v16
                                        ; implicit-def: $vgpr46
	s_mov_b32 s10, exec_lo
	s_delay_alu instid0(VALU_DEP_2) | instskip(NEXT) | instid1(VALU_DEP_2)
	v_and_b32_e32 v2, 0x80, v2
	v_cmpx_gt_u64_e32 0x47600001, v[20:21]
	s_xor_b32 s29, exec_lo, s10
	s_cbranch_execz .LBB4_3587
; %bb.3574:                             ;   in Loop: Header=BB4_3452 Depth=2
	v_mov_b32_e32 v46, 0
	s_mov_b32 s40, exec_lo
	v_cmpx_ne_u32_e32 0, v16
	s_cbranch_execz .LBB4_3586
; %bb.3575:                             ;   in Loop: Header=BB4_3452 Depth=2
	v_bfe_u32 v20, v16, 23, 8
	v_or_b32_e32 v24, 0x800000, v38
	s_delay_alu instid0(VALU_DEP_2) | instskip(SKIP_1) | instid1(VALU_DEP_2)
	v_dual_mov_b32 v25, v39 :: v_dual_sub_nc_u32 v16, 0x71, v20
	v_cmp_gt_u32_e32 vcc_lo, 0x72, v20
	v_cndmask_b32_e32 v16, 0, v16, vcc_lo
	v_cmp_eq_u32_e32 vcc_lo, 0, v20
	s_delay_alu instid0(VALU_DEP_2) | instskip(NEXT) | instid1(VALU_DEP_1)
	v_cndmask_b32_e64 v21, v16, 0x70, vcc_lo
	v_dual_cndmask_b32 v24, v24, v38, vcc_lo :: v_dual_add_nc_u32 v16, 21, v21
	v_add_nc_u32_e32 v31, 20, v21
	s_delay_alu instid0(VALU_DEP_2) | instskip(NEXT) | instid1(VALU_DEP_2)
	v_lshlrev_b64_e64 v[16:17], v16, -1
	v_lshlrev_b64_e64 v[82:83], v31, 1
	s_delay_alu instid0(VALU_DEP_2) | instskip(NEXT) | instid1(VALU_DEP_3)
	v_bfi_b32 v85, v17, 0, 0
	v_bfi_b32 v84, v16, 0, v24
	v_lshrrev_b64 v[16:17], v21, v[24:25]
	s_delay_alu instid0(VALU_DEP_2) | instskip(NEXT) | instid1(VALU_DEP_2)
	v_cmp_eq_u64_e64 s10, v[84:85], v[82:83]
	v_mov_b64_e32 v[82:83], v[16:17]
	s_and_saveexec_b32 s41, s10
; %bb.3576:                             ;   in Loop: Header=BB4_3452 Depth=2
	v_bfe_u32 v24, v16, 21, 1
	v_mov_b32_e32 v25, v39
	s_delay_alu instid0(VALU_DEP_1) | instskip(NEXT) | instid1(VALU_DEP_1)
	v_add_nc_u64_e32 v[24:25], v[16:17], v[24:25]
	v_add_nc_u64_e32 v[82:83], -1, v[24:25]
; %bb.3577:                             ;   in Loop: Header=BB4_3452 Depth=2
	s_or_b32 exec_lo, exec_lo, s41
	v_add_nc_u32_e32 v17, 0xffffff81, v20
	v_lshrrev_b32_e32 v20, 23, v16
	s_mov_b32 s10, exec_lo
	s_delay_alu instid0(VALU_DEP_2) | instskip(NEXT) | instid1(VALU_DEP_1)
	v_cndmask_b32_e64 v17, v17, 0xffffff82, vcc_lo
	v_add3_u32 v21, v21, v17, v20
	v_and_b32_e32 v17, 0x1fffff, v82
                                        ; implicit-def: $vgpr20
	s_delay_alu instid0(VALU_DEP_1) | instskip(NEXT) | instid1(VALU_DEP_1)
	v_dual_add_nc_u32 v82, 14, v21 :: v_dual_add_nc_u32 v38, v17, v16
                                        ; implicit-def: $vgpr16_vgpr17
	v_cmpx_ne_u32_e32 0, v82
	s_xor_b32 s10, exec_lo, s10
; %bb.3578:                             ;   in Loop: Header=BB4_3452 Depth=2
	s_delay_alu instid0(VALU_DEP_2) | instskip(SKIP_1) | instid1(VALU_DEP_1)
	v_cmp_lt_u64_e32 vcc_lo, 0xffffff, v[38:39]
	v_add_nc_u32_e32 v16, 15, v21
	v_cndmask_b32_e32 v20, v82, v16, vcc_lo
	v_cndmask_b32_e64 v16, 0, 1, vcc_lo
	s_delay_alu instid0(VALU_DEP_1)
	v_lshrrev_b64 v[16:17], v16, v[38:39]
; %bb.3579:                             ;   in Loop: Header=BB4_3452 Depth=2
	s_and_not1_saveexec_b32 s10, s10
; %bb.3580:                             ;   in Loop: Header=BB4_3452 Depth=2
	v_mov_b64_e32 v[16:17], v[38:39]
	v_bfe_u32 v20, v38, 23, 1
; %bb.3581:                             ;   in Loop: Header=BB4_3452 Depth=2
	s_or_b32 exec_lo, exec_lo, s10
	s_delay_alu instid0(VALU_DEP_2) | instskip(NEXT) | instid1(VALU_DEP_2)
	v_lshrrev_b64 v[16:17], 21, v[16:17]
	v_cmp_gt_i32_e32 vcc_lo, 32, v20
	v_cmp_ne_u32_e64 s10, 0, v20
                                        ; implicit-def: $vgpr46
	s_delay_alu instid0(VALU_DEP_3) | instskip(NEXT) | instid1(VALU_DEP_1)
	v_dual_cndmask_b32 v17, 0, v17 :: v_dual_cndmask_b32 v16, 3, v16
	v_cmp_ne_u64_e32 vcc_lo, 0, v[16:17]
	s_or_b32 s10, s10, vcc_lo
	s_delay_alu instid0(SALU_CYCLE_1) | instskip(NEXT) | instid1(SALU_CYCLE_1)
	s_and_saveexec_b32 s41, s10
	s_xor_b32 s10, exec_lo, s41
; %bb.3582:                             ;   in Loop: Header=BB4_3452 Depth=2
	v_min_i32_e32 v17, 31, v20
	s_delay_alu instid0(VALU_DEP_1) | instskip(NEXT) | instid1(VALU_DEP_1)
	v_lshl_or_b32 v2, v17, 2, v2
	v_and_or_b32 v46, v16, 3, v2
                                        ; implicit-def: $vgpr2
; %bb.3583:                             ;   in Loop: Header=BB4_3452 Depth=2
	s_and_not1_saveexec_b32 s10, s10
; %bb.3584:                             ;   in Loop: Header=BB4_3452 Depth=2
	v_mov_b32_e32 v46, v2
; %bb.3585:                             ;   in Loop: Header=BB4_3452 Depth=2
	s_or_b32 exec_lo, exec_lo, s10
.LBB4_3586:                             ;   in Loop: Header=BB4_3452 Depth=2
	s_delay_alu instid0(SALU_CYCLE_1)
	s_or_b32 exec_lo, exec_lo, s40
                                        ; implicit-def: $vgpr2
.LBB4_3587:                             ;   in Loop: Header=BB4_3452 Depth=2
	s_and_not1_saveexec_b32 s10, s29
; %bb.3588:                             ;   in Loop: Header=BB4_3452 Depth=2
	v_or_b32_e32 v46, 0x7b, v2
; %bb.3589:                             ;   in Loop: Header=BB4_3452 Depth=2
	s_or_b32 exec_lo, exec_lo, s10
                                        ; implicit-def: $vgpr16
.LBB4_3590:                             ;   in Loop: Header=BB4_3452 Depth=2
	s_and_not1_saveexec_b32 s10, s11
	s_cbranch_execz .LBB4_3596
; %bb.3591:                             ;   in Loop: Header=BB4_3452 Depth=2
	s_mov_b32 s11, exec_lo
                                        ; implicit-def: $vgpr46
	v_cmpx_ne_u64_e32 0, v[38:39]
	s_xor_b32 s11, exec_lo, s11
; %bb.3592:                             ;   in Loop: Header=BB4_3452 Depth=2
	v_lshrrev_b32_e32 v2, 24, v16
                                        ; implicit-def: $vgpr16
	s_delay_alu instid0(VALU_DEP_1)
	v_or_b32_e32 v46, 0x7f, v2
; %bb.3593:                             ;   in Loop: Header=BB4_3452 Depth=2
	s_and_not1_saveexec_b32 s11, s11
; %bb.3594:                             ;   in Loop: Header=BB4_3452 Depth=2
	v_cmp_lt_i32_e32 vcc_lo, -1, v16
	v_cndmask_b32_e64 v46, -4, 0x7c, vcc_lo
; %bb.3595:                             ;   in Loop: Header=BB4_3452 Depth=2
	s_or_b32 exec_lo, exec_lo, s11
.LBB4_3596:                             ;   in Loop: Header=BB4_3452 Depth=2
	s_delay_alu instid0(SALU_CYCLE_1)
	s_or_b32 exec_lo, exec_lo, s10
	flat_load_i8 v16, v[10:11] offset:128 th:TH_LOAD_NT
	v_mov_b32_e32 v17, 0
	s_mov_b32 s10, exec_lo
	s_wait_loadcnt_dscnt 0x0
	v_cmpx_ne_u16_e32 0, v16
	s_cbranch_execz .LBB4_3606
; %bb.3597:                             ;   in Loop: Header=BB4_3452 Depth=2
	v_bfrev_b32_e32 v17, 1
	s_mov_b32 s11, exec_lo
	v_cmpx_ne_u16_e32 0xff80, v16
	s_cbranch_execz .LBB4_3605
; %bb.3598:                             ;   in Loop: Header=BB4_3452 Depth=2
	v_and_b32_e32 v17, 0x7c, v16
	v_and_b32_e32 v2, 3, v16
	s_delay_alu instid0(VALU_DEP_2) | instskip(SKIP_1) | instid1(SALU_CYCLE_1)
	v_cmp_ne_u32_e32 vcc_lo, 0x7c, v17
                                        ; implicit-def: $vgpr17
	s_and_saveexec_b32 s29, vcc_lo
	s_xor_b32 s29, exec_lo, s29
	s_cbranch_execz .LBB4_3602
; %bb.3599:                             ;   in Loop: Header=BB4_3452 Depth=2
	v_and_b32_e32 v17, 0xff, v16
	s_mov_b32 s40, exec_lo
	s_delay_alu instid0(VALU_DEP_1) | instskip(NEXT) | instid1(VALU_DEP_1)
	v_bfe_u32 v17, v17, 2, 5
	v_cmpx_eq_u32_e32 0, v17
; %bb.3600:                             ;   in Loop: Header=BB4_3452 Depth=2
	v_clz_i32_u32_e32 v2, v2
	v_mov_b32_e32 v17, v39
	s_delay_alu instid0(VALU_DEP_2) | instskip(NEXT) | instid1(VALU_DEP_1)
	v_min_u32_e32 v2, 32, v2
	v_subrev_nc_u32_e32 v20, 29, v2
	s_delay_alu instid0(VALU_DEP_1) | instskip(NEXT) | instid1(VALU_DEP_1)
	v_lshlrev_b64_e32 v[20:21], v20, v[16:17]
	v_dual_sub_nc_u32 v17, 30, v2 :: v_dual_bitop2_b32 v2, 3, v20 bitop3:0x40
; %bb.3601:                             ;   in Loop: Header=BB4_3452 Depth=2
	s_or_b32 exec_lo, exec_lo, s40
	v_bfe_i32 v16, v16, 0, 16
	s_delay_alu instid0(VALU_DEP_1) | instskip(NEXT) | instid1(VALU_DEP_1)
	v_and_b32_e32 v16, 0x80000000, v16
	v_lshl_add_u32 v16, v17, 23, v16
	s_delay_alu instid0(VALU_DEP_1) | instskip(NEXT) | instid1(VALU_DEP_1)
	v_lshl_or_b32 v2, v2, 21, v16
                                        ; implicit-def: $vgpr16
	v_add_nc_u32_e32 v17, 0x38000000, v2
                                        ; implicit-def: $vgpr2
.LBB4_3602:                             ;   in Loop: Header=BB4_3452 Depth=2
	s_and_not1_saveexec_b32 s29, s29
; %bb.3603:                             ;   in Loop: Header=BB4_3452 Depth=2
	v_cmp_lt_i16_e32 vcc_lo, -1, v16
	v_cndmask_b32_e32 v16, 0xff800000, v126, vcc_lo
	v_cmp_eq_u32_e32 vcc_lo, 0, v2
	s_delay_alu instid0(VALU_DEP_2)
	v_cndmask_b32_e32 v17, 0x7f800001, v16, vcc_lo
; %bb.3604:                             ;   in Loop: Header=BB4_3452 Depth=2
	s_or_b32 exec_lo, exec_lo, s29
.LBB4_3605:                             ;   in Loop: Header=BB4_3452 Depth=2
	s_delay_alu instid0(SALU_CYCLE_1)
	s_or_b32 exec_lo, exec_lo, s11
.LBB4_3606:                             ;   in Loop: Header=BB4_3452 Depth=2
	s_delay_alu instid0(SALU_CYCLE_1) | instskip(NEXT) | instid1(VALU_DEP_1)
	s_or_b32 exec_lo, exec_lo, s10
	v_dual_mul_f32 v16, s28, v17 :: v_dual_mov_b32 v21, v39
                                        ; implicit-def: $vgpr44
	s_mov_b32 s10, exec_lo
	s_delay_alu instid0(VALU_DEP_1) | instskip(SKIP_1) | instid1(VALU_DEP_2)
	v_and_b32_e32 v20, 0x7f800000, v16
	v_and_b32_e32 v38, 0x7fffff, v16
	v_cmpx_ne_u64_e32 0x7f800000, v[20:21]
	s_xor_b32 s11, exec_lo, s10
	s_cbranch_execz .LBB4_3624
; %bb.3607:                             ;   in Loop: Header=BB4_3452 Depth=2
	v_dual_mov_b32 v21, v39 :: v_dual_lshrrev_b32 v2, 24, v16
	v_and_b32_e32 v20, 0x7fffffff, v16
                                        ; implicit-def: $vgpr44
	s_mov_b32 s10, exec_lo
	s_delay_alu instid0(VALU_DEP_2) | instskip(NEXT) | instid1(VALU_DEP_2)
	v_and_b32_e32 v2, 0x80, v2
	v_cmpx_gt_u64_e32 0x47600001, v[20:21]
	s_xor_b32 s29, exec_lo, s10
	s_cbranch_execz .LBB4_3621
; %bb.3608:                             ;   in Loop: Header=BB4_3452 Depth=2
	v_mov_b32_e32 v44, 0
	s_mov_b32 s40, exec_lo
	v_cmpx_ne_u32_e32 0, v16
	s_cbranch_execz .LBB4_3620
; %bb.3609:                             ;   in Loop: Header=BB4_3452 Depth=2
	v_bfe_u32 v20, v16, 23, 8
	v_or_b32_e32 v24, 0x800000, v38
	s_delay_alu instid0(VALU_DEP_2) | instskip(SKIP_1) | instid1(VALU_DEP_2)
	v_dual_mov_b32 v25, v39 :: v_dual_sub_nc_u32 v16, 0x71, v20
	v_cmp_gt_u32_e32 vcc_lo, 0x72, v20
	v_cndmask_b32_e32 v16, 0, v16, vcc_lo
	v_cmp_eq_u32_e32 vcc_lo, 0, v20
	s_delay_alu instid0(VALU_DEP_2) | instskip(NEXT) | instid1(VALU_DEP_1)
	v_cndmask_b32_e64 v21, v16, 0x70, vcc_lo
	v_dual_cndmask_b32 v24, v24, v38, vcc_lo :: v_dual_add_nc_u32 v16, 21, v21
	v_add_nc_u32_e32 v31, 20, v21
	s_delay_alu instid0(VALU_DEP_2) | instskip(NEXT) | instid1(VALU_DEP_2)
	v_lshlrev_b64_e64 v[16:17], v16, -1
	v_lshlrev_b64_e64 v[82:83], v31, 1
	s_delay_alu instid0(VALU_DEP_2) | instskip(NEXT) | instid1(VALU_DEP_3)
	v_bfi_b32 v85, v17, 0, 0
	v_bfi_b32 v84, v16, 0, v24
	v_lshrrev_b64 v[16:17], v21, v[24:25]
	s_delay_alu instid0(VALU_DEP_2) | instskip(NEXT) | instid1(VALU_DEP_2)
	v_cmp_eq_u64_e64 s10, v[84:85], v[82:83]
	v_mov_b64_e32 v[82:83], v[16:17]
	s_and_saveexec_b32 s41, s10
; %bb.3610:                             ;   in Loop: Header=BB4_3452 Depth=2
	v_bfe_u32 v24, v16, 21, 1
	v_mov_b32_e32 v25, v39
	s_delay_alu instid0(VALU_DEP_1) | instskip(NEXT) | instid1(VALU_DEP_1)
	v_add_nc_u64_e32 v[24:25], v[16:17], v[24:25]
	v_add_nc_u64_e32 v[82:83], -1, v[24:25]
; %bb.3611:                             ;   in Loop: Header=BB4_3452 Depth=2
	s_or_b32 exec_lo, exec_lo, s41
	v_add_nc_u32_e32 v17, 0xffffff81, v20
	v_lshrrev_b32_e32 v20, 23, v16
	s_mov_b32 s10, exec_lo
	s_delay_alu instid0(VALU_DEP_2) | instskip(NEXT) | instid1(VALU_DEP_1)
	v_cndmask_b32_e64 v17, v17, 0xffffff82, vcc_lo
	v_add3_u32 v21, v21, v17, v20
	v_and_b32_e32 v17, 0x1fffff, v82
                                        ; implicit-def: $vgpr20
	s_delay_alu instid0(VALU_DEP_1) | instskip(NEXT) | instid1(VALU_DEP_1)
	v_dual_add_nc_u32 v82, 14, v21 :: v_dual_add_nc_u32 v38, v17, v16
                                        ; implicit-def: $vgpr16_vgpr17
	v_cmpx_ne_u32_e32 0, v82
	s_xor_b32 s10, exec_lo, s10
; %bb.3612:                             ;   in Loop: Header=BB4_3452 Depth=2
	s_delay_alu instid0(VALU_DEP_2) | instskip(SKIP_1) | instid1(VALU_DEP_1)
	v_cmp_lt_u64_e32 vcc_lo, 0xffffff, v[38:39]
	v_add_nc_u32_e32 v16, 15, v21
	v_cndmask_b32_e32 v20, v82, v16, vcc_lo
	v_cndmask_b32_e64 v16, 0, 1, vcc_lo
	s_delay_alu instid0(VALU_DEP_1)
	v_lshrrev_b64 v[16:17], v16, v[38:39]
; %bb.3613:                             ;   in Loop: Header=BB4_3452 Depth=2
	s_and_not1_saveexec_b32 s10, s10
; %bb.3614:                             ;   in Loop: Header=BB4_3452 Depth=2
	v_mov_b64_e32 v[16:17], v[38:39]
	v_bfe_u32 v20, v38, 23, 1
; %bb.3615:                             ;   in Loop: Header=BB4_3452 Depth=2
	s_or_b32 exec_lo, exec_lo, s10
	s_delay_alu instid0(VALU_DEP_2) | instskip(NEXT) | instid1(VALU_DEP_2)
	v_lshrrev_b64 v[16:17], 21, v[16:17]
	v_cmp_gt_i32_e32 vcc_lo, 32, v20
	v_cmp_ne_u32_e64 s10, 0, v20
                                        ; implicit-def: $vgpr44
	s_delay_alu instid0(VALU_DEP_3) | instskip(NEXT) | instid1(VALU_DEP_1)
	v_dual_cndmask_b32 v17, 0, v17 :: v_dual_cndmask_b32 v16, 3, v16
	v_cmp_ne_u64_e32 vcc_lo, 0, v[16:17]
	s_or_b32 s10, s10, vcc_lo
	s_delay_alu instid0(SALU_CYCLE_1) | instskip(NEXT) | instid1(SALU_CYCLE_1)
	s_and_saveexec_b32 s41, s10
	s_xor_b32 s10, exec_lo, s41
; %bb.3616:                             ;   in Loop: Header=BB4_3452 Depth=2
	v_min_i32_e32 v17, 31, v20
	s_delay_alu instid0(VALU_DEP_1) | instskip(NEXT) | instid1(VALU_DEP_1)
	v_lshl_or_b32 v2, v17, 2, v2
	v_and_or_b32 v44, v16, 3, v2
                                        ; implicit-def: $vgpr2
; %bb.3617:                             ;   in Loop: Header=BB4_3452 Depth=2
	s_and_not1_saveexec_b32 s10, s10
; %bb.3618:                             ;   in Loop: Header=BB4_3452 Depth=2
	v_mov_b32_e32 v44, v2
; %bb.3619:                             ;   in Loop: Header=BB4_3452 Depth=2
	s_or_b32 exec_lo, exec_lo, s10
.LBB4_3620:                             ;   in Loop: Header=BB4_3452 Depth=2
	s_delay_alu instid0(SALU_CYCLE_1)
	s_or_b32 exec_lo, exec_lo, s40
                                        ; implicit-def: $vgpr2
.LBB4_3621:                             ;   in Loop: Header=BB4_3452 Depth=2
	s_and_not1_saveexec_b32 s10, s29
; %bb.3622:                             ;   in Loop: Header=BB4_3452 Depth=2
	v_or_b32_e32 v44, 0x7b, v2
; %bb.3623:                             ;   in Loop: Header=BB4_3452 Depth=2
	s_or_b32 exec_lo, exec_lo, s10
                                        ; implicit-def: $vgpr16
.LBB4_3624:                             ;   in Loop: Header=BB4_3452 Depth=2
	s_and_not1_saveexec_b32 s10, s11
	s_cbranch_execz .LBB4_3630
; %bb.3625:                             ;   in Loop: Header=BB4_3452 Depth=2
	s_mov_b32 s11, exec_lo
                                        ; implicit-def: $vgpr44
	v_cmpx_ne_u64_e32 0, v[38:39]
	s_xor_b32 s11, exec_lo, s11
; %bb.3626:                             ;   in Loop: Header=BB4_3452 Depth=2
	v_lshrrev_b32_e32 v2, 24, v16
                                        ; implicit-def: $vgpr16
	s_delay_alu instid0(VALU_DEP_1)
	v_or_b32_e32 v44, 0x7f, v2
; %bb.3627:                             ;   in Loop: Header=BB4_3452 Depth=2
	s_and_not1_saveexec_b32 s11, s11
; %bb.3628:                             ;   in Loop: Header=BB4_3452 Depth=2
	v_cmp_lt_i32_e32 vcc_lo, -1, v16
	v_cndmask_b32_e64 v44, -4, 0x7c, vcc_lo
; %bb.3629:                             ;   in Loop: Header=BB4_3452 Depth=2
	s_or_b32 exec_lo, exec_lo, s11
.LBB4_3630:                             ;   in Loop: Header=BB4_3452 Depth=2
	s_delay_alu instid0(SALU_CYCLE_1)
	s_or_b32 exec_lo, exec_lo, s10
	flat_load_i8 v16, v[10:11] offset:160 th:TH_LOAD_NT
	v_mov_b32_e32 v17, 0
	s_mov_b32 s10, exec_lo
	s_wait_loadcnt_dscnt 0x0
	v_cmpx_ne_u16_e32 0, v16
	s_cbranch_execz .LBB4_3640
; %bb.3631:                             ;   in Loop: Header=BB4_3452 Depth=2
	v_bfrev_b32_e32 v17, 1
	s_mov_b32 s11, exec_lo
	v_cmpx_ne_u16_e32 0xff80, v16
	s_cbranch_execz .LBB4_3639
; %bb.3632:                             ;   in Loop: Header=BB4_3452 Depth=2
	v_and_b32_e32 v17, 0x7c, v16
	v_and_b32_e32 v2, 3, v16
	s_delay_alu instid0(VALU_DEP_2) | instskip(SKIP_1) | instid1(SALU_CYCLE_1)
	v_cmp_ne_u32_e32 vcc_lo, 0x7c, v17
                                        ; implicit-def: $vgpr17
	s_and_saveexec_b32 s29, vcc_lo
	s_xor_b32 s29, exec_lo, s29
	s_cbranch_execz .LBB4_3636
; %bb.3633:                             ;   in Loop: Header=BB4_3452 Depth=2
	v_and_b32_e32 v17, 0xff, v16
	s_mov_b32 s40, exec_lo
	s_delay_alu instid0(VALU_DEP_1) | instskip(NEXT) | instid1(VALU_DEP_1)
	v_bfe_u32 v17, v17, 2, 5
	v_cmpx_eq_u32_e32 0, v17
; %bb.3634:                             ;   in Loop: Header=BB4_3452 Depth=2
	v_clz_i32_u32_e32 v2, v2
	v_mov_b32_e32 v17, v39
	s_delay_alu instid0(VALU_DEP_2) | instskip(NEXT) | instid1(VALU_DEP_1)
	v_min_u32_e32 v2, 32, v2
	v_subrev_nc_u32_e32 v20, 29, v2
	s_delay_alu instid0(VALU_DEP_1) | instskip(NEXT) | instid1(VALU_DEP_1)
	v_lshlrev_b64_e32 v[20:21], v20, v[16:17]
	v_dual_sub_nc_u32 v17, 30, v2 :: v_dual_bitop2_b32 v2, 3, v20 bitop3:0x40
; %bb.3635:                             ;   in Loop: Header=BB4_3452 Depth=2
	s_or_b32 exec_lo, exec_lo, s40
	v_bfe_i32 v16, v16, 0, 16
	s_delay_alu instid0(VALU_DEP_1) | instskip(NEXT) | instid1(VALU_DEP_1)
	v_and_b32_e32 v16, 0x80000000, v16
	v_lshl_add_u32 v16, v17, 23, v16
	s_delay_alu instid0(VALU_DEP_1) | instskip(NEXT) | instid1(VALU_DEP_1)
	v_lshl_or_b32 v2, v2, 21, v16
                                        ; implicit-def: $vgpr16
	v_add_nc_u32_e32 v17, 0x38000000, v2
                                        ; implicit-def: $vgpr2
.LBB4_3636:                             ;   in Loop: Header=BB4_3452 Depth=2
	s_and_not1_saveexec_b32 s29, s29
; %bb.3637:                             ;   in Loop: Header=BB4_3452 Depth=2
	v_cmp_lt_i16_e32 vcc_lo, -1, v16
	v_cndmask_b32_e32 v16, 0xff800000, v126, vcc_lo
	v_cmp_eq_u32_e32 vcc_lo, 0, v2
	s_delay_alu instid0(VALU_DEP_2)
	v_cndmask_b32_e32 v17, 0x7f800001, v16, vcc_lo
; %bb.3638:                             ;   in Loop: Header=BB4_3452 Depth=2
	s_or_b32 exec_lo, exec_lo, s29
.LBB4_3639:                             ;   in Loop: Header=BB4_3452 Depth=2
	s_delay_alu instid0(SALU_CYCLE_1)
	s_or_b32 exec_lo, exec_lo, s11
.LBB4_3640:                             ;   in Loop: Header=BB4_3452 Depth=2
	s_delay_alu instid0(SALU_CYCLE_1) | instskip(NEXT) | instid1(VALU_DEP_1)
	s_or_b32 exec_lo, exec_lo, s10
	v_dual_mul_f32 v16, s28, v17 :: v_dual_mov_b32 v21, v39
                                        ; implicit-def: $vgpr42
	s_mov_b32 s10, exec_lo
	s_delay_alu instid0(VALU_DEP_1) | instskip(SKIP_1) | instid1(VALU_DEP_2)
	v_and_b32_e32 v20, 0x7f800000, v16
	v_and_b32_e32 v38, 0x7fffff, v16
	v_cmpx_ne_u64_e32 0x7f800000, v[20:21]
	s_xor_b32 s11, exec_lo, s10
	s_cbranch_execz .LBB4_3658
; %bb.3641:                             ;   in Loop: Header=BB4_3452 Depth=2
	v_dual_mov_b32 v21, v39 :: v_dual_lshrrev_b32 v2, 24, v16
	v_and_b32_e32 v20, 0x7fffffff, v16
                                        ; implicit-def: $vgpr42
	s_mov_b32 s10, exec_lo
	s_delay_alu instid0(VALU_DEP_2) | instskip(NEXT) | instid1(VALU_DEP_2)
	v_and_b32_e32 v2, 0x80, v2
	v_cmpx_gt_u64_e32 0x47600001, v[20:21]
	s_xor_b32 s29, exec_lo, s10
	s_cbranch_execz .LBB4_3655
; %bb.3642:                             ;   in Loop: Header=BB4_3452 Depth=2
	v_mov_b32_e32 v42, 0
	s_mov_b32 s40, exec_lo
	v_cmpx_ne_u32_e32 0, v16
	s_cbranch_execz .LBB4_3654
; %bb.3643:                             ;   in Loop: Header=BB4_3452 Depth=2
	v_bfe_u32 v20, v16, 23, 8
	v_or_b32_e32 v24, 0x800000, v38
	s_delay_alu instid0(VALU_DEP_2) | instskip(SKIP_1) | instid1(VALU_DEP_2)
	v_dual_mov_b32 v25, v39 :: v_dual_sub_nc_u32 v16, 0x71, v20
	v_cmp_gt_u32_e32 vcc_lo, 0x72, v20
	v_cndmask_b32_e32 v16, 0, v16, vcc_lo
	v_cmp_eq_u32_e32 vcc_lo, 0, v20
	s_delay_alu instid0(VALU_DEP_2) | instskip(NEXT) | instid1(VALU_DEP_1)
	v_cndmask_b32_e64 v21, v16, 0x70, vcc_lo
	v_dual_cndmask_b32 v24, v24, v38, vcc_lo :: v_dual_add_nc_u32 v16, 21, v21
	v_add_nc_u32_e32 v31, 20, v21
	s_delay_alu instid0(VALU_DEP_2) | instskip(NEXT) | instid1(VALU_DEP_2)
	v_lshlrev_b64_e64 v[16:17], v16, -1
	v_lshlrev_b64_e64 v[82:83], v31, 1
	s_delay_alu instid0(VALU_DEP_2) | instskip(NEXT) | instid1(VALU_DEP_3)
	v_bfi_b32 v85, v17, 0, 0
	v_bfi_b32 v84, v16, 0, v24
	v_lshrrev_b64 v[16:17], v21, v[24:25]
	s_delay_alu instid0(VALU_DEP_2) | instskip(NEXT) | instid1(VALU_DEP_2)
	v_cmp_eq_u64_e64 s10, v[84:85], v[82:83]
	v_mov_b64_e32 v[82:83], v[16:17]
	s_and_saveexec_b32 s41, s10
; %bb.3644:                             ;   in Loop: Header=BB4_3452 Depth=2
	v_bfe_u32 v24, v16, 21, 1
	v_mov_b32_e32 v25, v39
	s_delay_alu instid0(VALU_DEP_1) | instskip(NEXT) | instid1(VALU_DEP_1)
	v_add_nc_u64_e32 v[24:25], v[16:17], v[24:25]
	v_add_nc_u64_e32 v[82:83], -1, v[24:25]
; %bb.3645:                             ;   in Loop: Header=BB4_3452 Depth=2
	s_or_b32 exec_lo, exec_lo, s41
	v_add_nc_u32_e32 v17, 0xffffff81, v20
	v_lshrrev_b32_e32 v20, 23, v16
	s_mov_b32 s10, exec_lo
	s_delay_alu instid0(VALU_DEP_2) | instskip(NEXT) | instid1(VALU_DEP_1)
	v_cndmask_b32_e64 v17, v17, 0xffffff82, vcc_lo
	v_add3_u32 v21, v21, v17, v20
	v_and_b32_e32 v17, 0x1fffff, v82
                                        ; implicit-def: $vgpr20
	s_delay_alu instid0(VALU_DEP_1) | instskip(NEXT) | instid1(VALU_DEP_1)
	v_dual_add_nc_u32 v82, 14, v21 :: v_dual_add_nc_u32 v38, v17, v16
                                        ; implicit-def: $vgpr16_vgpr17
	v_cmpx_ne_u32_e32 0, v82
	s_xor_b32 s10, exec_lo, s10
; %bb.3646:                             ;   in Loop: Header=BB4_3452 Depth=2
	s_delay_alu instid0(VALU_DEP_2) | instskip(SKIP_1) | instid1(VALU_DEP_1)
	v_cmp_lt_u64_e32 vcc_lo, 0xffffff, v[38:39]
	v_add_nc_u32_e32 v16, 15, v21
	v_cndmask_b32_e32 v20, v82, v16, vcc_lo
	v_cndmask_b32_e64 v16, 0, 1, vcc_lo
	s_delay_alu instid0(VALU_DEP_1)
	v_lshrrev_b64 v[16:17], v16, v[38:39]
; %bb.3647:                             ;   in Loop: Header=BB4_3452 Depth=2
	s_and_not1_saveexec_b32 s10, s10
; %bb.3648:                             ;   in Loop: Header=BB4_3452 Depth=2
	v_mov_b64_e32 v[16:17], v[38:39]
	v_bfe_u32 v20, v38, 23, 1
; %bb.3649:                             ;   in Loop: Header=BB4_3452 Depth=2
	s_or_b32 exec_lo, exec_lo, s10
	s_delay_alu instid0(VALU_DEP_2) | instskip(NEXT) | instid1(VALU_DEP_2)
	v_lshrrev_b64 v[16:17], 21, v[16:17]
	v_cmp_gt_i32_e32 vcc_lo, 32, v20
	v_cmp_ne_u32_e64 s10, 0, v20
                                        ; implicit-def: $vgpr42
	s_delay_alu instid0(VALU_DEP_3) | instskip(NEXT) | instid1(VALU_DEP_1)
	v_dual_cndmask_b32 v17, 0, v17 :: v_dual_cndmask_b32 v16, 3, v16
	v_cmp_ne_u64_e32 vcc_lo, 0, v[16:17]
	s_or_b32 s10, s10, vcc_lo
	s_delay_alu instid0(SALU_CYCLE_1) | instskip(NEXT) | instid1(SALU_CYCLE_1)
	s_and_saveexec_b32 s41, s10
	s_xor_b32 s10, exec_lo, s41
; %bb.3650:                             ;   in Loop: Header=BB4_3452 Depth=2
	v_min_i32_e32 v17, 31, v20
	s_delay_alu instid0(VALU_DEP_1) | instskip(NEXT) | instid1(VALU_DEP_1)
	v_lshl_or_b32 v2, v17, 2, v2
	v_and_or_b32 v42, v16, 3, v2
                                        ; implicit-def: $vgpr2
; %bb.3651:                             ;   in Loop: Header=BB4_3452 Depth=2
	s_and_not1_saveexec_b32 s10, s10
; %bb.3652:                             ;   in Loop: Header=BB4_3452 Depth=2
	v_mov_b32_e32 v42, v2
; %bb.3653:                             ;   in Loop: Header=BB4_3452 Depth=2
	s_or_b32 exec_lo, exec_lo, s10
.LBB4_3654:                             ;   in Loop: Header=BB4_3452 Depth=2
	s_delay_alu instid0(SALU_CYCLE_1)
	s_or_b32 exec_lo, exec_lo, s40
                                        ; implicit-def: $vgpr2
.LBB4_3655:                             ;   in Loop: Header=BB4_3452 Depth=2
	s_and_not1_saveexec_b32 s10, s29
; %bb.3656:                             ;   in Loop: Header=BB4_3452 Depth=2
	v_or_b32_e32 v42, 0x7b, v2
; %bb.3657:                             ;   in Loop: Header=BB4_3452 Depth=2
	s_or_b32 exec_lo, exec_lo, s10
                                        ; implicit-def: $vgpr16
.LBB4_3658:                             ;   in Loop: Header=BB4_3452 Depth=2
	s_and_not1_saveexec_b32 s10, s11
	s_cbranch_execz .LBB4_3664
; %bb.3659:                             ;   in Loop: Header=BB4_3452 Depth=2
	s_mov_b32 s11, exec_lo
                                        ; implicit-def: $vgpr42
	v_cmpx_ne_u64_e32 0, v[38:39]
	s_xor_b32 s11, exec_lo, s11
; %bb.3660:                             ;   in Loop: Header=BB4_3452 Depth=2
	v_lshrrev_b32_e32 v2, 24, v16
                                        ; implicit-def: $vgpr16
	s_delay_alu instid0(VALU_DEP_1)
	v_or_b32_e32 v42, 0x7f, v2
; %bb.3661:                             ;   in Loop: Header=BB4_3452 Depth=2
	s_and_not1_saveexec_b32 s11, s11
; %bb.3662:                             ;   in Loop: Header=BB4_3452 Depth=2
	v_cmp_lt_i32_e32 vcc_lo, -1, v16
	v_cndmask_b32_e64 v42, -4, 0x7c, vcc_lo
; %bb.3663:                             ;   in Loop: Header=BB4_3452 Depth=2
	s_or_b32 exec_lo, exec_lo, s11
.LBB4_3664:                             ;   in Loop: Header=BB4_3452 Depth=2
	s_delay_alu instid0(SALU_CYCLE_1)
	s_or_b32 exec_lo, exec_lo, s10
	flat_load_i8 v16, v[10:11] offset:192 th:TH_LOAD_NT
	v_mov_b32_e32 v17, 0
	s_mov_b32 s10, exec_lo
	s_wait_loadcnt_dscnt 0x0
	v_cmpx_ne_u16_e32 0, v16
	s_cbranch_execz .LBB4_3674
; %bb.3665:                             ;   in Loop: Header=BB4_3452 Depth=2
	v_bfrev_b32_e32 v17, 1
	s_mov_b32 s11, exec_lo
	v_cmpx_ne_u16_e32 0xff80, v16
	s_cbranch_execz .LBB4_3673
; %bb.3666:                             ;   in Loop: Header=BB4_3452 Depth=2
	v_and_b32_e32 v17, 0x7c, v16
	v_and_b32_e32 v2, 3, v16
	s_delay_alu instid0(VALU_DEP_2) | instskip(SKIP_1) | instid1(SALU_CYCLE_1)
	v_cmp_ne_u32_e32 vcc_lo, 0x7c, v17
                                        ; implicit-def: $vgpr17
	s_and_saveexec_b32 s29, vcc_lo
	s_xor_b32 s29, exec_lo, s29
	s_cbranch_execz .LBB4_3670
; %bb.3667:                             ;   in Loop: Header=BB4_3452 Depth=2
	v_and_b32_e32 v17, 0xff, v16
	s_mov_b32 s40, exec_lo
	s_delay_alu instid0(VALU_DEP_1) | instskip(NEXT) | instid1(VALU_DEP_1)
	v_bfe_u32 v17, v17, 2, 5
	v_cmpx_eq_u32_e32 0, v17
; %bb.3668:                             ;   in Loop: Header=BB4_3452 Depth=2
	v_clz_i32_u32_e32 v2, v2
	v_mov_b32_e32 v17, v39
	s_delay_alu instid0(VALU_DEP_2) | instskip(NEXT) | instid1(VALU_DEP_1)
	v_min_u32_e32 v2, 32, v2
	v_subrev_nc_u32_e32 v20, 29, v2
	s_delay_alu instid0(VALU_DEP_1) | instskip(NEXT) | instid1(VALU_DEP_1)
	v_lshlrev_b64_e32 v[20:21], v20, v[16:17]
	v_dual_sub_nc_u32 v17, 30, v2 :: v_dual_bitop2_b32 v2, 3, v20 bitop3:0x40
; %bb.3669:                             ;   in Loop: Header=BB4_3452 Depth=2
	s_or_b32 exec_lo, exec_lo, s40
	v_bfe_i32 v16, v16, 0, 16
	s_delay_alu instid0(VALU_DEP_1) | instskip(NEXT) | instid1(VALU_DEP_1)
	v_and_b32_e32 v16, 0x80000000, v16
	v_lshl_add_u32 v16, v17, 23, v16
	s_delay_alu instid0(VALU_DEP_1) | instskip(NEXT) | instid1(VALU_DEP_1)
	v_lshl_or_b32 v2, v2, 21, v16
                                        ; implicit-def: $vgpr16
	v_add_nc_u32_e32 v17, 0x38000000, v2
                                        ; implicit-def: $vgpr2
.LBB4_3670:                             ;   in Loop: Header=BB4_3452 Depth=2
	s_and_not1_saveexec_b32 s29, s29
; %bb.3671:                             ;   in Loop: Header=BB4_3452 Depth=2
	v_cmp_lt_i16_e32 vcc_lo, -1, v16
	v_cndmask_b32_e32 v16, 0xff800000, v126, vcc_lo
	v_cmp_eq_u32_e32 vcc_lo, 0, v2
	s_delay_alu instid0(VALU_DEP_2)
	v_cndmask_b32_e32 v17, 0x7f800001, v16, vcc_lo
; %bb.3672:                             ;   in Loop: Header=BB4_3452 Depth=2
	s_or_b32 exec_lo, exec_lo, s29
.LBB4_3673:                             ;   in Loop: Header=BB4_3452 Depth=2
	s_delay_alu instid0(SALU_CYCLE_1)
	s_or_b32 exec_lo, exec_lo, s11
.LBB4_3674:                             ;   in Loop: Header=BB4_3452 Depth=2
	s_delay_alu instid0(SALU_CYCLE_1) | instskip(NEXT) | instid1(VALU_DEP_1)
	s_or_b32 exec_lo, exec_lo, s10
	v_dual_mul_f32 v16, s28, v17 :: v_dual_mov_b32 v21, v39
                                        ; implicit-def: $vgpr118
	s_mov_b32 s10, exec_lo
	s_delay_alu instid0(VALU_DEP_1) | instskip(SKIP_1) | instid1(VALU_DEP_2)
	v_and_b32_e32 v20, 0x7f800000, v16
	v_and_b32_e32 v38, 0x7fffff, v16
	v_cmpx_ne_u64_e32 0x7f800000, v[20:21]
	s_xor_b32 s11, exec_lo, s10
	s_cbranch_execz .LBB4_3692
; %bb.3675:                             ;   in Loop: Header=BB4_3452 Depth=2
	v_dual_mov_b32 v21, v39 :: v_dual_lshrrev_b32 v2, 24, v16
	v_and_b32_e32 v20, 0x7fffffff, v16
                                        ; implicit-def: $vgpr118
	s_mov_b32 s10, exec_lo
	s_delay_alu instid0(VALU_DEP_2) | instskip(NEXT) | instid1(VALU_DEP_2)
	v_and_b32_e32 v2, 0x80, v2
	v_cmpx_gt_u64_e32 0x47600001, v[20:21]
	s_xor_b32 s29, exec_lo, s10
	s_cbranch_execz .LBB4_3689
; %bb.3676:                             ;   in Loop: Header=BB4_3452 Depth=2
	v_mov_b32_e32 v118, 0
	s_mov_b32 s40, exec_lo
	v_cmpx_ne_u32_e32 0, v16
	s_cbranch_execz .LBB4_3688
; %bb.3677:                             ;   in Loop: Header=BB4_3452 Depth=2
	v_bfe_u32 v20, v16, 23, 8
	v_or_b32_e32 v24, 0x800000, v38
	s_delay_alu instid0(VALU_DEP_2) | instskip(SKIP_1) | instid1(VALU_DEP_2)
	v_dual_mov_b32 v25, v39 :: v_dual_sub_nc_u32 v16, 0x71, v20
	v_cmp_gt_u32_e32 vcc_lo, 0x72, v20
	v_cndmask_b32_e32 v16, 0, v16, vcc_lo
	v_cmp_eq_u32_e32 vcc_lo, 0, v20
	s_delay_alu instid0(VALU_DEP_2) | instskip(NEXT) | instid1(VALU_DEP_1)
	v_cndmask_b32_e64 v21, v16, 0x70, vcc_lo
	v_dual_cndmask_b32 v24, v24, v38, vcc_lo :: v_dual_add_nc_u32 v16, 21, v21
	v_add_nc_u32_e32 v31, 20, v21
	s_delay_alu instid0(VALU_DEP_2) | instskip(NEXT) | instid1(VALU_DEP_2)
	v_lshlrev_b64_e64 v[16:17], v16, -1
	v_lshlrev_b64_e64 v[82:83], v31, 1
	s_delay_alu instid0(VALU_DEP_2) | instskip(NEXT) | instid1(VALU_DEP_3)
	v_bfi_b32 v85, v17, 0, 0
	v_bfi_b32 v84, v16, 0, v24
	v_lshrrev_b64 v[16:17], v21, v[24:25]
	s_delay_alu instid0(VALU_DEP_2) | instskip(NEXT) | instid1(VALU_DEP_2)
	v_cmp_eq_u64_e64 s10, v[84:85], v[82:83]
	v_mov_b64_e32 v[82:83], v[16:17]
	s_and_saveexec_b32 s41, s10
; %bb.3678:                             ;   in Loop: Header=BB4_3452 Depth=2
	v_bfe_u32 v24, v16, 21, 1
	v_mov_b32_e32 v25, v39
	s_delay_alu instid0(VALU_DEP_1) | instskip(NEXT) | instid1(VALU_DEP_1)
	v_add_nc_u64_e32 v[24:25], v[16:17], v[24:25]
	v_add_nc_u64_e32 v[82:83], -1, v[24:25]
; %bb.3679:                             ;   in Loop: Header=BB4_3452 Depth=2
	s_or_b32 exec_lo, exec_lo, s41
	v_add_nc_u32_e32 v17, 0xffffff81, v20
	v_lshrrev_b32_e32 v20, 23, v16
	s_mov_b32 s10, exec_lo
	s_delay_alu instid0(VALU_DEP_2) | instskip(NEXT) | instid1(VALU_DEP_1)
	v_cndmask_b32_e64 v17, v17, 0xffffff82, vcc_lo
	v_add3_u32 v21, v21, v17, v20
	v_and_b32_e32 v17, 0x1fffff, v82
                                        ; implicit-def: $vgpr20
	s_delay_alu instid0(VALU_DEP_1) | instskip(NEXT) | instid1(VALU_DEP_1)
	v_dual_add_nc_u32 v82, 14, v21 :: v_dual_add_nc_u32 v38, v17, v16
                                        ; implicit-def: $vgpr16_vgpr17
	v_cmpx_ne_u32_e32 0, v82
	s_xor_b32 s10, exec_lo, s10
; %bb.3680:                             ;   in Loop: Header=BB4_3452 Depth=2
	s_delay_alu instid0(VALU_DEP_2) | instskip(SKIP_1) | instid1(VALU_DEP_1)
	v_cmp_lt_u64_e32 vcc_lo, 0xffffff, v[38:39]
	v_add_nc_u32_e32 v16, 15, v21
	v_cndmask_b32_e32 v20, v82, v16, vcc_lo
	v_cndmask_b32_e64 v16, 0, 1, vcc_lo
	s_delay_alu instid0(VALU_DEP_1)
	v_lshrrev_b64 v[16:17], v16, v[38:39]
; %bb.3681:                             ;   in Loop: Header=BB4_3452 Depth=2
	s_and_not1_saveexec_b32 s10, s10
; %bb.3682:                             ;   in Loop: Header=BB4_3452 Depth=2
	v_mov_b64_e32 v[16:17], v[38:39]
	v_bfe_u32 v20, v38, 23, 1
; %bb.3683:                             ;   in Loop: Header=BB4_3452 Depth=2
	s_or_b32 exec_lo, exec_lo, s10
	s_delay_alu instid0(VALU_DEP_2) | instskip(NEXT) | instid1(VALU_DEP_2)
	v_lshrrev_b64 v[16:17], 21, v[16:17]
	v_cmp_gt_i32_e32 vcc_lo, 32, v20
	v_cmp_ne_u32_e64 s10, 0, v20
                                        ; implicit-def: $vgpr118
	s_delay_alu instid0(VALU_DEP_3) | instskip(NEXT) | instid1(VALU_DEP_1)
	v_dual_cndmask_b32 v17, 0, v17 :: v_dual_cndmask_b32 v16, 3, v16
	v_cmp_ne_u64_e32 vcc_lo, 0, v[16:17]
	s_or_b32 s10, s10, vcc_lo
	s_delay_alu instid0(SALU_CYCLE_1) | instskip(NEXT) | instid1(SALU_CYCLE_1)
	s_and_saveexec_b32 s41, s10
	s_xor_b32 s10, exec_lo, s41
; %bb.3684:                             ;   in Loop: Header=BB4_3452 Depth=2
	v_min_i32_e32 v17, 31, v20
	s_delay_alu instid0(VALU_DEP_1) | instskip(NEXT) | instid1(VALU_DEP_1)
	v_lshl_or_b32 v2, v17, 2, v2
	v_and_or_b32 v118, v16, 3, v2
                                        ; implicit-def: $vgpr2
; %bb.3685:                             ;   in Loop: Header=BB4_3452 Depth=2
	s_and_not1_saveexec_b32 s10, s10
; %bb.3686:                             ;   in Loop: Header=BB4_3452 Depth=2
	v_mov_b32_e32 v118, v2
; %bb.3687:                             ;   in Loop: Header=BB4_3452 Depth=2
	s_or_b32 exec_lo, exec_lo, s10
.LBB4_3688:                             ;   in Loop: Header=BB4_3452 Depth=2
	s_delay_alu instid0(SALU_CYCLE_1)
	s_or_b32 exec_lo, exec_lo, s40
                                        ; implicit-def: $vgpr2
.LBB4_3689:                             ;   in Loop: Header=BB4_3452 Depth=2
	s_and_not1_saveexec_b32 s10, s29
; %bb.3690:                             ;   in Loop: Header=BB4_3452 Depth=2
	v_or_b32_e32 v118, 0x7b, v2
; %bb.3691:                             ;   in Loop: Header=BB4_3452 Depth=2
	s_or_b32 exec_lo, exec_lo, s10
                                        ; implicit-def: $vgpr16
.LBB4_3692:                             ;   in Loop: Header=BB4_3452 Depth=2
	s_and_not1_saveexec_b32 s10, s11
	s_cbranch_execz .LBB4_3698
; %bb.3693:                             ;   in Loop: Header=BB4_3452 Depth=2
	s_mov_b32 s11, exec_lo
                                        ; implicit-def: $vgpr118
	v_cmpx_ne_u64_e32 0, v[38:39]
	s_xor_b32 s11, exec_lo, s11
; %bb.3694:                             ;   in Loop: Header=BB4_3452 Depth=2
	v_lshrrev_b32_e32 v2, 24, v16
                                        ; implicit-def: $vgpr16
	s_delay_alu instid0(VALU_DEP_1)
	v_or_b32_e32 v118, 0x7f, v2
; %bb.3695:                             ;   in Loop: Header=BB4_3452 Depth=2
	s_and_not1_saveexec_b32 s11, s11
; %bb.3696:                             ;   in Loop: Header=BB4_3452 Depth=2
	v_cmp_lt_i32_e32 vcc_lo, -1, v16
	v_cndmask_b32_e64 v118, -4, 0x7c, vcc_lo
; %bb.3697:                             ;   in Loop: Header=BB4_3452 Depth=2
	s_or_b32 exec_lo, exec_lo, s11
.LBB4_3698:                             ;   in Loop: Header=BB4_3452 Depth=2
	s_delay_alu instid0(SALU_CYCLE_1)
	s_or_b32 exec_lo, exec_lo, s10
	flat_load_i8 v16, v[10:11] offset:224 th:TH_LOAD_NT
	v_mov_b32_e32 v17, 0
	s_mov_b32 s10, exec_lo
	s_wait_loadcnt_dscnt 0x0
	v_cmpx_ne_u16_e32 0, v16
	s_cbranch_execz .LBB4_3708
; %bb.3699:                             ;   in Loop: Header=BB4_3452 Depth=2
	v_bfrev_b32_e32 v17, 1
	s_mov_b32 s11, exec_lo
	v_cmpx_ne_u16_e32 0xff80, v16
	s_cbranch_execz .LBB4_3707
; %bb.3700:                             ;   in Loop: Header=BB4_3452 Depth=2
	v_and_b32_e32 v17, 0x7c, v16
	v_and_b32_e32 v2, 3, v16
	s_delay_alu instid0(VALU_DEP_2) | instskip(SKIP_1) | instid1(SALU_CYCLE_1)
	v_cmp_ne_u32_e32 vcc_lo, 0x7c, v17
                                        ; implicit-def: $vgpr17
	s_and_saveexec_b32 s29, vcc_lo
	s_xor_b32 s29, exec_lo, s29
	s_cbranch_execz .LBB4_3704
; %bb.3701:                             ;   in Loop: Header=BB4_3452 Depth=2
	v_and_b32_e32 v17, 0xff, v16
	s_mov_b32 s40, exec_lo
	s_delay_alu instid0(VALU_DEP_1) | instskip(NEXT) | instid1(VALU_DEP_1)
	v_bfe_u32 v17, v17, 2, 5
	v_cmpx_eq_u32_e32 0, v17
; %bb.3702:                             ;   in Loop: Header=BB4_3452 Depth=2
	v_clz_i32_u32_e32 v2, v2
	v_mov_b32_e32 v17, v39
	s_delay_alu instid0(VALU_DEP_2) | instskip(NEXT) | instid1(VALU_DEP_1)
	v_min_u32_e32 v2, 32, v2
	v_subrev_nc_u32_e32 v20, 29, v2
	s_delay_alu instid0(VALU_DEP_1) | instskip(NEXT) | instid1(VALU_DEP_1)
	v_lshlrev_b64_e32 v[20:21], v20, v[16:17]
	v_dual_sub_nc_u32 v17, 30, v2 :: v_dual_bitop2_b32 v2, 3, v20 bitop3:0x40
; %bb.3703:                             ;   in Loop: Header=BB4_3452 Depth=2
	s_or_b32 exec_lo, exec_lo, s40
	v_bfe_i32 v16, v16, 0, 16
	s_delay_alu instid0(VALU_DEP_1) | instskip(NEXT) | instid1(VALU_DEP_1)
	v_and_b32_e32 v16, 0x80000000, v16
	v_lshl_add_u32 v16, v17, 23, v16
	s_delay_alu instid0(VALU_DEP_1) | instskip(NEXT) | instid1(VALU_DEP_1)
	v_lshl_or_b32 v2, v2, 21, v16
                                        ; implicit-def: $vgpr16
	v_add_nc_u32_e32 v17, 0x38000000, v2
                                        ; implicit-def: $vgpr2
.LBB4_3704:                             ;   in Loop: Header=BB4_3452 Depth=2
	s_and_not1_saveexec_b32 s29, s29
; %bb.3705:                             ;   in Loop: Header=BB4_3452 Depth=2
	v_cmp_lt_i16_e32 vcc_lo, -1, v16
	v_cndmask_b32_e32 v16, 0xff800000, v126, vcc_lo
	v_cmp_eq_u32_e32 vcc_lo, 0, v2
	s_delay_alu instid0(VALU_DEP_2)
	v_cndmask_b32_e32 v17, 0x7f800001, v16, vcc_lo
; %bb.3706:                             ;   in Loop: Header=BB4_3452 Depth=2
	s_or_b32 exec_lo, exec_lo, s29
.LBB4_3707:                             ;   in Loop: Header=BB4_3452 Depth=2
	s_delay_alu instid0(SALU_CYCLE_1)
	s_or_b32 exec_lo, exec_lo, s11
.LBB4_3708:                             ;   in Loop: Header=BB4_3452 Depth=2
	s_delay_alu instid0(SALU_CYCLE_1) | instskip(NEXT) | instid1(VALU_DEP_1)
	s_or_b32 exec_lo, exec_lo, s10
	v_dual_mul_f32 v16, s28, v17 :: v_dual_mov_b32 v21, v39
                                        ; implicit-def: $vgpr116
	s_mov_b32 s10, exec_lo
	s_delay_alu instid0(VALU_DEP_1) | instskip(SKIP_1) | instid1(VALU_DEP_2)
	v_and_b32_e32 v20, 0x7f800000, v16
	v_and_b32_e32 v38, 0x7fffff, v16
	v_cmpx_ne_u64_e32 0x7f800000, v[20:21]
	s_xor_b32 s11, exec_lo, s10
	s_cbranch_execz .LBB4_3726
; %bb.3709:                             ;   in Loop: Header=BB4_3452 Depth=2
	v_dual_mov_b32 v21, v39 :: v_dual_lshrrev_b32 v2, 24, v16
	v_and_b32_e32 v20, 0x7fffffff, v16
                                        ; implicit-def: $vgpr116
	s_mov_b32 s10, exec_lo
	s_delay_alu instid0(VALU_DEP_2) | instskip(NEXT) | instid1(VALU_DEP_2)
	v_and_b32_e32 v2, 0x80, v2
	v_cmpx_gt_u64_e32 0x47600001, v[20:21]
	s_xor_b32 s29, exec_lo, s10
	s_cbranch_execz .LBB4_3723
; %bb.3710:                             ;   in Loop: Header=BB4_3452 Depth=2
	v_mov_b32_e32 v116, 0
	s_mov_b32 s40, exec_lo
	v_cmpx_ne_u32_e32 0, v16
	s_cbranch_execz .LBB4_3722
; %bb.3711:                             ;   in Loop: Header=BB4_3452 Depth=2
	v_bfe_u32 v20, v16, 23, 8
	v_or_b32_e32 v24, 0x800000, v38
	s_delay_alu instid0(VALU_DEP_2) | instskip(SKIP_1) | instid1(VALU_DEP_2)
	v_dual_mov_b32 v25, v39 :: v_dual_sub_nc_u32 v16, 0x71, v20
	v_cmp_gt_u32_e32 vcc_lo, 0x72, v20
	v_cndmask_b32_e32 v16, 0, v16, vcc_lo
	v_cmp_eq_u32_e32 vcc_lo, 0, v20
	s_delay_alu instid0(VALU_DEP_2) | instskip(NEXT) | instid1(VALU_DEP_1)
	v_cndmask_b32_e64 v21, v16, 0x70, vcc_lo
	v_dual_cndmask_b32 v24, v24, v38, vcc_lo :: v_dual_add_nc_u32 v16, 21, v21
	v_add_nc_u32_e32 v31, 20, v21
	s_delay_alu instid0(VALU_DEP_2) | instskip(NEXT) | instid1(VALU_DEP_2)
	v_lshlrev_b64_e64 v[16:17], v16, -1
	v_lshlrev_b64_e64 v[82:83], v31, 1
	s_delay_alu instid0(VALU_DEP_2) | instskip(NEXT) | instid1(VALU_DEP_3)
	v_bfi_b32 v85, v17, 0, 0
	v_bfi_b32 v84, v16, 0, v24
	v_lshrrev_b64 v[16:17], v21, v[24:25]
	s_delay_alu instid0(VALU_DEP_2) | instskip(NEXT) | instid1(VALU_DEP_2)
	v_cmp_eq_u64_e64 s10, v[84:85], v[82:83]
	v_mov_b64_e32 v[82:83], v[16:17]
	s_and_saveexec_b32 s41, s10
; %bb.3712:                             ;   in Loop: Header=BB4_3452 Depth=2
	v_bfe_u32 v24, v16, 21, 1
	v_mov_b32_e32 v25, v39
	s_delay_alu instid0(VALU_DEP_1) | instskip(NEXT) | instid1(VALU_DEP_1)
	v_add_nc_u64_e32 v[24:25], v[16:17], v[24:25]
	v_add_nc_u64_e32 v[82:83], -1, v[24:25]
; %bb.3713:                             ;   in Loop: Header=BB4_3452 Depth=2
	s_or_b32 exec_lo, exec_lo, s41
	v_add_nc_u32_e32 v17, 0xffffff81, v20
	s_delay_alu instid0(VALU_DEP_2) | instskip(SKIP_2) | instid1(VALU_DEP_3)
	v_and_b32_e32 v24, 0x1fffff, v82
	v_lshrrev_b32_e32 v20, 23, v16
	s_mov_b32 s10, exec_lo
	v_cndmask_b32_e64 v17, v17, 0xffffff82, vcc_lo
	s_delay_alu instid0(VALU_DEP_3) | instskip(NEXT) | instid1(VALU_DEP_2)
	v_add_nc_u32_e32 v38, v24, v16
	v_add3_u32 v21, v21, v17, v20
                                        ; implicit-def: $vgpr16_vgpr17
                                        ; implicit-def: $vgpr20
	s_delay_alu instid0(VALU_DEP_1) | instskip(NEXT) | instid1(VALU_DEP_1)
	v_add_nc_u32_e32 v82, 14, v21
	v_cmpx_ne_u32_e32 0, v82
	s_xor_b32 s10, exec_lo, s10
; %bb.3714:                             ;   in Loop: Header=BB4_3452 Depth=2
	v_cmp_lt_u64_e32 vcc_lo, 0xffffff, v[38:39]
	v_add_nc_u32_e32 v16, 15, v21
	s_delay_alu instid0(VALU_DEP_1) | instskip(SKIP_1) | instid1(VALU_DEP_1)
	v_cndmask_b32_e32 v20, v82, v16, vcc_lo
	v_cndmask_b32_e64 v16, 0, 1, vcc_lo
	v_lshrrev_b64 v[16:17], v16, v[38:39]
; %bb.3715:                             ;   in Loop: Header=BB4_3452 Depth=2
	s_and_not1_saveexec_b32 s10, s10
; %bb.3716:                             ;   in Loop: Header=BB4_3452 Depth=2
	v_mov_b64_e32 v[16:17], v[38:39]
	v_bfe_u32 v20, v38, 23, 1
; %bb.3717:                             ;   in Loop: Header=BB4_3452 Depth=2
	s_or_b32 exec_lo, exec_lo, s10
	s_delay_alu instid0(VALU_DEP_2) | instskip(NEXT) | instid1(VALU_DEP_2)
	v_lshrrev_b64 v[16:17], 21, v[16:17]
	v_cmp_gt_i32_e32 vcc_lo, 32, v20
	v_cmp_ne_u32_e64 s10, 0, v20
                                        ; implicit-def: $vgpr116
	s_delay_alu instid0(VALU_DEP_3) | instskip(NEXT) | instid1(VALU_DEP_1)
	v_dual_cndmask_b32 v17, 0, v17 :: v_dual_cndmask_b32 v16, 3, v16
	v_cmp_ne_u64_e32 vcc_lo, 0, v[16:17]
	s_or_b32 s10, s10, vcc_lo
	s_delay_alu instid0(SALU_CYCLE_1) | instskip(NEXT) | instid1(SALU_CYCLE_1)
	s_and_saveexec_b32 s41, s10
	s_xor_b32 s10, exec_lo, s41
; %bb.3718:                             ;   in Loop: Header=BB4_3452 Depth=2
	v_min_i32_e32 v17, 31, v20
	s_delay_alu instid0(VALU_DEP_1) | instskip(NEXT) | instid1(VALU_DEP_1)
	v_lshl_or_b32 v2, v17, 2, v2
	v_and_or_b32 v116, v16, 3, v2
                                        ; implicit-def: $vgpr2
; %bb.3719:                             ;   in Loop: Header=BB4_3452 Depth=2
	s_and_not1_saveexec_b32 s10, s10
; %bb.3720:                             ;   in Loop: Header=BB4_3452 Depth=2
	v_mov_b32_e32 v116, v2
; %bb.3721:                             ;   in Loop: Header=BB4_3452 Depth=2
	s_or_b32 exec_lo, exec_lo, s10
.LBB4_3722:                             ;   in Loop: Header=BB4_3452 Depth=2
	s_delay_alu instid0(SALU_CYCLE_1)
	s_or_b32 exec_lo, exec_lo, s40
                                        ; implicit-def: $vgpr2
.LBB4_3723:                             ;   in Loop: Header=BB4_3452 Depth=2
	s_and_not1_saveexec_b32 s10, s29
; %bb.3724:                             ;   in Loop: Header=BB4_3452 Depth=2
	v_or_b32_e32 v116, 0x7b, v2
; %bb.3725:                             ;   in Loop: Header=BB4_3452 Depth=2
	s_or_b32 exec_lo, exec_lo, s10
                                        ; implicit-def: $vgpr16
.LBB4_3726:                             ;   in Loop: Header=BB4_3452 Depth=2
	s_and_not1_saveexec_b32 s10, s11
	s_cbranch_execz .LBB4_3732
; %bb.3727:                             ;   in Loop: Header=BB4_3452 Depth=2
	s_mov_b32 s11, exec_lo
                                        ; implicit-def: $vgpr116
	v_cmpx_ne_u64_e32 0, v[38:39]
	s_xor_b32 s11, exec_lo, s11
; %bb.3728:                             ;   in Loop: Header=BB4_3452 Depth=2
	v_lshrrev_b32_e32 v2, 24, v16
                                        ; implicit-def: $vgpr16
	s_delay_alu instid0(VALU_DEP_1)
	v_or_b32_e32 v116, 0x7f, v2
; %bb.3729:                             ;   in Loop: Header=BB4_3452 Depth=2
	s_and_not1_saveexec_b32 s11, s11
; %bb.3730:                             ;   in Loop: Header=BB4_3452 Depth=2
	v_cmp_lt_i32_e32 vcc_lo, -1, v16
	v_cndmask_b32_e64 v116, -4, 0x7c, vcc_lo
; %bb.3731:                             ;   in Loop: Header=BB4_3452 Depth=2
	s_or_b32 exec_lo, exec_lo, s11
.LBB4_3732:                             ;   in Loop: Header=BB4_3452 Depth=2
	s_delay_alu instid0(SALU_CYCLE_1)
	s_or_b32 exec_lo, exec_lo, s10
	flat_load_i8 v16, v[10:11] offset:256 th:TH_LOAD_NT
	v_mov_b32_e32 v17, 0
	s_mov_b32 s10, exec_lo
	s_wait_loadcnt_dscnt 0x0
	v_cmpx_ne_u16_e32 0, v16
	s_cbranch_execz .LBB4_3742
; %bb.3733:                             ;   in Loop: Header=BB4_3452 Depth=2
	v_bfrev_b32_e32 v17, 1
	s_mov_b32 s11, exec_lo
	v_cmpx_ne_u16_e32 0xff80, v16
	s_cbranch_execz .LBB4_3741
; %bb.3734:                             ;   in Loop: Header=BB4_3452 Depth=2
	v_and_b32_e32 v17, 0x7c, v16
	v_and_b32_e32 v2, 3, v16
	s_delay_alu instid0(VALU_DEP_2) | instskip(SKIP_1) | instid1(SALU_CYCLE_1)
	v_cmp_ne_u32_e32 vcc_lo, 0x7c, v17
                                        ; implicit-def: $vgpr17
	s_and_saveexec_b32 s29, vcc_lo
	s_xor_b32 s29, exec_lo, s29
	s_cbranch_execz .LBB4_3738
; %bb.3735:                             ;   in Loop: Header=BB4_3452 Depth=2
	v_and_b32_e32 v17, 0xff, v16
	s_mov_b32 s40, exec_lo
	s_delay_alu instid0(VALU_DEP_1) | instskip(NEXT) | instid1(VALU_DEP_1)
	v_bfe_u32 v17, v17, 2, 5
	v_cmpx_eq_u32_e32 0, v17
; %bb.3736:                             ;   in Loop: Header=BB4_3452 Depth=2
	v_clz_i32_u32_e32 v2, v2
	v_mov_b32_e32 v17, v39
	s_delay_alu instid0(VALU_DEP_2) | instskip(NEXT) | instid1(VALU_DEP_1)
	v_min_u32_e32 v2, 32, v2
	v_subrev_nc_u32_e32 v20, 29, v2
	s_delay_alu instid0(VALU_DEP_1) | instskip(NEXT) | instid1(VALU_DEP_1)
	v_lshlrev_b64_e32 v[20:21], v20, v[16:17]
	v_dual_sub_nc_u32 v17, 30, v2 :: v_dual_bitop2_b32 v2, 3, v20 bitop3:0x40
; %bb.3737:                             ;   in Loop: Header=BB4_3452 Depth=2
	s_or_b32 exec_lo, exec_lo, s40
	v_bfe_i32 v16, v16, 0, 16
	s_delay_alu instid0(VALU_DEP_1) | instskip(NEXT) | instid1(VALU_DEP_1)
	v_and_b32_e32 v16, 0x80000000, v16
	v_lshl_add_u32 v16, v17, 23, v16
	s_delay_alu instid0(VALU_DEP_1) | instskip(NEXT) | instid1(VALU_DEP_1)
	v_lshl_or_b32 v2, v2, 21, v16
                                        ; implicit-def: $vgpr16
	v_add_nc_u32_e32 v17, 0x38000000, v2
                                        ; implicit-def: $vgpr2
.LBB4_3738:                             ;   in Loop: Header=BB4_3452 Depth=2
	s_and_not1_saveexec_b32 s29, s29
; %bb.3739:                             ;   in Loop: Header=BB4_3452 Depth=2
	v_cmp_lt_i16_e32 vcc_lo, -1, v16
	v_cndmask_b32_e32 v16, 0xff800000, v126, vcc_lo
	v_cmp_eq_u32_e32 vcc_lo, 0, v2
	s_delay_alu instid0(VALU_DEP_2)
	v_cndmask_b32_e32 v17, 0x7f800001, v16, vcc_lo
; %bb.3740:                             ;   in Loop: Header=BB4_3452 Depth=2
	s_or_b32 exec_lo, exec_lo, s29
.LBB4_3741:                             ;   in Loop: Header=BB4_3452 Depth=2
	s_delay_alu instid0(SALU_CYCLE_1)
	s_or_b32 exec_lo, exec_lo, s11
.LBB4_3742:                             ;   in Loop: Header=BB4_3452 Depth=2
	s_delay_alu instid0(SALU_CYCLE_1) | instskip(NEXT) | instid1(VALU_DEP_1)
	s_or_b32 exec_lo, exec_lo, s10
	v_dual_mul_f32 v16, s28, v17 :: v_dual_mov_b32 v21, v39
                                        ; implicit-def: $vgpr114
	s_mov_b32 s10, exec_lo
	s_delay_alu instid0(VALU_DEP_1) | instskip(SKIP_1) | instid1(VALU_DEP_2)
	v_and_b32_e32 v20, 0x7f800000, v16
	v_and_b32_e32 v38, 0x7fffff, v16
	v_cmpx_ne_u64_e32 0x7f800000, v[20:21]
	s_xor_b32 s11, exec_lo, s10
	s_cbranch_execz .LBB4_3760
; %bb.3743:                             ;   in Loop: Header=BB4_3452 Depth=2
	v_dual_mov_b32 v21, v39 :: v_dual_lshrrev_b32 v2, 24, v16
	v_and_b32_e32 v20, 0x7fffffff, v16
                                        ; implicit-def: $vgpr114
	s_mov_b32 s10, exec_lo
	s_delay_alu instid0(VALU_DEP_2) | instskip(NEXT) | instid1(VALU_DEP_2)
	v_and_b32_e32 v2, 0x80, v2
	v_cmpx_gt_u64_e32 0x47600001, v[20:21]
	s_xor_b32 s29, exec_lo, s10
	s_cbranch_execz .LBB4_3757
; %bb.3744:                             ;   in Loop: Header=BB4_3452 Depth=2
	v_mov_b32_e32 v114, 0
	s_mov_b32 s40, exec_lo
	v_cmpx_ne_u32_e32 0, v16
	s_cbranch_execz .LBB4_3756
; %bb.3745:                             ;   in Loop: Header=BB4_3452 Depth=2
	v_bfe_u32 v20, v16, 23, 8
	v_or_b32_e32 v24, 0x800000, v38
	s_delay_alu instid0(VALU_DEP_2) | instskip(SKIP_1) | instid1(VALU_DEP_2)
	v_dual_mov_b32 v25, v39 :: v_dual_sub_nc_u32 v16, 0x71, v20
	v_cmp_gt_u32_e32 vcc_lo, 0x72, v20
	v_cndmask_b32_e32 v16, 0, v16, vcc_lo
	v_cmp_eq_u32_e32 vcc_lo, 0, v20
	s_delay_alu instid0(VALU_DEP_2) | instskip(NEXT) | instid1(VALU_DEP_1)
	v_cndmask_b32_e64 v21, v16, 0x70, vcc_lo
	v_dual_cndmask_b32 v24, v24, v38, vcc_lo :: v_dual_add_nc_u32 v16, 21, v21
	v_add_nc_u32_e32 v31, 20, v21
	s_delay_alu instid0(VALU_DEP_2) | instskip(NEXT) | instid1(VALU_DEP_2)
	v_lshlrev_b64_e64 v[16:17], v16, -1
	v_lshlrev_b64_e64 v[82:83], v31, 1
	s_delay_alu instid0(VALU_DEP_2) | instskip(NEXT) | instid1(VALU_DEP_3)
	v_bfi_b32 v85, v17, 0, 0
	v_bfi_b32 v84, v16, 0, v24
	v_lshrrev_b64 v[16:17], v21, v[24:25]
	s_delay_alu instid0(VALU_DEP_2) | instskip(NEXT) | instid1(VALU_DEP_2)
	v_cmp_eq_u64_e64 s10, v[84:85], v[82:83]
	v_mov_b64_e32 v[82:83], v[16:17]
	s_and_saveexec_b32 s41, s10
; %bb.3746:                             ;   in Loop: Header=BB4_3452 Depth=2
	v_bfe_u32 v24, v16, 21, 1
	v_mov_b32_e32 v25, v39
	s_delay_alu instid0(VALU_DEP_1) | instskip(NEXT) | instid1(VALU_DEP_1)
	v_add_nc_u64_e32 v[24:25], v[16:17], v[24:25]
	v_add_nc_u64_e32 v[82:83], -1, v[24:25]
; %bb.3747:                             ;   in Loop: Header=BB4_3452 Depth=2
	s_or_b32 exec_lo, exec_lo, s41
	v_add_nc_u32_e32 v17, 0xffffff81, v20
	s_delay_alu instid0(VALU_DEP_2) | instskip(SKIP_2) | instid1(VALU_DEP_3)
	v_and_b32_e32 v24, 0x1fffff, v82
	v_lshrrev_b32_e32 v20, 23, v16
	s_mov_b32 s10, exec_lo
	v_cndmask_b32_e64 v17, v17, 0xffffff82, vcc_lo
	s_delay_alu instid0(VALU_DEP_3) | instskip(NEXT) | instid1(VALU_DEP_2)
	v_add_nc_u32_e32 v38, v24, v16
	v_add3_u32 v21, v21, v17, v20
                                        ; implicit-def: $vgpr16_vgpr17
                                        ; implicit-def: $vgpr20
	s_delay_alu instid0(VALU_DEP_1) | instskip(NEXT) | instid1(VALU_DEP_1)
	v_add_nc_u32_e32 v82, 14, v21
	v_cmpx_ne_u32_e32 0, v82
	s_xor_b32 s10, exec_lo, s10
; %bb.3748:                             ;   in Loop: Header=BB4_3452 Depth=2
	v_cmp_lt_u64_e32 vcc_lo, 0xffffff, v[38:39]
	v_add_nc_u32_e32 v16, 15, v21
	s_delay_alu instid0(VALU_DEP_1) | instskip(SKIP_1) | instid1(VALU_DEP_1)
	v_cndmask_b32_e32 v20, v82, v16, vcc_lo
	v_cndmask_b32_e64 v16, 0, 1, vcc_lo
	v_lshrrev_b64 v[16:17], v16, v[38:39]
; %bb.3749:                             ;   in Loop: Header=BB4_3452 Depth=2
	s_and_not1_saveexec_b32 s10, s10
; %bb.3750:                             ;   in Loop: Header=BB4_3452 Depth=2
	v_mov_b64_e32 v[16:17], v[38:39]
	v_bfe_u32 v20, v38, 23, 1
; %bb.3751:                             ;   in Loop: Header=BB4_3452 Depth=2
	s_or_b32 exec_lo, exec_lo, s10
	s_delay_alu instid0(VALU_DEP_2) | instskip(NEXT) | instid1(VALU_DEP_2)
	v_lshrrev_b64 v[16:17], 21, v[16:17]
	v_cmp_gt_i32_e32 vcc_lo, 32, v20
	v_cmp_ne_u32_e64 s10, 0, v20
                                        ; implicit-def: $vgpr114
	s_delay_alu instid0(VALU_DEP_3) | instskip(NEXT) | instid1(VALU_DEP_1)
	v_dual_cndmask_b32 v17, 0, v17 :: v_dual_cndmask_b32 v16, 3, v16
	v_cmp_ne_u64_e32 vcc_lo, 0, v[16:17]
	s_or_b32 s10, s10, vcc_lo
	s_delay_alu instid0(SALU_CYCLE_1) | instskip(NEXT) | instid1(SALU_CYCLE_1)
	s_and_saveexec_b32 s41, s10
	s_xor_b32 s10, exec_lo, s41
; %bb.3752:                             ;   in Loop: Header=BB4_3452 Depth=2
	v_min_i32_e32 v17, 31, v20
	s_delay_alu instid0(VALU_DEP_1) | instskip(NEXT) | instid1(VALU_DEP_1)
	v_lshl_or_b32 v2, v17, 2, v2
	v_and_or_b32 v114, v16, 3, v2
                                        ; implicit-def: $vgpr2
; %bb.3753:                             ;   in Loop: Header=BB4_3452 Depth=2
	s_and_not1_saveexec_b32 s10, s10
; %bb.3754:                             ;   in Loop: Header=BB4_3452 Depth=2
	v_mov_b32_e32 v114, v2
; %bb.3755:                             ;   in Loop: Header=BB4_3452 Depth=2
	s_or_b32 exec_lo, exec_lo, s10
.LBB4_3756:                             ;   in Loop: Header=BB4_3452 Depth=2
	s_delay_alu instid0(SALU_CYCLE_1)
	s_or_b32 exec_lo, exec_lo, s40
                                        ; implicit-def: $vgpr2
.LBB4_3757:                             ;   in Loop: Header=BB4_3452 Depth=2
	s_and_not1_saveexec_b32 s10, s29
; %bb.3758:                             ;   in Loop: Header=BB4_3452 Depth=2
	v_or_b32_e32 v114, 0x7b, v2
; %bb.3759:                             ;   in Loop: Header=BB4_3452 Depth=2
	s_or_b32 exec_lo, exec_lo, s10
                                        ; implicit-def: $vgpr16
.LBB4_3760:                             ;   in Loop: Header=BB4_3452 Depth=2
	s_and_not1_saveexec_b32 s10, s11
	s_cbranch_execz .LBB4_3766
; %bb.3761:                             ;   in Loop: Header=BB4_3452 Depth=2
	s_mov_b32 s11, exec_lo
                                        ; implicit-def: $vgpr114
	v_cmpx_ne_u64_e32 0, v[38:39]
	s_xor_b32 s11, exec_lo, s11
; %bb.3762:                             ;   in Loop: Header=BB4_3452 Depth=2
	v_lshrrev_b32_e32 v2, 24, v16
                                        ; implicit-def: $vgpr16
	s_delay_alu instid0(VALU_DEP_1)
	v_or_b32_e32 v114, 0x7f, v2
; %bb.3763:                             ;   in Loop: Header=BB4_3452 Depth=2
	s_and_not1_saveexec_b32 s11, s11
; %bb.3764:                             ;   in Loop: Header=BB4_3452 Depth=2
	v_cmp_lt_i32_e32 vcc_lo, -1, v16
	v_cndmask_b32_e64 v114, -4, 0x7c, vcc_lo
; %bb.3765:                             ;   in Loop: Header=BB4_3452 Depth=2
	s_or_b32 exec_lo, exec_lo, s11
.LBB4_3766:                             ;   in Loop: Header=BB4_3452 Depth=2
	s_delay_alu instid0(SALU_CYCLE_1)
	s_or_b32 exec_lo, exec_lo, s10
	flat_load_i8 v16, v[10:11] offset:288 th:TH_LOAD_NT
	v_mov_b32_e32 v17, 0
	s_mov_b32 s10, exec_lo
	s_wait_loadcnt_dscnt 0x0
	v_cmpx_ne_u16_e32 0, v16
	s_cbranch_execz .LBB4_3776
; %bb.3767:                             ;   in Loop: Header=BB4_3452 Depth=2
	v_bfrev_b32_e32 v17, 1
	s_mov_b32 s11, exec_lo
	v_cmpx_ne_u16_e32 0xff80, v16
	s_cbranch_execz .LBB4_3775
; %bb.3768:                             ;   in Loop: Header=BB4_3452 Depth=2
	v_and_b32_e32 v17, 0x7c, v16
	v_and_b32_e32 v2, 3, v16
	s_delay_alu instid0(VALU_DEP_2) | instskip(SKIP_1) | instid1(SALU_CYCLE_1)
	v_cmp_ne_u32_e32 vcc_lo, 0x7c, v17
                                        ; implicit-def: $vgpr17
	s_and_saveexec_b32 s29, vcc_lo
	s_xor_b32 s29, exec_lo, s29
	s_cbranch_execz .LBB4_3772
; %bb.3769:                             ;   in Loop: Header=BB4_3452 Depth=2
	v_and_b32_e32 v17, 0xff, v16
	s_mov_b32 s40, exec_lo
	s_delay_alu instid0(VALU_DEP_1) | instskip(NEXT) | instid1(VALU_DEP_1)
	v_bfe_u32 v17, v17, 2, 5
	v_cmpx_eq_u32_e32 0, v17
; %bb.3770:                             ;   in Loop: Header=BB4_3452 Depth=2
	v_clz_i32_u32_e32 v2, v2
	v_mov_b32_e32 v17, v39
	s_delay_alu instid0(VALU_DEP_2) | instskip(NEXT) | instid1(VALU_DEP_1)
	v_min_u32_e32 v2, 32, v2
	v_subrev_nc_u32_e32 v20, 29, v2
	s_delay_alu instid0(VALU_DEP_1) | instskip(NEXT) | instid1(VALU_DEP_1)
	v_lshlrev_b64_e32 v[20:21], v20, v[16:17]
	v_dual_sub_nc_u32 v17, 30, v2 :: v_dual_bitop2_b32 v2, 3, v20 bitop3:0x40
; %bb.3771:                             ;   in Loop: Header=BB4_3452 Depth=2
	s_or_b32 exec_lo, exec_lo, s40
	v_bfe_i32 v16, v16, 0, 16
	s_delay_alu instid0(VALU_DEP_1) | instskip(NEXT) | instid1(VALU_DEP_1)
	v_and_b32_e32 v16, 0x80000000, v16
	v_lshl_add_u32 v16, v17, 23, v16
	s_delay_alu instid0(VALU_DEP_1) | instskip(NEXT) | instid1(VALU_DEP_1)
	v_lshl_or_b32 v2, v2, 21, v16
                                        ; implicit-def: $vgpr16
	v_add_nc_u32_e32 v17, 0x38000000, v2
                                        ; implicit-def: $vgpr2
.LBB4_3772:                             ;   in Loop: Header=BB4_3452 Depth=2
	s_and_not1_saveexec_b32 s29, s29
; %bb.3773:                             ;   in Loop: Header=BB4_3452 Depth=2
	v_cmp_lt_i16_e32 vcc_lo, -1, v16
	v_cndmask_b32_e32 v16, 0xff800000, v126, vcc_lo
	v_cmp_eq_u32_e32 vcc_lo, 0, v2
	s_delay_alu instid0(VALU_DEP_2)
	v_cndmask_b32_e32 v17, 0x7f800001, v16, vcc_lo
; %bb.3774:                             ;   in Loop: Header=BB4_3452 Depth=2
	s_or_b32 exec_lo, exec_lo, s29
.LBB4_3775:                             ;   in Loop: Header=BB4_3452 Depth=2
	s_delay_alu instid0(SALU_CYCLE_1)
	s_or_b32 exec_lo, exec_lo, s11
.LBB4_3776:                             ;   in Loop: Header=BB4_3452 Depth=2
	s_delay_alu instid0(SALU_CYCLE_1) | instskip(NEXT) | instid1(VALU_DEP_1)
	s_or_b32 exec_lo, exec_lo, s10
	v_dual_mul_f32 v16, s28, v17 :: v_dual_mov_b32 v21, v39
                                        ; implicit-def: $vgpr112
	s_mov_b32 s10, exec_lo
	s_delay_alu instid0(VALU_DEP_1) | instskip(SKIP_1) | instid1(VALU_DEP_2)
	v_and_b32_e32 v20, 0x7f800000, v16
	v_and_b32_e32 v38, 0x7fffff, v16
	v_cmpx_ne_u64_e32 0x7f800000, v[20:21]
	s_xor_b32 s11, exec_lo, s10
	s_cbranch_execz .LBB4_3794
; %bb.3777:                             ;   in Loop: Header=BB4_3452 Depth=2
	v_dual_mov_b32 v21, v39 :: v_dual_lshrrev_b32 v2, 24, v16
	v_and_b32_e32 v20, 0x7fffffff, v16
                                        ; implicit-def: $vgpr112
	s_mov_b32 s10, exec_lo
	s_delay_alu instid0(VALU_DEP_2) | instskip(NEXT) | instid1(VALU_DEP_2)
	v_and_b32_e32 v2, 0x80, v2
	v_cmpx_gt_u64_e32 0x47600001, v[20:21]
	s_xor_b32 s29, exec_lo, s10
	s_cbranch_execz .LBB4_3791
; %bb.3778:                             ;   in Loop: Header=BB4_3452 Depth=2
	v_mov_b32_e32 v112, 0
	s_mov_b32 s40, exec_lo
	v_cmpx_ne_u32_e32 0, v16
	s_cbranch_execz .LBB4_3790
; %bb.3779:                             ;   in Loop: Header=BB4_3452 Depth=2
	v_bfe_u32 v20, v16, 23, 8
	v_or_b32_e32 v24, 0x800000, v38
	s_delay_alu instid0(VALU_DEP_2) | instskip(SKIP_1) | instid1(VALU_DEP_2)
	v_dual_mov_b32 v25, v39 :: v_dual_sub_nc_u32 v16, 0x71, v20
	v_cmp_gt_u32_e32 vcc_lo, 0x72, v20
	v_cndmask_b32_e32 v16, 0, v16, vcc_lo
	v_cmp_eq_u32_e32 vcc_lo, 0, v20
	s_delay_alu instid0(VALU_DEP_2) | instskip(NEXT) | instid1(VALU_DEP_1)
	v_cndmask_b32_e64 v21, v16, 0x70, vcc_lo
	v_dual_cndmask_b32 v24, v24, v38, vcc_lo :: v_dual_add_nc_u32 v16, 21, v21
	v_add_nc_u32_e32 v31, 20, v21
	s_delay_alu instid0(VALU_DEP_2) | instskip(NEXT) | instid1(VALU_DEP_2)
	v_lshlrev_b64_e64 v[16:17], v16, -1
	v_lshlrev_b64_e64 v[82:83], v31, 1
	s_delay_alu instid0(VALU_DEP_2) | instskip(NEXT) | instid1(VALU_DEP_3)
	v_bfi_b32 v85, v17, 0, 0
	v_bfi_b32 v84, v16, 0, v24
	v_lshrrev_b64 v[16:17], v21, v[24:25]
	s_delay_alu instid0(VALU_DEP_2) | instskip(NEXT) | instid1(VALU_DEP_2)
	v_cmp_eq_u64_e64 s10, v[84:85], v[82:83]
	v_mov_b64_e32 v[82:83], v[16:17]
	s_and_saveexec_b32 s41, s10
; %bb.3780:                             ;   in Loop: Header=BB4_3452 Depth=2
	v_bfe_u32 v24, v16, 21, 1
	v_mov_b32_e32 v25, v39
	s_delay_alu instid0(VALU_DEP_1) | instskip(NEXT) | instid1(VALU_DEP_1)
	v_add_nc_u64_e32 v[24:25], v[16:17], v[24:25]
	v_add_nc_u64_e32 v[82:83], -1, v[24:25]
; %bb.3781:                             ;   in Loop: Header=BB4_3452 Depth=2
	s_or_b32 exec_lo, exec_lo, s41
	v_add_nc_u32_e32 v17, 0xffffff81, v20
	s_delay_alu instid0(VALU_DEP_2) | instskip(SKIP_2) | instid1(VALU_DEP_3)
	v_and_b32_e32 v24, 0x1fffff, v82
	v_lshrrev_b32_e32 v20, 23, v16
	s_mov_b32 s10, exec_lo
	v_cndmask_b32_e64 v17, v17, 0xffffff82, vcc_lo
	s_delay_alu instid0(VALU_DEP_3) | instskip(NEXT) | instid1(VALU_DEP_2)
	v_add_nc_u32_e32 v38, v24, v16
	v_add3_u32 v21, v21, v17, v20
                                        ; implicit-def: $vgpr16_vgpr17
                                        ; implicit-def: $vgpr20
	s_delay_alu instid0(VALU_DEP_1) | instskip(NEXT) | instid1(VALU_DEP_1)
	v_add_nc_u32_e32 v82, 14, v21
	v_cmpx_ne_u32_e32 0, v82
	s_xor_b32 s10, exec_lo, s10
; %bb.3782:                             ;   in Loop: Header=BB4_3452 Depth=2
	v_cmp_lt_u64_e32 vcc_lo, 0xffffff, v[38:39]
	v_add_nc_u32_e32 v16, 15, v21
	s_delay_alu instid0(VALU_DEP_1) | instskip(SKIP_1) | instid1(VALU_DEP_1)
	v_cndmask_b32_e32 v20, v82, v16, vcc_lo
	v_cndmask_b32_e64 v16, 0, 1, vcc_lo
	v_lshrrev_b64 v[16:17], v16, v[38:39]
; %bb.3783:                             ;   in Loop: Header=BB4_3452 Depth=2
	s_and_not1_saveexec_b32 s10, s10
; %bb.3784:                             ;   in Loop: Header=BB4_3452 Depth=2
	v_mov_b64_e32 v[16:17], v[38:39]
	v_bfe_u32 v20, v38, 23, 1
; %bb.3785:                             ;   in Loop: Header=BB4_3452 Depth=2
	s_or_b32 exec_lo, exec_lo, s10
	s_delay_alu instid0(VALU_DEP_2) | instskip(NEXT) | instid1(VALU_DEP_2)
	v_lshrrev_b64 v[16:17], 21, v[16:17]
	v_cmp_gt_i32_e32 vcc_lo, 32, v20
	v_cmp_ne_u32_e64 s10, 0, v20
                                        ; implicit-def: $vgpr112
	s_delay_alu instid0(VALU_DEP_3) | instskip(NEXT) | instid1(VALU_DEP_1)
	v_dual_cndmask_b32 v17, 0, v17 :: v_dual_cndmask_b32 v16, 3, v16
	v_cmp_ne_u64_e32 vcc_lo, 0, v[16:17]
	s_or_b32 s10, s10, vcc_lo
	s_delay_alu instid0(SALU_CYCLE_1) | instskip(NEXT) | instid1(SALU_CYCLE_1)
	s_and_saveexec_b32 s41, s10
	s_xor_b32 s10, exec_lo, s41
; %bb.3786:                             ;   in Loop: Header=BB4_3452 Depth=2
	v_min_i32_e32 v17, 31, v20
	s_delay_alu instid0(VALU_DEP_1) | instskip(NEXT) | instid1(VALU_DEP_1)
	v_lshl_or_b32 v2, v17, 2, v2
	v_and_or_b32 v112, v16, 3, v2
                                        ; implicit-def: $vgpr2
; %bb.3787:                             ;   in Loop: Header=BB4_3452 Depth=2
	s_and_not1_saveexec_b32 s10, s10
; %bb.3788:                             ;   in Loop: Header=BB4_3452 Depth=2
	v_mov_b32_e32 v112, v2
; %bb.3789:                             ;   in Loop: Header=BB4_3452 Depth=2
	s_or_b32 exec_lo, exec_lo, s10
.LBB4_3790:                             ;   in Loop: Header=BB4_3452 Depth=2
	s_delay_alu instid0(SALU_CYCLE_1)
	s_or_b32 exec_lo, exec_lo, s40
                                        ; implicit-def: $vgpr2
.LBB4_3791:                             ;   in Loop: Header=BB4_3452 Depth=2
	s_and_not1_saveexec_b32 s10, s29
; %bb.3792:                             ;   in Loop: Header=BB4_3452 Depth=2
	v_or_b32_e32 v112, 0x7b, v2
; %bb.3793:                             ;   in Loop: Header=BB4_3452 Depth=2
	s_or_b32 exec_lo, exec_lo, s10
                                        ; implicit-def: $vgpr16
.LBB4_3794:                             ;   in Loop: Header=BB4_3452 Depth=2
	s_and_not1_saveexec_b32 s10, s11
	s_cbranch_execz .LBB4_3800
; %bb.3795:                             ;   in Loop: Header=BB4_3452 Depth=2
	s_mov_b32 s11, exec_lo
                                        ; implicit-def: $vgpr112
	v_cmpx_ne_u64_e32 0, v[38:39]
	s_xor_b32 s11, exec_lo, s11
; %bb.3796:                             ;   in Loop: Header=BB4_3452 Depth=2
	v_lshrrev_b32_e32 v2, 24, v16
                                        ; implicit-def: $vgpr16
	s_delay_alu instid0(VALU_DEP_1)
	v_or_b32_e32 v112, 0x7f, v2
; %bb.3797:                             ;   in Loop: Header=BB4_3452 Depth=2
	s_and_not1_saveexec_b32 s11, s11
; %bb.3798:                             ;   in Loop: Header=BB4_3452 Depth=2
	v_cmp_lt_i32_e32 vcc_lo, -1, v16
	v_cndmask_b32_e64 v112, -4, 0x7c, vcc_lo
; %bb.3799:                             ;   in Loop: Header=BB4_3452 Depth=2
	s_or_b32 exec_lo, exec_lo, s11
.LBB4_3800:                             ;   in Loop: Header=BB4_3452 Depth=2
	s_delay_alu instid0(SALU_CYCLE_1)
	s_or_b32 exec_lo, exec_lo, s10
	flat_load_i8 v16, v[10:11] offset:320 th:TH_LOAD_NT
	v_mov_b32_e32 v17, 0
	s_mov_b32 s10, exec_lo
	s_wait_loadcnt_dscnt 0x0
	v_cmpx_ne_u16_e32 0, v16
	s_cbranch_execz .LBB4_3810
; %bb.3801:                             ;   in Loop: Header=BB4_3452 Depth=2
	v_bfrev_b32_e32 v17, 1
	s_mov_b32 s11, exec_lo
	v_cmpx_ne_u16_e32 0xff80, v16
	s_cbranch_execz .LBB4_3809
; %bb.3802:                             ;   in Loop: Header=BB4_3452 Depth=2
	v_and_b32_e32 v17, 0x7c, v16
	v_and_b32_e32 v2, 3, v16
	s_delay_alu instid0(VALU_DEP_2) | instskip(SKIP_1) | instid1(SALU_CYCLE_1)
	v_cmp_ne_u32_e32 vcc_lo, 0x7c, v17
                                        ; implicit-def: $vgpr17
	s_and_saveexec_b32 s29, vcc_lo
	s_xor_b32 s29, exec_lo, s29
	s_cbranch_execz .LBB4_3806
; %bb.3803:                             ;   in Loop: Header=BB4_3452 Depth=2
	v_and_b32_e32 v17, 0xff, v16
	s_mov_b32 s40, exec_lo
	s_delay_alu instid0(VALU_DEP_1) | instskip(NEXT) | instid1(VALU_DEP_1)
	v_bfe_u32 v17, v17, 2, 5
	v_cmpx_eq_u32_e32 0, v17
; %bb.3804:                             ;   in Loop: Header=BB4_3452 Depth=2
	v_clz_i32_u32_e32 v2, v2
	v_mov_b32_e32 v17, v39
	s_delay_alu instid0(VALU_DEP_2) | instskip(NEXT) | instid1(VALU_DEP_1)
	v_min_u32_e32 v2, 32, v2
	v_subrev_nc_u32_e32 v20, 29, v2
	s_delay_alu instid0(VALU_DEP_1) | instskip(NEXT) | instid1(VALU_DEP_1)
	v_lshlrev_b64_e32 v[20:21], v20, v[16:17]
	v_dual_sub_nc_u32 v17, 30, v2 :: v_dual_bitop2_b32 v2, 3, v20 bitop3:0x40
; %bb.3805:                             ;   in Loop: Header=BB4_3452 Depth=2
	s_or_b32 exec_lo, exec_lo, s40
	v_bfe_i32 v16, v16, 0, 16
	s_delay_alu instid0(VALU_DEP_1) | instskip(NEXT) | instid1(VALU_DEP_1)
	v_and_b32_e32 v16, 0x80000000, v16
	v_lshl_add_u32 v16, v17, 23, v16
	s_delay_alu instid0(VALU_DEP_1) | instskip(NEXT) | instid1(VALU_DEP_1)
	v_lshl_or_b32 v2, v2, 21, v16
                                        ; implicit-def: $vgpr16
	v_add_nc_u32_e32 v17, 0x38000000, v2
                                        ; implicit-def: $vgpr2
.LBB4_3806:                             ;   in Loop: Header=BB4_3452 Depth=2
	s_and_not1_saveexec_b32 s29, s29
; %bb.3807:                             ;   in Loop: Header=BB4_3452 Depth=2
	v_cmp_lt_i16_e32 vcc_lo, -1, v16
	v_cndmask_b32_e32 v16, 0xff800000, v126, vcc_lo
	v_cmp_eq_u32_e32 vcc_lo, 0, v2
	s_delay_alu instid0(VALU_DEP_2)
	v_cndmask_b32_e32 v17, 0x7f800001, v16, vcc_lo
; %bb.3808:                             ;   in Loop: Header=BB4_3452 Depth=2
	s_or_b32 exec_lo, exec_lo, s29
.LBB4_3809:                             ;   in Loop: Header=BB4_3452 Depth=2
	s_delay_alu instid0(SALU_CYCLE_1)
	s_or_b32 exec_lo, exec_lo, s11
.LBB4_3810:                             ;   in Loop: Header=BB4_3452 Depth=2
	s_delay_alu instid0(SALU_CYCLE_1) | instskip(NEXT) | instid1(VALU_DEP_1)
	s_or_b32 exec_lo, exec_lo, s10
	v_dual_mul_f32 v16, s28, v17 :: v_dual_mov_b32 v21, v39
                                        ; implicit-def: $vgpr100
	s_mov_b32 s10, exec_lo
	s_delay_alu instid0(VALU_DEP_1) | instskip(SKIP_1) | instid1(VALU_DEP_2)
	v_and_b32_e32 v20, 0x7f800000, v16
	v_and_b32_e32 v38, 0x7fffff, v16
	v_cmpx_ne_u64_e32 0x7f800000, v[20:21]
	s_xor_b32 s11, exec_lo, s10
	s_cbranch_execz .LBB4_3828
; %bb.3811:                             ;   in Loop: Header=BB4_3452 Depth=2
	v_dual_mov_b32 v21, v39 :: v_dual_lshrrev_b32 v2, 24, v16
	v_and_b32_e32 v20, 0x7fffffff, v16
                                        ; implicit-def: $vgpr100
	s_mov_b32 s10, exec_lo
	s_delay_alu instid0(VALU_DEP_2) | instskip(NEXT) | instid1(VALU_DEP_2)
	v_and_b32_e32 v2, 0x80, v2
	v_cmpx_gt_u64_e32 0x47600001, v[20:21]
	s_xor_b32 s29, exec_lo, s10
	s_cbranch_execz .LBB4_3825
; %bb.3812:                             ;   in Loop: Header=BB4_3452 Depth=2
	v_mov_b32_e32 v100, 0
	s_mov_b32 s40, exec_lo
	v_cmpx_ne_u32_e32 0, v16
	s_cbranch_execz .LBB4_3824
; %bb.3813:                             ;   in Loop: Header=BB4_3452 Depth=2
	v_bfe_u32 v20, v16, 23, 8
	v_or_b32_e32 v24, 0x800000, v38
	s_delay_alu instid0(VALU_DEP_2) | instskip(SKIP_1) | instid1(VALU_DEP_2)
	v_dual_mov_b32 v25, v39 :: v_dual_sub_nc_u32 v16, 0x71, v20
	v_cmp_gt_u32_e32 vcc_lo, 0x72, v20
	v_cndmask_b32_e32 v16, 0, v16, vcc_lo
	v_cmp_eq_u32_e32 vcc_lo, 0, v20
	s_delay_alu instid0(VALU_DEP_2) | instskip(NEXT) | instid1(VALU_DEP_1)
	v_cndmask_b32_e64 v21, v16, 0x70, vcc_lo
	v_dual_cndmask_b32 v24, v24, v38, vcc_lo :: v_dual_add_nc_u32 v16, 21, v21
	v_add_nc_u32_e32 v31, 20, v21
	s_delay_alu instid0(VALU_DEP_2) | instskip(NEXT) | instid1(VALU_DEP_2)
	v_lshlrev_b64_e64 v[16:17], v16, -1
	v_lshlrev_b64_e64 v[82:83], v31, 1
	s_delay_alu instid0(VALU_DEP_2) | instskip(NEXT) | instid1(VALU_DEP_3)
	v_bfi_b32 v85, v17, 0, 0
	v_bfi_b32 v84, v16, 0, v24
	v_lshrrev_b64 v[16:17], v21, v[24:25]
	s_delay_alu instid0(VALU_DEP_2) | instskip(NEXT) | instid1(VALU_DEP_2)
	v_cmp_eq_u64_e64 s10, v[84:85], v[82:83]
	v_mov_b64_e32 v[82:83], v[16:17]
	s_and_saveexec_b32 s41, s10
; %bb.3814:                             ;   in Loop: Header=BB4_3452 Depth=2
	v_bfe_u32 v24, v16, 21, 1
	v_mov_b32_e32 v25, v39
	s_delay_alu instid0(VALU_DEP_1) | instskip(NEXT) | instid1(VALU_DEP_1)
	v_add_nc_u64_e32 v[24:25], v[16:17], v[24:25]
	v_add_nc_u64_e32 v[82:83], -1, v[24:25]
; %bb.3815:                             ;   in Loop: Header=BB4_3452 Depth=2
	s_or_b32 exec_lo, exec_lo, s41
	v_add_nc_u32_e32 v17, 0xffffff81, v20
	s_delay_alu instid0(VALU_DEP_2) | instskip(SKIP_2) | instid1(VALU_DEP_3)
	v_and_b32_e32 v24, 0x1fffff, v82
	v_lshrrev_b32_e32 v20, 23, v16
	s_mov_b32 s10, exec_lo
	v_cndmask_b32_e64 v17, v17, 0xffffff82, vcc_lo
	s_delay_alu instid0(VALU_DEP_3) | instskip(NEXT) | instid1(VALU_DEP_2)
	v_add_nc_u32_e32 v38, v24, v16
	v_add3_u32 v21, v21, v17, v20
                                        ; implicit-def: $vgpr16_vgpr17
                                        ; implicit-def: $vgpr20
	s_delay_alu instid0(VALU_DEP_1) | instskip(NEXT) | instid1(VALU_DEP_1)
	v_add_nc_u32_e32 v82, 14, v21
	v_cmpx_ne_u32_e32 0, v82
	s_xor_b32 s10, exec_lo, s10
; %bb.3816:                             ;   in Loop: Header=BB4_3452 Depth=2
	v_cmp_lt_u64_e32 vcc_lo, 0xffffff, v[38:39]
	v_add_nc_u32_e32 v16, 15, v21
	s_delay_alu instid0(VALU_DEP_1) | instskip(SKIP_1) | instid1(VALU_DEP_1)
	v_cndmask_b32_e32 v20, v82, v16, vcc_lo
	v_cndmask_b32_e64 v16, 0, 1, vcc_lo
	v_lshrrev_b64 v[16:17], v16, v[38:39]
; %bb.3817:                             ;   in Loop: Header=BB4_3452 Depth=2
	s_and_not1_saveexec_b32 s10, s10
; %bb.3818:                             ;   in Loop: Header=BB4_3452 Depth=2
	v_mov_b64_e32 v[16:17], v[38:39]
	v_bfe_u32 v20, v38, 23, 1
; %bb.3819:                             ;   in Loop: Header=BB4_3452 Depth=2
	s_or_b32 exec_lo, exec_lo, s10
	s_delay_alu instid0(VALU_DEP_2) | instskip(NEXT) | instid1(VALU_DEP_2)
	v_lshrrev_b64 v[16:17], 21, v[16:17]
	v_cmp_gt_i32_e32 vcc_lo, 32, v20
	v_cmp_ne_u32_e64 s10, 0, v20
                                        ; implicit-def: $vgpr100
	s_delay_alu instid0(VALU_DEP_3) | instskip(NEXT) | instid1(VALU_DEP_1)
	v_dual_cndmask_b32 v17, 0, v17 :: v_dual_cndmask_b32 v16, 3, v16
	v_cmp_ne_u64_e32 vcc_lo, 0, v[16:17]
	s_or_b32 s10, s10, vcc_lo
	s_delay_alu instid0(SALU_CYCLE_1) | instskip(NEXT) | instid1(SALU_CYCLE_1)
	s_and_saveexec_b32 s41, s10
	s_xor_b32 s10, exec_lo, s41
; %bb.3820:                             ;   in Loop: Header=BB4_3452 Depth=2
	v_min_i32_e32 v17, 31, v20
	s_delay_alu instid0(VALU_DEP_1) | instskip(NEXT) | instid1(VALU_DEP_1)
	v_lshl_or_b32 v2, v17, 2, v2
	v_and_or_b32 v100, v16, 3, v2
                                        ; implicit-def: $vgpr2
; %bb.3821:                             ;   in Loop: Header=BB4_3452 Depth=2
	s_and_not1_saveexec_b32 s10, s10
; %bb.3822:                             ;   in Loop: Header=BB4_3452 Depth=2
	v_mov_b32_e32 v100, v2
; %bb.3823:                             ;   in Loop: Header=BB4_3452 Depth=2
	s_or_b32 exec_lo, exec_lo, s10
.LBB4_3824:                             ;   in Loop: Header=BB4_3452 Depth=2
	s_delay_alu instid0(SALU_CYCLE_1)
	s_or_b32 exec_lo, exec_lo, s40
                                        ; implicit-def: $vgpr2
.LBB4_3825:                             ;   in Loop: Header=BB4_3452 Depth=2
	s_and_not1_saveexec_b32 s10, s29
; %bb.3826:                             ;   in Loop: Header=BB4_3452 Depth=2
	v_or_b32_e32 v100, 0x7b, v2
; %bb.3827:                             ;   in Loop: Header=BB4_3452 Depth=2
	s_or_b32 exec_lo, exec_lo, s10
                                        ; implicit-def: $vgpr16
.LBB4_3828:                             ;   in Loop: Header=BB4_3452 Depth=2
	s_and_not1_saveexec_b32 s10, s11
	s_cbranch_execz .LBB4_3834
; %bb.3829:                             ;   in Loop: Header=BB4_3452 Depth=2
	s_mov_b32 s11, exec_lo
                                        ; implicit-def: $vgpr100
	v_cmpx_ne_u64_e32 0, v[38:39]
	s_xor_b32 s11, exec_lo, s11
; %bb.3830:                             ;   in Loop: Header=BB4_3452 Depth=2
	v_lshrrev_b32_e32 v2, 24, v16
                                        ; implicit-def: $vgpr16
	s_delay_alu instid0(VALU_DEP_1)
	v_or_b32_e32 v100, 0x7f, v2
; %bb.3831:                             ;   in Loop: Header=BB4_3452 Depth=2
	s_and_not1_saveexec_b32 s11, s11
; %bb.3832:                             ;   in Loop: Header=BB4_3452 Depth=2
	v_cmp_lt_i32_e32 vcc_lo, -1, v16
	v_cndmask_b32_e64 v100, -4, 0x7c, vcc_lo
; %bb.3833:                             ;   in Loop: Header=BB4_3452 Depth=2
	s_or_b32 exec_lo, exec_lo, s11
.LBB4_3834:                             ;   in Loop: Header=BB4_3452 Depth=2
	s_delay_alu instid0(SALU_CYCLE_1)
	s_or_b32 exec_lo, exec_lo, s10
	flat_load_i8 v16, v[10:11] offset:352 th:TH_LOAD_NT
	v_mov_b32_e32 v17, 0
	s_mov_b32 s10, exec_lo
	s_wait_loadcnt_dscnt 0x0
	v_cmpx_ne_u16_e32 0, v16
	s_cbranch_execz .LBB4_3844
; %bb.3835:                             ;   in Loop: Header=BB4_3452 Depth=2
	v_bfrev_b32_e32 v17, 1
	s_mov_b32 s11, exec_lo
	v_cmpx_ne_u16_e32 0xff80, v16
	s_cbranch_execz .LBB4_3843
; %bb.3836:                             ;   in Loop: Header=BB4_3452 Depth=2
	v_and_b32_e32 v17, 0x7c, v16
	v_and_b32_e32 v2, 3, v16
	s_delay_alu instid0(VALU_DEP_2) | instskip(SKIP_1) | instid1(SALU_CYCLE_1)
	v_cmp_ne_u32_e32 vcc_lo, 0x7c, v17
                                        ; implicit-def: $vgpr17
	s_and_saveexec_b32 s29, vcc_lo
	s_xor_b32 s29, exec_lo, s29
	s_cbranch_execz .LBB4_3840
; %bb.3837:                             ;   in Loop: Header=BB4_3452 Depth=2
	v_and_b32_e32 v17, 0xff, v16
	s_mov_b32 s40, exec_lo
	s_delay_alu instid0(VALU_DEP_1) | instskip(NEXT) | instid1(VALU_DEP_1)
	v_bfe_u32 v17, v17, 2, 5
	v_cmpx_eq_u32_e32 0, v17
; %bb.3838:                             ;   in Loop: Header=BB4_3452 Depth=2
	v_clz_i32_u32_e32 v2, v2
	v_mov_b32_e32 v17, v39
	s_delay_alu instid0(VALU_DEP_2) | instskip(NEXT) | instid1(VALU_DEP_1)
	v_min_u32_e32 v2, 32, v2
	v_subrev_nc_u32_e32 v20, 29, v2
	s_delay_alu instid0(VALU_DEP_1) | instskip(NEXT) | instid1(VALU_DEP_1)
	v_lshlrev_b64_e32 v[20:21], v20, v[16:17]
	v_dual_sub_nc_u32 v17, 30, v2 :: v_dual_bitop2_b32 v2, 3, v20 bitop3:0x40
; %bb.3839:                             ;   in Loop: Header=BB4_3452 Depth=2
	s_or_b32 exec_lo, exec_lo, s40
	v_bfe_i32 v16, v16, 0, 16
	s_delay_alu instid0(VALU_DEP_1) | instskip(NEXT) | instid1(VALU_DEP_1)
	v_and_b32_e32 v16, 0x80000000, v16
	v_lshl_add_u32 v16, v17, 23, v16
	s_delay_alu instid0(VALU_DEP_1) | instskip(NEXT) | instid1(VALU_DEP_1)
	v_lshl_or_b32 v2, v2, 21, v16
                                        ; implicit-def: $vgpr16
	v_add_nc_u32_e32 v17, 0x38000000, v2
                                        ; implicit-def: $vgpr2
.LBB4_3840:                             ;   in Loop: Header=BB4_3452 Depth=2
	s_and_not1_saveexec_b32 s29, s29
; %bb.3841:                             ;   in Loop: Header=BB4_3452 Depth=2
	v_cmp_lt_i16_e32 vcc_lo, -1, v16
	v_cndmask_b32_e32 v16, 0xff800000, v126, vcc_lo
	v_cmp_eq_u32_e32 vcc_lo, 0, v2
	s_delay_alu instid0(VALU_DEP_2)
	v_cndmask_b32_e32 v17, 0x7f800001, v16, vcc_lo
; %bb.3842:                             ;   in Loop: Header=BB4_3452 Depth=2
	s_or_b32 exec_lo, exec_lo, s29
.LBB4_3843:                             ;   in Loop: Header=BB4_3452 Depth=2
	s_delay_alu instid0(SALU_CYCLE_1)
	s_or_b32 exec_lo, exec_lo, s11
.LBB4_3844:                             ;   in Loop: Header=BB4_3452 Depth=2
	s_delay_alu instid0(SALU_CYCLE_1) | instskip(NEXT) | instid1(VALU_DEP_1)
	s_or_b32 exec_lo, exec_lo, s10
	v_dual_mul_f32 v16, s28, v17 :: v_dual_mov_b32 v21, v39
                                        ; implicit-def: $vgpr98
	s_mov_b32 s10, exec_lo
	s_delay_alu instid0(VALU_DEP_1) | instskip(SKIP_1) | instid1(VALU_DEP_2)
	v_and_b32_e32 v20, 0x7f800000, v16
	v_and_b32_e32 v38, 0x7fffff, v16
	v_cmpx_ne_u64_e32 0x7f800000, v[20:21]
	s_xor_b32 s11, exec_lo, s10
	s_cbranch_execz .LBB4_3862
; %bb.3845:                             ;   in Loop: Header=BB4_3452 Depth=2
	v_dual_mov_b32 v21, v39 :: v_dual_lshrrev_b32 v2, 24, v16
	v_and_b32_e32 v20, 0x7fffffff, v16
                                        ; implicit-def: $vgpr98
	s_mov_b32 s10, exec_lo
	s_delay_alu instid0(VALU_DEP_2) | instskip(NEXT) | instid1(VALU_DEP_2)
	v_and_b32_e32 v2, 0x80, v2
	v_cmpx_gt_u64_e32 0x47600001, v[20:21]
	s_xor_b32 s29, exec_lo, s10
	s_cbranch_execz .LBB4_3859
; %bb.3846:                             ;   in Loop: Header=BB4_3452 Depth=2
	v_mov_b32_e32 v98, 0
	s_mov_b32 s40, exec_lo
	v_cmpx_ne_u32_e32 0, v16
	s_cbranch_execz .LBB4_3858
; %bb.3847:                             ;   in Loop: Header=BB4_3452 Depth=2
	v_bfe_u32 v20, v16, 23, 8
	v_or_b32_e32 v24, 0x800000, v38
	s_delay_alu instid0(VALU_DEP_2) | instskip(SKIP_1) | instid1(VALU_DEP_2)
	v_dual_mov_b32 v25, v39 :: v_dual_sub_nc_u32 v16, 0x71, v20
	v_cmp_gt_u32_e32 vcc_lo, 0x72, v20
	v_cndmask_b32_e32 v16, 0, v16, vcc_lo
	v_cmp_eq_u32_e32 vcc_lo, 0, v20
	s_delay_alu instid0(VALU_DEP_2) | instskip(NEXT) | instid1(VALU_DEP_1)
	v_cndmask_b32_e64 v21, v16, 0x70, vcc_lo
	v_dual_cndmask_b32 v24, v24, v38, vcc_lo :: v_dual_add_nc_u32 v16, 21, v21
	v_add_nc_u32_e32 v31, 20, v21
	s_delay_alu instid0(VALU_DEP_2) | instskip(NEXT) | instid1(VALU_DEP_2)
	v_lshlrev_b64_e64 v[16:17], v16, -1
	v_lshlrev_b64_e64 v[82:83], v31, 1
	s_delay_alu instid0(VALU_DEP_2) | instskip(NEXT) | instid1(VALU_DEP_3)
	v_bfi_b32 v85, v17, 0, 0
	v_bfi_b32 v84, v16, 0, v24
	v_lshrrev_b64 v[16:17], v21, v[24:25]
	s_delay_alu instid0(VALU_DEP_2) | instskip(NEXT) | instid1(VALU_DEP_2)
	v_cmp_eq_u64_e64 s10, v[84:85], v[82:83]
	v_mov_b64_e32 v[82:83], v[16:17]
	s_and_saveexec_b32 s41, s10
; %bb.3848:                             ;   in Loop: Header=BB4_3452 Depth=2
	v_bfe_u32 v24, v16, 21, 1
	v_mov_b32_e32 v25, v39
	s_delay_alu instid0(VALU_DEP_1) | instskip(NEXT) | instid1(VALU_DEP_1)
	v_add_nc_u64_e32 v[24:25], v[16:17], v[24:25]
	v_add_nc_u64_e32 v[82:83], -1, v[24:25]
; %bb.3849:                             ;   in Loop: Header=BB4_3452 Depth=2
	s_or_b32 exec_lo, exec_lo, s41
	v_add_nc_u32_e32 v17, 0xffffff81, v20
	s_delay_alu instid0(VALU_DEP_2) | instskip(SKIP_2) | instid1(VALU_DEP_3)
	v_and_b32_e32 v24, 0x1fffff, v82
	v_lshrrev_b32_e32 v20, 23, v16
	s_mov_b32 s10, exec_lo
	v_cndmask_b32_e64 v17, v17, 0xffffff82, vcc_lo
	s_delay_alu instid0(VALU_DEP_3) | instskip(NEXT) | instid1(VALU_DEP_2)
	v_add_nc_u32_e32 v38, v24, v16
	v_add3_u32 v21, v21, v17, v20
                                        ; implicit-def: $vgpr16_vgpr17
                                        ; implicit-def: $vgpr20
	s_delay_alu instid0(VALU_DEP_1) | instskip(NEXT) | instid1(VALU_DEP_1)
	v_add_nc_u32_e32 v82, 14, v21
	v_cmpx_ne_u32_e32 0, v82
	s_xor_b32 s10, exec_lo, s10
; %bb.3850:                             ;   in Loop: Header=BB4_3452 Depth=2
	v_cmp_lt_u64_e32 vcc_lo, 0xffffff, v[38:39]
	v_add_nc_u32_e32 v16, 15, v21
	s_delay_alu instid0(VALU_DEP_1) | instskip(SKIP_1) | instid1(VALU_DEP_1)
	v_cndmask_b32_e32 v20, v82, v16, vcc_lo
	v_cndmask_b32_e64 v16, 0, 1, vcc_lo
	v_lshrrev_b64 v[16:17], v16, v[38:39]
; %bb.3851:                             ;   in Loop: Header=BB4_3452 Depth=2
	s_and_not1_saveexec_b32 s10, s10
; %bb.3852:                             ;   in Loop: Header=BB4_3452 Depth=2
	v_mov_b64_e32 v[16:17], v[38:39]
	v_bfe_u32 v20, v38, 23, 1
; %bb.3853:                             ;   in Loop: Header=BB4_3452 Depth=2
	s_or_b32 exec_lo, exec_lo, s10
	s_delay_alu instid0(VALU_DEP_2) | instskip(NEXT) | instid1(VALU_DEP_2)
	v_lshrrev_b64 v[16:17], 21, v[16:17]
	v_cmp_gt_i32_e32 vcc_lo, 32, v20
	v_cmp_ne_u32_e64 s10, 0, v20
                                        ; implicit-def: $vgpr98
	s_delay_alu instid0(VALU_DEP_3) | instskip(NEXT) | instid1(VALU_DEP_1)
	v_dual_cndmask_b32 v17, 0, v17 :: v_dual_cndmask_b32 v16, 3, v16
	v_cmp_ne_u64_e32 vcc_lo, 0, v[16:17]
	s_or_b32 s10, s10, vcc_lo
	s_delay_alu instid0(SALU_CYCLE_1) | instskip(NEXT) | instid1(SALU_CYCLE_1)
	s_and_saveexec_b32 s41, s10
	s_xor_b32 s10, exec_lo, s41
; %bb.3854:                             ;   in Loop: Header=BB4_3452 Depth=2
	v_min_i32_e32 v17, 31, v20
	s_delay_alu instid0(VALU_DEP_1) | instskip(NEXT) | instid1(VALU_DEP_1)
	v_lshl_or_b32 v2, v17, 2, v2
	v_and_or_b32 v98, v16, 3, v2
                                        ; implicit-def: $vgpr2
; %bb.3855:                             ;   in Loop: Header=BB4_3452 Depth=2
	s_and_not1_saveexec_b32 s10, s10
; %bb.3856:                             ;   in Loop: Header=BB4_3452 Depth=2
	v_mov_b32_e32 v98, v2
; %bb.3857:                             ;   in Loop: Header=BB4_3452 Depth=2
	s_or_b32 exec_lo, exec_lo, s10
.LBB4_3858:                             ;   in Loop: Header=BB4_3452 Depth=2
	s_delay_alu instid0(SALU_CYCLE_1)
	s_or_b32 exec_lo, exec_lo, s40
                                        ; implicit-def: $vgpr2
.LBB4_3859:                             ;   in Loop: Header=BB4_3452 Depth=2
	s_and_not1_saveexec_b32 s10, s29
; %bb.3860:                             ;   in Loop: Header=BB4_3452 Depth=2
	v_or_b32_e32 v98, 0x7b, v2
; %bb.3861:                             ;   in Loop: Header=BB4_3452 Depth=2
	s_or_b32 exec_lo, exec_lo, s10
                                        ; implicit-def: $vgpr16
.LBB4_3862:                             ;   in Loop: Header=BB4_3452 Depth=2
	s_and_not1_saveexec_b32 s10, s11
	s_cbranch_execz .LBB4_3868
; %bb.3863:                             ;   in Loop: Header=BB4_3452 Depth=2
	s_mov_b32 s11, exec_lo
                                        ; implicit-def: $vgpr98
	v_cmpx_ne_u64_e32 0, v[38:39]
	s_xor_b32 s11, exec_lo, s11
; %bb.3864:                             ;   in Loop: Header=BB4_3452 Depth=2
	v_lshrrev_b32_e32 v2, 24, v16
                                        ; implicit-def: $vgpr16
	s_delay_alu instid0(VALU_DEP_1)
	v_or_b32_e32 v98, 0x7f, v2
; %bb.3865:                             ;   in Loop: Header=BB4_3452 Depth=2
	s_and_not1_saveexec_b32 s11, s11
; %bb.3866:                             ;   in Loop: Header=BB4_3452 Depth=2
	v_cmp_lt_i32_e32 vcc_lo, -1, v16
	v_cndmask_b32_e64 v98, -4, 0x7c, vcc_lo
; %bb.3867:                             ;   in Loop: Header=BB4_3452 Depth=2
	s_or_b32 exec_lo, exec_lo, s11
.LBB4_3868:                             ;   in Loop: Header=BB4_3452 Depth=2
	s_delay_alu instid0(SALU_CYCLE_1)
	s_or_b32 exec_lo, exec_lo, s10
	flat_load_i8 v16, v[10:11] offset:384 th:TH_LOAD_NT
	v_mov_b32_e32 v17, 0
	s_mov_b32 s10, exec_lo
	s_wait_loadcnt_dscnt 0x0
	v_cmpx_ne_u16_e32 0, v16
	s_cbranch_execz .LBB4_3878
; %bb.3869:                             ;   in Loop: Header=BB4_3452 Depth=2
	v_bfrev_b32_e32 v17, 1
	s_mov_b32 s11, exec_lo
	v_cmpx_ne_u16_e32 0xff80, v16
	s_cbranch_execz .LBB4_3877
; %bb.3870:                             ;   in Loop: Header=BB4_3452 Depth=2
	v_and_b32_e32 v17, 0x7c, v16
	v_and_b32_e32 v2, 3, v16
	s_delay_alu instid0(VALU_DEP_2) | instskip(SKIP_1) | instid1(SALU_CYCLE_1)
	v_cmp_ne_u32_e32 vcc_lo, 0x7c, v17
                                        ; implicit-def: $vgpr17
	s_and_saveexec_b32 s29, vcc_lo
	s_xor_b32 s29, exec_lo, s29
	s_cbranch_execz .LBB4_3874
; %bb.3871:                             ;   in Loop: Header=BB4_3452 Depth=2
	v_and_b32_e32 v17, 0xff, v16
	s_mov_b32 s40, exec_lo
	s_delay_alu instid0(VALU_DEP_1) | instskip(NEXT) | instid1(VALU_DEP_1)
	v_bfe_u32 v17, v17, 2, 5
	v_cmpx_eq_u32_e32 0, v17
; %bb.3872:                             ;   in Loop: Header=BB4_3452 Depth=2
	v_clz_i32_u32_e32 v2, v2
	v_mov_b32_e32 v17, v39
	s_delay_alu instid0(VALU_DEP_2) | instskip(NEXT) | instid1(VALU_DEP_1)
	v_min_u32_e32 v2, 32, v2
	v_subrev_nc_u32_e32 v20, 29, v2
	s_delay_alu instid0(VALU_DEP_1) | instskip(NEXT) | instid1(VALU_DEP_1)
	v_lshlrev_b64_e32 v[20:21], v20, v[16:17]
	v_dual_sub_nc_u32 v17, 30, v2 :: v_dual_bitop2_b32 v2, 3, v20 bitop3:0x40
; %bb.3873:                             ;   in Loop: Header=BB4_3452 Depth=2
	s_or_b32 exec_lo, exec_lo, s40
	v_bfe_i32 v16, v16, 0, 16
	s_delay_alu instid0(VALU_DEP_1) | instskip(NEXT) | instid1(VALU_DEP_1)
	v_and_b32_e32 v16, 0x80000000, v16
	v_lshl_add_u32 v16, v17, 23, v16
	s_delay_alu instid0(VALU_DEP_1) | instskip(NEXT) | instid1(VALU_DEP_1)
	v_lshl_or_b32 v2, v2, 21, v16
                                        ; implicit-def: $vgpr16
	v_add_nc_u32_e32 v17, 0x38000000, v2
                                        ; implicit-def: $vgpr2
.LBB4_3874:                             ;   in Loop: Header=BB4_3452 Depth=2
	s_and_not1_saveexec_b32 s29, s29
; %bb.3875:                             ;   in Loop: Header=BB4_3452 Depth=2
	v_cmp_lt_i16_e32 vcc_lo, -1, v16
	v_cndmask_b32_e32 v16, 0xff800000, v126, vcc_lo
	v_cmp_eq_u32_e32 vcc_lo, 0, v2
	s_delay_alu instid0(VALU_DEP_2)
	v_cndmask_b32_e32 v17, 0x7f800001, v16, vcc_lo
; %bb.3876:                             ;   in Loop: Header=BB4_3452 Depth=2
	s_or_b32 exec_lo, exec_lo, s29
.LBB4_3877:                             ;   in Loop: Header=BB4_3452 Depth=2
	s_delay_alu instid0(SALU_CYCLE_1)
	s_or_b32 exec_lo, exec_lo, s11
.LBB4_3878:                             ;   in Loop: Header=BB4_3452 Depth=2
	s_delay_alu instid0(SALU_CYCLE_1) | instskip(NEXT) | instid1(VALU_DEP_1)
	s_or_b32 exec_lo, exec_lo, s10
	v_dual_mul_f32 v16, s28, v17 :: v_dual_mov_b32 v21, v39
                                        ; implicit-def: $vgpr96
	s_mov_b32 s10, exec_lo
	s_delay_alu instid0(VALU_DEP_1) | instskip(SKIP_1) | instid1(VALU_DEP_2)
	v_and_b32_e32 v20, 0x7f800000, v16
	v_and_b32_e32 v38, 0x7fffff, v16
	v_cmpx_ne_u64_e32 0x7f800000, v[20:21]
	s_xor_b32 s11, exec_lo, s10
	s_cbranch_execz .LBB4_3896
; %bb.3879:                             ;   in Loop: Header=BB4_3452 Depth=2
	v_dual_mov_b32 v21, v39 :: v_dual_lshrrev_b32 v2, 24, v16
	v_and_b32_e32 v20, 0x7fffffff, v16
                                        ; implicit-def: $vgpr96
	s_mov_b32 s10, exec_lo
	s_delay_alu instid0(VALU_DEP_2) | instskip(NEXT) | instid1(VALU_DEP_2)
	v_and_b32_e32 v2, 0x80, v2
	v_cmpx_gt_u64_e32 0x47600001, v[20:21]
	s_xor_b32 s29, exec_lo, s10
	s_cbranch_execz .LBB4_3893
; %bb.3880:                             ;   in Loop: Header=BB4_3452 Depth=2
	v_mov_b32_e32 v96, 0
	s_mov_b32 s40, exec_lo
	v_cmpx_ne_u32_e32 0, v16
	s_cbranch_execz .LBB4_3892
; %bb.3881:                             ;   in Loop: Header=BB4_3452 Depth=2
	v_bfe_u32 v20, v16, 23, 8
	v_or_b32_e32 v24, 0x800000, v38
	s_delay_alu instid0(VALU_DEP_2) | instskip(SKIP_1) | instid1(VALU_DEP_2)
	v_dual_mov_b32 v25, v39 :: v_dual_sub_nc_u32 v16, 0x71, v20
	v_cmp_gt_u32_e32 vcc_lo, 0x72, v20
	v_cndmask_b32_e32 v16, 0, v16, vcc_lo
	v_cmp_eq_u32_e32 vcc_lo, 0, v20
	s_delay_alu instid0(VALU_DEP_2) | instskip(NEXT) | instid1(VALU_DEP_1)
	v_cndmask_b32_e64 v21, v16, 0x70, vcc_lo
	v_dual_cndmask_b32 v24, v24, v38, vcc_lo :: v_dual_add_nc_u32 v16, 21, v21
	v_add_nc_u32_e32 v31, 20, v21
	s_delay_alu instid0(VALU_DEP_2) | instskip(NEXT) | instid1(VALU_DEP_2)
	v_lshlrev_b64_e64 v[16:17], v16, -1
	v_lshlrev_b64_e64 v[82:83], v31, 1
	s_delay_alu instid0(VALU_DEP_2) | instskip(NEXT) | instid1(VALU_DEP_3)
	v_bfi_b32 v85, v17, 0, 0
	v_bfi_b32 v84, v16, 0, v24
	v_lshrrev_b64 v[16:17], v21, v[24:25]
	s_delay_alu instid0(VALU_DEP_2) | instskip(NEXT) | instid1(VALU_DEP_2)
	v_cmp_eq_u64_e64 s10, v[84:85], v[82:83]
	v_mov_b64_e32 v[82:83], v[16:17]
	s_and_saveexec_b32 s41, s10
; %bb.3882:                             ;   in Loop: Header=BB4_3452 Depth=2
	v_bfe_u32 v24, v16, 21, 1
	v_mov_b32_e32 v25, v39
	s_delay_alu instid0(VALU_DEP_1) | instskip(NEXT) | instid1(VALU_DEP_1)
	v_add_nc_u64_e32 v[24:25], v[16:17], v[24:25]
	v_add_nc_u64_e32 v[82:83], -1, v[24:25]
; %bb.3883:                             ;   in Loop: Header=BB4_3452 Depth=2
	s_or_b32 exec_lo, exec_lo, s41
	v_add_nc_u32_e32 v17, 0xffffff81, v20
	s_delay_alu instid0(VALU_DEP_2) | instskip(SKIP_2) | instid1(VALU_DEP_3)
	v_and_b32_e32 v24, 0x1fffff, v82
	v_lshrrev_b32_e32 v20, 23, v16
	s_mov_b32 s10, exec_lo
	v_cndmask_b32_e64 v17, v17, 0xffffff82, vcc_lo
	s_delay_alu instid0(VALU_DEP_3) | instskip(NEXT) | instid1(VALU_DEP_2)
	v_add_nc_u32_e32 v38, v24, v16
	v_add3_u32 v21, v21, v17, v20
                                        ; implicit-def: $vgpr16_vgpr17
                                        ; implicit-def: $vgpr20
	s_delay_alu instid0(VALU_DEP_1) | instskip(NEXT) | instid1(VALU_DEP_1)
	v_add_nc_u32_e32 v82, 14, v21
	v_cmpx_ne_u32_e32 0, v82
	s_xor_b32 s10, exec_lo, s10
; %bb.3884:                             ;   in Loop: Header=BB4_3452 Depth=2
	v_cmp_lt_u64_e32 vcc_lo, 0xffffff, v[38:39]
	v_add_nc_u32_e32 v16, 15, v21
	s_delay_alu instid0(VALU_DEP_1) | instskip(SKIP_1) | instid1(VALU_DEP_1)
	v_cndmask_b32_e32 v20, v82, v16, vcc_lo
	v_cndmask_b32_e64 v16, 0, 1, vcc_lo
	v_lshrrev_b64 v[16:17], v16, v[38:39]
; %bb.3885:                             ;   in Loop: Header=BB4_3452 Depth=2
	s_and_not1_saveexec_b32 s10, s10
; %bb.3886:                             ;   in Loop: Header=BB4_3452 Depth=2
	v_mov_b64_e32 v[16:17], v[38:39]
	v_bfe_u32 v20, v38, 23, 1
; %bb.3887:                             ;   in Loop: Header=BB4_3452 Depth=2
	s_or_b32 exec_lo, exec_lo, s10
	s_delay_alu instid0(VALU_DEP_2) | instskip(NEXT) | instid1(VALU_DEP_2)
	v_lshrrev_b64 v[16:17], 21, v[16:17]
	v_cmp_gt_i32_e32 vcc_lo, 32, v20
	v_cmp_ne_u32_e64 s10, 0, v20
                                        ; implicit-def: $vgpr96
	s_delay_alu instid0(VALU_DEP_3) | instskip(NEXT) | instid1(VALU_DEP_1)
	v_dual_cndmask_b32 v17, 0, v17 :: v_dual_cndmask_b32 v16, 3, v16
	v_cmp_ne_u64_e32 vcc_lo, 0, v[16:17]
	s_or_b32 s10, s10, vcc_lo
	s_delay_alu instid0(SALU_CYCLE_1) | instskip(NEXT) | instid1(SALU_CYCLE_1)
	s_and_saveexec_b32 s41, s10
	s_xor_b32 s10, exec_lo, s41
; %bb.3888:                             ;   in Loop: Header=BB4_3452 Depth=2
	v_min_i32_e32 v17, 31, v20
	s_delay_alu instid0(VALU_DEP_1) | instskip(NEXT) | instid1(VALU_DEP_1)
	v_lshl_or_b32 v2, v17, 2, v2
	v_and_or_b32 v96, v16, 3, v2
                                        ; implicit-def: $vgpr2
; %bb.3889:                             ;   in Loop: Header=BB4_3452 Depth=2
	s_and_not1_saveexec_b32 s10, s10
; %bb.3890:                             ;   in Loop: Header=BB4_3452 Depth=2
	v_mov_b32_e32 v96, v2
; %bb.3891:                             ;   in Loop: Header=BB4_3452 Depth=2
	s_or_b32 exec_lo, exec_lo, s10
.LBB4_3892:                             ;   in Loop: Header=BB4_3452 Depth=2
	s_delay_alu instid0(SALU_CYCLE_1)
	s_or_b32 exec_lo, exec_lo, s40
                                        ; implicit-def: $vgpr2
.LBB4_3893:                             ;   in Loop: Header=BB4_3452 Depth=2
	s_and_not1_saveexec_b32 s10, s29
; %bb.3894:                             ;   in Loop: Header=BB4_3452 Depth=2
	v_or_b32_e32 v96, 0x7b, v2
; %bb.3895:                             ;   in Loop: Header=BB4_3452 Depth=2
	s_or_b32 exec_lo, exec_lo, s10
                                        ; implicit-def: $vgpr16
.LBB4_3896:                             ;   in Loop: Header=BB4_3452 Depth=2
	s_and_not1_saveexec_b32 s10, s11
	s_cbranch_execz .LBB4_3902
; %bb.3897:                             ;   in Loop: Header=BB4_3452 Depth=2
	s_mov_b32 s11, exec_lo
                                        ; implicit-def: $vgpr96
	v_cmpx_ne_u64_e32 0, v[38:39]
	s_xor_b32 s11, exec_lo, s11
; %bb.3898:                             ;   in Loop: Header=BB4_3452 Depth=2
	v_lshrrev_b32_e32 v2, 24, v16
                                        ; implicit-def: $vgpr16
	s_delay_alu instid0(VALU_DEP_1)
	v_or_b32_e32 v96, 0x7f, v2
; %bb.3899:                             ;   in Loop: Header=BB4_3452 Depth=2
	s_and_not1_saveexec_b32 s11, s11
; %bb.3900:                             ;   in Loop: Header=BB4_3452 Depth=2
	v_cmp_lt_i32_e32 vcc_lo, -1, v16
	v_cndmask_b32_e64 v96, -4, 0x7c, vcc_lo
; %bb.3901:                             ;   in Loop: Header=BB4_3452 Depth=2
	s_or_b32 exec_lo, exec_lo, s11
.LBB4_3902:                             ;   in Loop: Header=BB4_3452 Depth=2
	s_delay_alu instid0(SALU_CYCLE_1)
	s_or_b32 exec_lo, exec_lo, s10
	flat_load_i8 v16, v[10:11] offset:416 th:TH_LOAD_NT
	v_mov_b32_e32 v17, 0
	s_mov_b32 s10, exec_lo
	s_wait_loadcnt_dscnt 0x0
	v_cmpx_ne_u16_e32 0, v16
	s_cbranch_execz .LBB4_3912
; %bb.3903:                             ;   in Loop: Header=BB4_3452 Depth=2
	v_bfrev_b32_e32 v17, 1
	s_mov_b32 s11, exec_lo
	v_cmpx_ne_u16_e32 0xff80, v16
	s_cbranch_execz .LBB4_3911
; %bb.3904:                             ;   in Loop: Header=BB4_3452 Depth=2
	v_and_b32_e32 v17, 0x7c, v16
	v_and_b32_e32 v2, 3, v16
	s_delay_alu instid0(VALU_DEP_2) | instskip(SKIP_1) | instid1(SALU_CYCLE_1)
	v_cmp_ne_u32_e32 vcc_lo, 0x7c, v17
                                        ; implicit-def: $vgpr17
	s_and_saveexec_b32 s29, vcc_lo
	s_xor_b32 s29, exec_lo, s29
	s_cbranch_execz .LBB4_3908
; %bb.3905:                             ;   in Loop: Header=BB4_3452 Depth=2
	v_and_b32_e32 v17, 0xff, v16
	s_mov_b32 s40, exec_lo
	s_delay_alu instid0(VALU_DEP_1) | instskip(NEXT) | instid1(VALU_DEP_1)
	v_bfe_u32 v17, v17, 2, 5
	v_cmpx_eq_u32_e32 0, v17
; %bb.3906:                             ;   in Loop: Header=BB4_3452 Depth=2
	v_clz_i32_u32_e32 v2, v2
	v_mov_b32_e32 v17, v39
	s_delay_alu instid0(VALU_DEP_2) | instskip(NEXT) | instid1(VALU_DEP_1)
	v_min_u32_e32 v2, 32, v2
	v_subrev_nc_u32_e32 v20, 29, v2
	s_delay_alu instid0(VALU_DEP_1) | instskip(NEXT) | instid1(VALU_DEP_1)
	v_lshlrev_b64_e32 v[20:21], v20, v[16:17]
	v_dual_sub_nc_u32 v17, 30, v2 :: v_dual_bitop2_b32 v2, 3, v20 bitop3:0x40
; %bb.3907:                             ;   in Loop: Header=BB4_3452 Depth=2
	s_or_b32 exec_lo, exec_lo, s40
	v_bfe_i32 v16, v16, 0, 16
	s_delay_alu instid0(VALU_DEP_1) | instskip(NEXT) | instid1(VALU_DEP_1)
	v_and_b32_e32 v16, 0x80000000, v16
	v_lshl_add_u32 v16, v17, 23, v16
	s_delay_alu instid0(VALU_DEP_1) | instskip(NEXT) | instid1(VALU_DEP_1)
	v_lshl_or_b32 v2, v2, 21, v16
                                        ; implicit-def: $vgpr16
	v_add_nc_u32_e32 v17, 0x38000000, v2
                                        ; implicit-def: $vgpr2
.LBB4_3908:                             ;   in Loop: Header=BB4_3452 Depth=2
	s_and_not1_saveexec_b32 s29, s29
; %bb.3909:                             ;   in Loop: Header=BB4_3452 Depth=2
	v_cmp_lt_i16_e32 vcc_lo, -1, v16
	v_cndmask_b32_e32 v16, 0xff800000, v126, vcc_lo
	v_cmp_eq_u32_e32 vcc_lo, 0, v2
	s_delay_alu instid0(VALU_DEP_2)
	v_cndmask_b32_e32 v17, 0x7f800001, v16, vcc_lo
; %bb.3910:                             ;   in Loop: Header=BB4_3452 Depth=2
	s_or_b32 exec_lo, exec_lo, s29
.LBB4_3911:                             ;   in Loop: Header=BB4_3452 Depth=2
	s_delay_alu instid0(SALU_CYCLE_1)
	s_or_b32 exec_lo, exec_lo, s11
.LBB4_3912:                             ;   in Loop: Header=BB4_3452 Depth=2
	s_delay_alu instid0(SALU_CYCLE_1) | instskip(NEXT) | instid1(VALU_DEP_1)
	s_or_b32 exec_lo, exec_lo, s10
	v_dual_mul_f32 v16, s28, v17 :: v_dual_mov_b32 v21, v39
                                        ; implicit-def: $vgpr86
	s_mov_b32 s10, exec_lo
	s_delay_alu instid0(VALU_DEP_1) | instskip(SKIP_1) | instid1(VALU_DEP_2)
	v_and_b32_e32 v20, 0x7f800000, v16
	v_and_b32_e32 v38, 0x7fffff, v16
	v_cmpx_ne_u64_e32 0x7f800000, v[20:21]
	s_xor_b32 s11, exec_lo, s10
	s_cbranch_execz .LBB4_3930
; %bb.3913:                             ;   in Loop: Header=BB4_3452 Depth=2
	v_dual_mov_b32 v21, v39 :: v_dual_lshrrev_b32 v2, 24, v16
	v_and_b32_e32 v20, 0x7fffffff, v16
                                        ; implicit-def: $vgpr86
	s_mov_b32 s10, exec_lo
	s_delay_alu instid0(VALU_DEP_2) | instskip(NEXT) | instid1(VALU_DEP_2)
	v_and_b32_e32 v2, 0x80, v2
	v_cmpx_gt_u64_e32 0x47600001, v[20:21]
	s_xor_b32 s29, exec_lo, s10
	s_cbranch_execz .LBB4_3927
; %bb.3914:                             ;   in Loop: Header=BB4_3452 Depth=2
	v_mov_b32_e32 v86, 0
	s_mov_b32 s40, exec_lo
	v_cmpx_ne_u32_e32 0, v16
	s_cbranch_execz .LBB4_3926
; %bb.3915:                             ;   in Loop: Header=BB4_3452 Depth=2
	v_bfe_u32 v20, v16, 23, 8
	v_or_b32_e32 v24, 0x800000, v38
	s_delay_alu instid0(VALU_DEP_2) | instskip(SKIP_1) | instid1(VALU_DEP_2)
	v_dual_mov_b32 v25, v39 :: v_dual_sub_nc_u32 v16, 0x71, v20
	v_cmp_gt_u32_e32 vcc_lo, 0x72, v20
	v_cndmask_b32_e32 v16, 0, v16, vcc_lo
	v_cmp_eq_u32_e32 vcc_lo, 0, v20
	s_delay_alu instid0(VALU_DEP_2) | instskip(NEXT) | instid1(VALU_DEP_1)
	v_cndmask_b32_e64 v21, v16, 0x70, vcc_lo
	v_dual_cndmask_b32 v24, v24, v38, vcc_lo :: v_dual_add_nc_u32 v16, 21, v21
	v_add_nc_u32_e32 v31, 20, v21
	s_delay_alu instid0(VALU_DEP_2) | instskip(NEXT) | instid1(VALU_DEP_2)
	v_lshlrev_b64_e64 v[16:17], v16, -1
	v_lshlrev_b64_e64 v[82:83], v31, 1
	s_delay_alu instid0(VALU_DEP_2) | instskip(NEXT) | instid1(VALU_DEP_3)
	v_bfi_b32 v85, v17, 0, 0
	v_bfi_b32 v84, v16, 0, v24
	v_lshrrev_b64 v[16:17], v21, v[24:25]
	s_delay_alu instid0(VALU_DEP_2) | instskip(NEXT) | instid1(VALU_DEP_2)
	v_cmp_eq_u64_e64 s10, v[84:85], v[82:83]
	v_mov_b64_e32 v[82:83], v[16:17]
	s_and_saveexec_b32 s41, s10
; %bb.3916:                             ;   in Loop: Header=BB4_3452 Depth=2
	v_bfe_u32 v24, v16, 21, 1
	v_mov_b32_e32 v25, v39
	s_delay_alu instid0(VALU_DEP_1) | instskip(NEXT) | instid1(VALU_DEP_1)
	v_add_nc_u64_e32 v[24:25], v[16:17], v[24:25]
	v_add_nc_u64_e32 v[82:83], -1, v[24:25]
; %bb.3917:                             ;   in Loop: Header=BB4_3452 Depth=2
	s_or_b32 exec_lo, exec_lo, s41
	v_add_nc_u32_e32 v17, 0xffffff81, v20
	s_delay_alu instid0(VALU_DEP_2) | instskip(SKIP_2) | instid1(VALU_DEP_3)
	v_and_b32_e32 v24, 0x1fffff, v82
	v_lshrrev_b32_e32 v20, 23, v16
	s_mov_b32 s10, exec_lo
	v_cndmask_b32_e64 v17, v17, 0xffffff82, vcc_lo
	s_delay_alu instid0(VALU_DEP_3) | instskip(NEXT) | instid1(VALU_DEP_2)
	v_add_nc_u32_e32 v38, v24, v16
	v_add3_u32 v21, v21, v17, v20
                                        ; implicit-def: $vgpr16_vgpr17
                                        ; implicit-def: $vgpr20
	s_delay_alu instid0(VALU_DEP_1) | instskip(NEXT) | instid1(VALU_DEP_1)
	v_add_nc_u32_e32 v82, 14, v21
	v_cmpx_ne_u32_e32 0, v82
	s_xor_b32 s10, exec_lo, s10
; %bb.3918:                             ;   in Loop: Header=BB4_3452 Depth=2
	v_cmp_lt_u64_e32 vcc_lo, 0xffffff, v[38:39]
	v_add_nc_u32_e32 v16, 15, v21
	s_delay_alu instid0(VALU_DEP_1) | instskip(SKIP_1) | instid1(VALU_DEP_1)
	v_cndmask_b32_e32 v20, v82, v16, vcc_lo
	v_cndmask_b32_e64 v16, 0, 1, vcc_lo
	v_lshrrev_b64 v[16:17], v16, v[38:39]
; %bb.3919:                             ;   in Loop: Header=BB4_3452 Depth=2
	s_and_not1_saveexec_b32 s10, s10
; %bb.3920:                             ;   in Loop: Header=BB4_3452 Depth=2
	v_mov_b64_e32 v[16:17], v[38:39]
	v_bfe_u32 v20, v38, 23, 1
; %bb.3921:                             ;   in Loop: Header=BB4_3452 Depth=2
	s_or_b32 exec_lo, exec_lo, s10
	s_delay_alu instid0(VALU_DEP_2) | instskip(NEXT) | instid1(VALU_DEP_2)
	v_lshrrev_b64 v[16:17], 21, v[16:17]
	v_cmp_gt_i32_e32 vcc_lo, 32, v20
	v_cmp_ne_u32_e64 s10, 0, v20
                                        ; implicit-def: $vgpr86
	s_delay_alu instid0(VALU_DEP_3) | instskip(NEXT) | instid1(VALU_DEP_1)
	v_dual_cndmask_b32 v17, 0, v17 :: v_dual_cndmask_b32 v16, 3, v16
	v_cmp_ne_u64_e32 vcc_lo, 0, v[16:17]
	s_or_b32 s10, s10, vcc_lo
	s_delay_alu instid0(SALU_CYCLE_1) | instskip(NEXT) | instid1(SALU_CYCLE_1)
	s_and_saveexec_b32 s41, s10
	s_xor_b32 s10, exec_lo, s41
; %bb.3922:                             ;   in Loop: Header=BB4_3452 Depth=2
	v_min_i32_e32 v17, 31, v20
	s_delay_alu instid0(VALU_DEP_1) | instskip(NEXT) | instid1(VALU_DEP_1)
	v_lshl_or_b32 v2, v17, 2, v2
	v_and_or_b32 v86, v16, 3, v2
                                        ; implicit-def: $vgpr2
; %bb.3923:                             ;   in Loop: Header=BB4_3452 Depth=2
	s_and_not1_saveexec_b32 s10, s10
; %bb.3924:                             ;   in Loop: Header=BB4_3452 Depth=2
	v_mov_b32_e32 v86, v2
; %bb.3925:                             ;   in Loop: Header=BB4_3452 Depth=2
	s_or_b32 exec_lo, exec_lo, s10
.LBB4_3926:                             ;   in Loop: Header=BB4_3452 Depth=2
	s_delay_alu instid0(SALU_CYCLE_1)
	s_or_b32 exec_lo, exec_lo, s40
                                        ; implicit-def: $vgpr2
.LBB4_3927:                             ;   in Loop: Header=BB4_3452 Depth=2
	s_and_not1_saveexec_b32 s10, s29
; %bb.3928:                             ;   in Loop: Header=BB4_3452 Depth=2
	v_or_b32_e32 v86, 0x7b, v2
; %bb.3929:                             ;   in Loop: Header=BB4_3452 Depth=2
	s_or_b32 exec_lo, exec_lo, s10
                                        ; implicit-def: $vgpr16
.LBB4_3930:                             ;   in Loop: Header=BB4_3452 Depth=2
	s_and_not1_saveexec_b32 s10, s11
	s_cbranch_execz .LBB4_3936
; %bb.3931:                             ;   in Loop: Header=BB4_3452 Depth=2
	s_mov_b32 s11, exec_lo
                                        ; implicit-def: $vgpr86
	v_cmpx_ne_u64_e32 0, v[38:39]
	s_xor_b32 s11, exec_lo, s11
; %bb.3932:                             ;   in Loop: Header=BB4_3452 Depth=2
	v_lshrrev_b32_e32 v2, 24, v16
                                        ; implicit-def: $vgpr16
	s_delay_alu instid0(VALU_DEP_1)
	v_or_b32_e32 v86, 0x7f, v2
; %bb.3933:                             ;   in Loop: Header=BB4_3452 Depth=2
	s_and_not1_saveexec_b32 s11, s11
; %bb.3934:                             ;   in Loop: Header=BB4_3452 Depth=2
	v_cmp_lt_i32_e32 vcc_lo, -1, v16
	v_cndmask_b32_e64 v86, -4, 0x7c, vcc_lo
; %bb.3935:                             ;   in Loop: Header=BB4_3452 Depth=2
	s_or_b32 exec_lo, exec_lo, s11
.LBB4_3936:                             ;   in Loop: Header=BB4_3452 Depth=2
	s_delay_alu instid0(SALU_CYCLE_1)
	s_or_b32 exec_lo, exec_lo, s10
	flat_load_i8 v16, v[10:11] offset:448 th:TH_LOAD_NT
	v_mov_b32_e32 v17, 0
	s_mov_b32 s10, exec_lo
	s_wait_loadcnt_dscnt 0x0
	v_cmpx_ne_u16_e32 0, v16
	s_cbranch_execz .LBB4_3946
; %bb.3937:                             ;   in Loop: Header=BB4_3452 Depth=2
	v_bfrev_b32_e32 v17, 1
	s_mov_b32 s11, exec_lo
	v_cmpx_ne_u16_e32 0xff80, v16
	s_cbranch_execz .LBB4_3945
; %bb.3938:                             ;   in Loop: Header=BB4_3452 Depth=2
	v_and_b32_e32 v17, 0x7c, v16
	v_and_b32_e32 v2, 3, v16
	s_delay_alu instid0(VALU_DEP_2) | instskip(SKIP_1) | instid1(SALU_CYCLE_1)
	v_cmp_ne_u32_e32 vcc_lo, 0x7c, v17
                                        ; implicit-def: $vgpr17
	s_and_saveexec_b32 s29, vcc_lo
	s_xor_b32 s29, exec_lo, s29
	s_cbranch_execz .LBB4_3942
; %bb.3939:                             ;   in Loop: Header=BB4_3452 Depth=2
	v_and_b32_e32 v17, 0xff, v16
	s_mov_b32 s40, exec_lo
	s_delay_alu instid0(VALU_DEP_1) | instskip(NEXT) | instid1(VALU_DEP_1)
	v_bfe_u32 v17, v17, 2, 5
	v_cmpx_eq_u32_e32 0, v17
; %bb.3940:                             ;   in Loop: Header=BB4_3452 Depth=2
	v_clz_i32_u32_e32 v2, v2
	v_mov_b32_e32 v17, v39
	s_delay_alu instid0(VALU_DEP_2) | instskip(NEXT) | instid1(VALU_DEP_1)
	v_min_u32_e32 v2, 32, v2
	v_subrev_nc_u32_e32 v20, 29, v2
	s_delay_alu instid0(VALU_DEP_1) | instskip(NEXT) | instid1(VALU_DEP_1)
	v_lshlrev_b64_e32 v[20:21], v20, v[16:17]
	v_dual_sub_nc_u32 v17, 30, v2 :: v_dual_bitop2_b32 v2, 3, v20 bitop3:0x40
; %bb.3941:                             ;   in Loop: Header=BB4_3452 Depth=2
	s_or_b32 exec_lo, exec_lo, s40
	v_bfe_i32 v16, v16, 0, 16
	s_delay_alu instid0(VALU_DEP_1) | instskip(NEXT) | instid1(VALU_DEP_1)
	v_and_b32_e32 v16, 0x80000000, v16
	v_lshl_add_u32 v16, v17, 23, v16
	s_delay_alu instid0(VALU_DEP_1) | instskip(NEXT) | instid1(VALU_DEP_1)
	v_lshl_or_b32 v2, v2, 21, v16
                                        ; implicit-def: $vgpr16
	v_add_nc_u32_e32 v17, 0x38000000, v2
                                        ; implicit-def: $vgpr2
.LBB4_3942:                             ;   in Loop: Header=BB4_3452 Depth=2
	s_and_not1_saveexec_b32 s29, s29
; %bb.3943:                             ;   in Loop: Header=BB4_3452 Depth=2
	v_cmp_lt_i16_e32 vcc_lo, -1, v16
	v_cndmask_b32_e32 v16, 0xff800000, v126, vcc_lo
	v_cmp_eq_u32_e32 vcc_lo, 0, v2
	s_delay_alu instid0(VALU_DEP_2)
	v_cndmask_b32_e32 v17, 0x7f800001, v16, vcc_lo
; %bb.3944:                             ;   in Loop: Header=BB4_3452 Depth=2
	s_or_b32 exec_lo, exec_lo, s29
.LBB4_3945:                             ;   in Loop: Header=BB4_3452 Depth=2
	s_delay_alu instid0(SALU_CYCLE_1)
	s_or_b32 exec_lo, exec_lo, s11
.LBB4_3946:                             ;   in Loop: Header=BB4_3452 Depth=2
	s_delay_alu instid0(SALU_CYCLE_1) | instskip(NEXT) | instid1(VALU_DEP_1)
	s_or_b32 exec_lo, exec_lo, s10
	v_dual_mul_f32 v16, s28, v17 :: v_dual_mov_b32 v21, v39
                                        ; implicit-def: $vgpr84
	s_mov_b32 s10, exec_lo
	s_delay_alu instid0(VALU_DEP_1) | instskip(SKIP_1) | instid1(VALU_DEP_2)
	v_and_b32_e32 v20, 0x7f800000, v16
	v_and_b32_e32 v38, 0x7fffff, v16
	v_cmpx_ne_u64_e32 0x7f800000, v[20:21]
	s_xor_b32 s11, exec_lo, s10
	s_cbranch_execz .LBB4_3964
; %bb.3947:                             ;   in Loop: Header=BB4_3452 Depth=2
	v_dual_mov_b32 v21, v39 :: v_dual_lshrrev_b32 v2, 24, v16
	v_and_b32_e32 v20, 0x7fffffff, v16
                                        ; implicit-def: $vgpr84
	s_mov_b32 s10, exec_lo
	s_delay_alu instid0(VALU_DEP_2) | instskip(NEXT) | instid1(VALU_DEP_2)
	v_and_b32_e32 v2, 0x80, v2
	v_cmpx_gt_u64_e32 0x47600001, v[20:21]
	s_xor_b32 s29, exec_lo, s10
	s_cbranch_execz .LBB4_3961
; %bb.3948:                             ;   in Loop: Header=BB4_3452 Depth=2
	v_mov_b32_e32 v84, 0
	s_mov_b32 s40, exec_lo
	v_cmpx_ne_u32_e32 0, v16
	s_cbranch_execz .LBB4_3960
; %bb.3949:                             ;   in Loop: Header=BB4_3452 Depth=2
	v_bfe_u32 v20, v16, 23, 8
	v_or_b32_e32 v24, 0x800000, v38
	s_delay_alu instid0(VALU_DEP_2) | instskip(SKIP_1) | instid1(VALU_DEP_2)
	v_dual_mov_b32 v25, v39 :: v_dual_sub_nc_u32 v16, 0x71, v20
	v_cmp_gt_u32_e32 vcc_lo, 0x72, v20
	v_cndmask_b32_e32 v16, 0, v16, vcc_lo
	v_cmp_eq_u32_e32 vcc_lo, 0, v20
	s_delay_alu instid0(VALU_DEP_2) | instskip(NEXT) | instid1(VALU_DEP_1)
	v_cndmask_b32_e64 v21, v16, 0x70, vcc_lo
	v_dual_cndmask_b32 v24, v24, v38, vcc_lo :: v_dual_add_nc_u32 v16, 21, v21
	v_add_nc_u32_e32 v31, 20, v21
	s_delay_alu instid0(VALU_DEP_2) | instskip(NEXT) | instid1(VALU_DEP_2)
	v_lshlrev_b64_e64 v[16:17], v16, -1
	v_lshlrev_b64_e64 v[82:83], v31, 1
	s_delay_alu instid0(VALU_DEP_2) | instskip(NEXT) | instid1(VALU_DEP_3)
	v_bfi_b32 v85, v17, 0, 0
	v_bfi_b32 v84, v16, 0, v24
	v_lshrrev_b64 v[16:17], v21, v[24:25]
	s_delay_alu instid0(VALU_DEP_2) | instskip(NEXT) | instid1(VALU_DEP_2)
	v_cmp_eq_u64_e64 s10, v[84:85], v[82:83]
	v_mov_b64_e32 v[82:83], v[16:17]
	s_and_saveexec_b32 s41, s10
; %bb.3950:                             ;   in Loop: Header=BB4_3452 Depth=2
	v_bfe_u32 v24, v16, 21, 1
	v_mov_b32_e32 v25, v39
	s_delay_alu instid0(VALU_DEP_1) | instskip(NEXT) | instid1(VALU_DEP_1)
	v_add_nc_u64_e32 v[24:25], v[16:17], v[24:25]
	v_add_nc_u64_e32 v[82:83], -1, v[24:25]
; %bb.3951:                             ;   in Loop: Header=BB4_3452 Depth=2
	s_or_b32 exec_lo, exec_lo, s41
	v_add_nc_u32_e32 v17, 0xffffff81, v20
	s_delay_alu instid0(VALU_DEP_2) | instskip(SKIP_2) | instid1(VALU_DEP_3)
	v_and_b32_e32 v24, 0x1fffff, v82
	v_lshrrev_b32_e32 v20, 23, v16
	s_mov_b32 s10, exec_lo
	v_cndmask_b32_e64 v17, v17, 0xffffff82, vcc_lo
	s_delay_alu instid0(VALU_DEP_3) | instskip(NEXT) | instid1(VALU_DEP_2)
	v_add_nc_u32_e32 v38, v24, v16
	v_add3_u32 v21, v21, v17, v20
                                        ; implicit-def: $vgpr16_vgpr17
                                        ; implicit-def: $vgpr20
	s_delay_alu instid0(VALU_DEP_1) | instskip(NEXT) | instid1(VALU_DEP_1)
	v_add_nc_u32_e32 v82, 14, v21
	v_cmpx_ne_u32_e32 0, v82
	s_xor_b32 s10, exec_lo, s10
; %bb.3952:                             ;   in Loop: Header=BB4_3452 Depth=2
	v_cmp_lt_u64_e32 vcc_lo, 0xffffff, v[38:39]
	v_add_nc_u32_e32 v16, 15, v21
	s_delay_alu instid0(VALU_DEP_1) | instskip(SKIP_1) | instid1(VALU_DEP_1)
	v_cndmask_b32_e32 v20, v82, v16, vcc_lo
	v_cndmask_b32_e64 v16, 0, 1, vcc_lo
	v_lshrrev_b64 v[16:17], v16, v[38:39]
; %bb.3953:                             ;   in Loop: Header=BB4_3452 Depth=2
	s_and_not1_saveexec_b32 s10, s10
; %bb.3954:                             ;   in Loop: Header=BB4_3452 Depth=2
	v_mov_b64_e32 v[16:17], v[38:39]
	v_bfe_u32 v20, v38, 23, 1
; %bb.3955:                             ;   in Loop: Header=BB4_3452 Depth=2
	s_or_b32 exec_lo, exec_lo, s10
	s_delay_alu instid0(VALU_DEP_2) | instskip(NEXT) | instid1(VALU_DEP_2)
	v_lshrrev_b64 v[16:17], 21, v[16:17]
	v_cmp_gt_i32_e32 vcc_lo, 32, v20
	v_cmp_ne_u32_e64 s10, 0, v20
                                        ; implicit-def: $vgpr84
	s_delay_alu instid0(VALU_DEP_3) | instskip(NEXT) | instid1(VALU_DEP_1)
	v_dual_cndmask_b32 v17, 0, v17 :: v_dual_cndmask_b32 v16, 3, v16
	v_cmp_ne_u64_e32 vcc_lo, 0, v[16:17]
	s_or_b32 s10, s10, vcc_lo
	s_delay_alu instid0(SALU_CYCLE_1) | instskip(NEXT) | instid1(SALU_CYCLE_1)
	s_and_saveexec_b32 s41, s10
	s_xor_b32 s10, exec_lo, s41
; %bb.3956:                             ;   in Loop: Header=BB4_3452 Depth=2
	v_min_i32_e32 v17, 31, v20
	s_delay_alu instid0(VALU_DEP_1) | instskip(NEXT) | instid1(VALU_DEP_1)
	v_lshl_or_b32 v2, v17, 2, v2
	v_and_or_b32 v84, v16, 3, v2
                                        ; implicit-def: $vgpr2
; %bb.3957:                             ;   in Loop: Header=BB4_3452 Depth=2
	s_and_not1_saveexec_b32 s10, s10
; %bb.3958:                             ;   in Loop: Header=BB4_3452 Depth=2
	v_mov_b32_e32 v84, v2
; %bb.3959:                             ;   in Loop: Header=BB4_3452 Depth=2
	s_or_b32 exec_lo, exec_lo, s10
.LBB4_3960:                             ;   in Loop: Header=BB4_3452 Depth=2
	s_delay_alu instid0(SALU_CYCLE_1)
	s_or_b32 exec_lo, exec_lo, s40
                                        ; implicit-def: $vgpr2
.LBB4_3961:                             ;   in Loop: Header=BB4_3452 Depth=2
	s_and_not1_saveexec_b32 s10, s29
; %bb.3962:                             ;   in Loop: Header=BB4_3452 Depth=2
	v_or_b32_e32 v84, 0x7b, v2
; %bb.3963:                             ;   in Loop: Header=BB4_3452 Depth=2
	s_or_b32 exec_lo, exec_lo, s10
                                        ; implicit-def: $vgpr16
.LBB4_3964:                             ;   in Loop: Header=BB4_3452 Depth=2
	s_and_not1_saveexec_b32 s10, s11
	s_cbranch_execz .LBB4_3970
; %bb.3965:                             ;   in Loop: Header=BB4_3452 Depth=2
	s_mov_b32 s11, exec_lo
                                        ; implicit-def: $vgpr84
	v_cmpx_ne_u64_e32 0, v[38:39]
	s_xor_b32 s11, exec_lo, s11
; %bb.3966:                             ;   in Loop: Header=BB4_3452 Depth=2
	v_lshrrev_b32_e32 v2, 24, v16
                                        ; implicit-def: $vgpr16
	s_delay_alu instid0(VALU_DEP_1)
	v_or_b32_e32 v84, 0x7f, v2
; %bb.3967:                             ;   in Loop: Header=BB4_3452 Depth=2
	s_and_not1_saveexec_b32 s11, s11
; %bb.3968:                             ;   in Loop: Header=BB4_3452 Depth=2
	v_cmp_lt_i32_e32 vcc_lo, -1, v16
	v_cndmask_b32_e64 v84, -4, 0x7c, vcc_lo
; %bb.3969:                             ;   in Loop: Header=BB4_3452 Depth=2
	s_or_b32 exec_lo, exec_lo, s11
.LBB4_3970:                             ;   in Loop: Header=BB4_3452 Depth=2
	s_delay_alu instid0(SALU_CYCLE_1)
	s_or_b32 exec_lo, exec_lo, s10
	flat_load_i8 v16, v[10:11] offset:480 th:TH_LOAD_NT
	v_mov_b32_e32 v17, 0
	s_mov_b32 s10, exec_lo
	s_wait_loadcnt_dscnt 0x0
	v_cmpx_ne_u16_e32 0, v16
	s_cbranch_execz .LBB4_3980
; %bb.3971:                             ;   in Loop: Header=BB4_3452 Depth=2
	v_bfrev_b32_e32 v17, 1
	s_mov_b32 s11, exec_lo
	v_cmpx_ne_u16_e32 0xff80, v16
	s_cbranch_execz .LBB4_3979
; %bb.3972:                             ;   in Loop: Header=BB4_3452 Depth=2
	v_and_b32_e32 v17, 0x7c, v16
	v_and_b32_e32 v2, 3, v16
	s_delay_alu instid0(VALU_DEP_2) | instskip(SKIP_1) | instid1(SALU_CYCLE_1)
	v_cmp_ne_u32_e32 vcc_lo, 0x7c, v17
                                        ; implicit-def: $vgpr17
	s_and_saveexec_b32 s29, vcc_lo
	s_xor_b32 s29, exec_lo, s29
	s_cbranch_execz .LBB4_3976
; %bb.3973:                             ;   in Loop: Header=BB4_3452 Depth=2
	v_and_b32_e32 v17, 0xff, v16
	s_mov_b32 s40, exec_lo
	s_delay_alu instid0(VALU_DEP_1) | instskip(NEXT) | instid1(VALU_DEP_1)
	v_bfe_u32 v17, v17, 2, 5
	v_cmpx_eq_u32_e32 0, v17
; %bb.3974:                             ;   in Loop: Header=BB4_3452 Depth=2
	v_clz_i32_u32_e32 v2, v2
	v_mov_b32_e32 v17, v39
	s_delay_alu instid0(VALU_DEP_2) | instskip(NEXT) | instid1(VALU_DEP_1)
	v_min_u32_e32 v2, 32, v2
	v_subrev_nc_u32_e32 v20, 29, v2
	s_delay_alu instid0(VALU_DEP_1) | instskip(NEXT) | instid1(VALU_DEP_1)
	v_lshlrev_b64_e32 v[20:21], v20, v[16:17]
	v_dual_sub_nc_u32 v17, 30, v2 :: v_dual_bitop2_b32 v2, 3, v20 bitop3:0x40
; %bb.3975:                             ;   in Loop: Header=BB4_3452 Depth=2
	s_or_b32 exec_lo, exec_lo, s40
	v_bfe_i32 v16, v16, 0, 16
	s_delay_alu instid0(VALU_DEP_1) | instskip(NEXT) | instid1(VALU_DEP_1)
	v_and_b32_e32 v16, 0x80000000, v16
	v_lshl_add_u32 v16, v17, 23, v16
	s_delay_alu instid0(VALU_DEP_1) | instskip(NEXT) | instid1(VALU_DEP_1)
	v_lshl_or_b32 v2, v2, 21, v16
                                        ; implicit-def: $vgpr16
	v_add_nc_u32_e32 v17, 0x38000000, v2
                                        ; implicit-def: $vgpr2
.LBB4_3976:                             ;   in Loop: Header=BB4_3452 Depth=2
	s_and_not1_saveexec_b32 s29, s29
; %bb.3977:                             ;   in Loop: Header=BB4_3452 Depth=2
	v_cmp_lt_i16_e32 vcc_lo, -1, v16
	v_cndmask_b32_e32 v16, 0xff800000, v126, vcc_lo
	v_cmp_eq_u32_e32 vcc_lo, 0, v2
	s_delay_alu instid0(VALU_DEP_2)
	v_cndmask_b32_e32 v17, 0x7f800001, v16, vcc_lo
; %bb.3978:                             ;   in Loop: Header=BB4_3452 Depth=2
	s_or_b32 exec_lo, exec_lo, s29
.LBB4_3979:                             ;   in Loop: Header=BB4_3452 Depth=2
	s_delay_alu instid0(SALU_CYCLE_1)
	s_or_b32 exec_lo, exec_lo, s11
.LBB4_3980:                             ;   in Loop: Header=BB4_3452 Depth=2
	s_delay_alu instid0(SALU_CYCLE_1) | instskip(NEXT) | instid1(VALU_DEP_1)
	s_or_b32 exec_lo, exec_lo, s10
	v_dual_mul_f32 v17, s28, v17 :: v_dual_mov_b32 v21, v39
                                        ; implicit-def: $vgpr16
	s_mov_b32 s10, exec_lo
	s_delay_alu instid0(VALU_DEP_1) | instskip(SKIP_1) | instid1(VALU_DEP_2)
	v_and_b32_e32 v20, 0x7f800000, v17
	v_and_b32_e32 v38, 0x7fffff, v17
	v_cmpx_ne_u64_e32 0x7f800000, v[20:21]
	s_xor_b32 s11, exec_lo, s10
	s_cbranch_execz .LBB4_3998
; %bb.3981:                             ;   in Loop: Header=BB4_3452 Depth=2
	v_dual_mov_b32 v21, v39 :: v_dual_lshrrev_b32 v2, 24, v17
	v_and_b32_e32 v20, 0x7fffffff, v17
                                        ; implicit-def: $vgpr16
	s_mov_b32 s10, exec_lo
	s_delay_alu instid0(VALU_DEP_2) | instskip(NEXT) | instid1(VALU_DEP_2)
	v_and_b32_e32 v2, 0x80, v2
	v_cmpx_gt_u64_e32 0x47600001, v[20:21]
	s_xor_b32 s28, exec_lo, s10
	s_cbranch_execz .LBB4_3995
; %bb.3982:                             ;   in Loop: Header=BB4_3452 Depth=2
	v_mov_b32_e32 v16, 0
	s_mov_b32 s29, exec_lo
	v_cmpx_ne_u32_e32 0, v17
	s_cbranch_execz .LBB4_3994
; %bb.3983:                             ;   in Loop: Header=BB4_3452 Depth=2
	v_bfe_u32 v20, v17, 23, 8
	v_or_b32_e32 v24, 0x800000, v38
	s_delay_alu instid0(VALU_DEP_2) | instskip(SKIP_1) | instid1(VALU_DEP_2)
	v_dual_mov_b32 v25, v39 :: v_dual_sub_nc_u32 v16, 0x71, v20
	v_cmp_gt_u32_e32 vcc_lo, 0x72, v20
	v_cndmask_b32_e32 v16, 0, v16, vcc_lo
	v_cmp_eq_u32_e32 vcc_lo, 0, v20
	s_delay_alu instid0(VALU_DEP_2) | instskip(NEXT) | instid1(VALU_DEP_1)
	v_cndmask_b32_e64 v21, v16, 0x70, vcc_lo
	v_dual_cndmask_b32 v24, v24, v38, vcc_lo :: v_dual_add_nc_u32 v16, 21, v21
	v_add_nc_u32_e32 v31, 20, v21
	s_delay_alu instid0(VALU_DEP_2) | instskip(NEXT) | instid1(VALU_DEP_2)
	v_lshlrev_b64_e64 v[16:17], v16, -1
	v_lshlrev_b64_e64 v[82:83], v31, 1
	s_delay_alu instid0(VALU_DEP_2) | instskip(NEXT) | instid1(VALU_DEP_3)
	v_bfi_b32 v103, v17, 0, 0
	v_bfi_b32 v102, v16, 0, v24
	v_lshrrev_b64 v[16:17], v21, v[24:25]
	s_delay_alu instid0(VALU_DEP_2) | instskip(NEXT) | instid1(VALU_DEP_2)
	v_cmp_eq_u64_e64 s10, v[102:103], v[82:83]
	v_mov_b64_e32 v[82:83], v[16:17]
	s_and_saveexec_b32 s40, s10
; %bb.3984:                             ;   in Loop: Header=BB4_3452 Depth=2
	v_bfe_u32 v24, v16, 21, 1
	v_mov_b32_e32 v25, v39
	s_delay_alu instid0(VALU_DEP_1) | instskip(NEXT) | instid1(VALU_DEP_1)
	v_add_nc_u64_e32 v[24:25], v[16:17], v[24:25]
	v_add_nc_u64_e32 v[82:83], -1, v[24:25]
; %bb.3985:                             ;   in Loop: Header=BB4_3452 Depth=2
	s_or_b32 exec_lo, exec_lo, s40
	v_add_nc_u32_e32 v17, 0xffffff81, v20
	s_delay_alu instid0(VALU_DEP_2) | instskip(SKIP_2) | instid1(VALU_DEP_3)
	v_and_b32_e32 v24, 0x1fffff, v82
	v_lshrrev_b32_e32 v20, 23, v16
	s_mov_b32 s10, exec_lo
	v_cndmask_b32_e64 v17, v17, 0xffffff82, vcc_lo
	s_delay_alu instid0(VALU_DEP_3) | instskip(NEXT) | instid1(VALU_DEP_2)
	v_add_nc_u32_e32 v38, v24, v16
	v_add3_u32 v21, v21, v17, v20
                                        ; implicit-def: $vgpr16_vgpr17
                                        ; implicit-def: $vgpr20
	s_delay_alu instid0(VALU_DEP_1) | instskip(NEXT) | instid1(VALU_DEP_1)
	v_add_nc_u32_e32 v82, 14, v21
	v_cmpx_ne_u32_e32 0, v82
	s_xor_b32 s10, exec_lo, s10
; %bb.3986:                             ;   in Loop: Header=BB4_3452 Depth=2
	v_cmp_lt_u64_e32 vcc_lo, 0xffffff, v[38:39]
	v_add_nc_u32_e32 v16, 15, v21
	s_delay_alu instid0(VALU_DEP_1) | instskip(SKIP_1) | instid1(VALU_DEP_1)
	v_cndmask_b32_e32 v20, v82, v16, vcc_lo
	v_cndmask_b32_e64 v16, 0, 1, vcc_lo
	v_lshrrev_b64 v[16:17], v16, v[38:39]
; %bb.3987:                             ;   in Loop: Header=BB4_3452 Depth=2
	s_and_not1_saveexec_b32 s10, s10
; %bb.3988:                             ;   in Loop: Header=BB4_3452 Depth=2
	v_mov_b64_e32 v[16:17], v[38:39]
	v_bfe_u32 v20, v38, 23, 1
; %bb.3989:                             ;   in Loop: Header=BB4_3452 Depth=2
	s_or_b32 exec_lo, exec_lo, s10
	s_delay_alu instid0(VALU_DEP_2) | instskip(NEXT) | instid1(VALU_DEP_2)
	v_lshrrev_b64 v[16:17], 21, v[16:17]
	v_cmp_gt_i32_e32 vcc_lo, 32, v20
	v_cmp_ne_u32_e64 s10, 0, v20
	s_delay_alu instid0(VALU_DEP_3) | instskip(NEXT) | instid1(VALU_DEP_1)
	v_dual_cndmask_b32 v83, 0, v17 :: v_dual_cndmask_b32 v82, 3, v16
                                        ; implicit-def: $vgpr16
	v_cmp_ne_u64_e32 vcc_lo, 0, v[82:83]
	s_or_b32 s10, s10, vcc_lo
	s_delay_alu instid0(SALU_CYCLE_1) | instskip(NEXT) | instid1(SALU_CYCLE_1)
	s_and_saveexec_b32 s40, s10
	s_xor_b32 s10, exec_lo, s40
; %bb.3990:                             ;   in Loop: Header=BB4_3452 Depth=2
	v_min_i32_e32 v16, 31, v20
	s_delay_alu instid0(VALU_DEP_1) | instskip(NEXT) | instid1(VALU_DEP_1)
	v_lshl_or_b32 v2, v16, 2, v2
	v_and_or_b32 v16, v82, 3, v2
                                        ; implicit-def: $vgpr2
; %bb.3991:                             ;   in Loop: Header=BB4_3452 Depth=2
	s_and_not1_saveexec_b32 s10, s10
; %bb.3992:                             ;   in Loop: Header=BB4_3452 Depth=2
	v_mov_b32_e32 v16, v2
; %bb.3993:                             ;   in Loop: Header=BB4_3452 Depth=2
	s_or_b32 exec_lo, exec_lo, s10
.LBB4_3994:                             ;   in Loop: Header=BB4_3452 Depth=2
	s_delay_alu instid0(SALU_CYCLE_1)
	s_or_b32 exec_lo, exec_lo, s29
                                        ; implicit-def: $vgpr2
.LBB4_3995:                             ;   in Loop: Header=BB4_3452 Depth=2
	s_and_not1_saveexec_b32 s10, s28
; %bb.3996:                             ;   in Loop: Header=BB4_3452 Depth=2
	v_or_b32_e32 v16, 0x7b, v2
; %bb.3997:                             ;   in Loop: Header=BB4_3452 Depth=2
	s_or_b32 exec_lo, exec_lo, s10
                                        ; implicit-def: $vgpr17
.LBB4_3998:                             ;   in Loop: Header=BB4_3452 Depth=2
	s_and_not1_saveexec_b32 s10, s11
	s_cbranch_execz .LBB4_4004
; %bb.3999:                             ;   in Loop: Header=BB4_3452 Depth=2
	s_mov_b32 s11, exec_lo
                                        ; implicit-def: $vgpr16
	v_cmpx_ne_u64_e32 0, v[38:39]
	s_xor_b32 s11, exec_lo, s11
; %bb.4000:                             ;   in Loop: Header=BB4_3452 Depth=2
	v_lshrrev_b32_e32 v2, 24, v17
                                        ; implicit-def: $vgpr17
	s_delay_alu instid0(VALU_DEP_1)
	v_or_b32_e32 v16, 0x7f, v2
; %bb.4001:                             ;   in Loop: Header=BB4_3452 Depth=2
	s_and_not1_saveexec_b32 s11, s11
; %bb.4002:                             ;   in Loop: Header=BB4_3452 Depth=2
	v_cmp_lt_i32_e32 vcc_lo, -1, v17
	v_cndmask_b32_e64 v16, -4, 0x7c, vcc_lo
; %bb.4003:                             ;   in Loop: Header=BB4_3452 Depth=2
	s_or_b32 exec_lo, exec_lo, s11
.LBB4_4004:                             ;   in Loop: Header=BB4_3452 Depth=2
	s_delay_alu instid0(SALU_CYCLE_1)
	s_or_b32 exec_lo, exec_lo, s10
	s_clause 0xf
	flat_load_i8 v110, v[12:13] th:TH_LOAD_NT
	flat_load_i8 v108, v[12:13] offset:32 th:TH_LOAD_NT
	flat_load_i8 v106, v[12:13] offset:64 th:TH_LOAD_NT
	;; [unrolled: 1-line block ×15, first 2 shown]
	v_and_b32_e32 v21, 0xff, v62
	v_dual_mov_b32 v2, 0 :: v_dual_mov_b32 v17, 0
	s_mov_b32 s10, exec_lo
	s_wait_xcnt 0x0
	s_delay_alu instid0(VALU_DEP_2)
	v_cmpx_ne_u16_e32 0, v21
	s_cbranch_execz .LBB4_4014
; %bb.4005:                             ;   in Loop: Header=BB4_3452 Depth=2
	v_bfrev_b32_e32 v17, 1
	s_mov_b32 s11, exec_lo
	v_cmpx_ne_u16_e32 0x80, v21
	s_cbranch_execz .LBB4_4013
; %bb.4006:                             ;   in Loop: Header=BB4_3452 Depth=2
	v_and_b32_e32 v17, 0x7c, v62
	v_and_b32_e32 v20, 3, v62
	s_delay_alu instid0(VALU_DEP_2) | instskip(SKIP_1) | instid1(SALU_CYCLE_1)
	v_cmp_ne_u32_e32 vcc_lo, 0x7c, v17
                                        ; implicit-def: $vgpr17
	s_and_saveexec_b32 s28, vcc_lo
	s_xor_b32 s28, exec_lo, s28
	s_cbranch_execz .LBB4_4010
; %bb.4007:                             ;   in Loop: Header=BB4_3452 Depth=2
	v_bfe_u32 v17, v21, 2, 5
	s_mov_b32 s29, exec_lo
	s_delay_alu instid0(VALU_DEP_1)
	v_cmpx_eq_u32_e32 0, v17
	s_cbranch_execz .LBB4_4009
; %bb.4008:                             ;   in Loop: Header=BB4_3452 Depth=2
	v_clz_i32_u32_e32 v17, v20
	s_delay_alu instid0(VALU_DEP_1) | instskip(SKIP_1) | instid1(VALU_DEP_2)
	v_min_u32_e32 v17, 32, v17
	v_mov_b32_e32 v63, v39
	v_subrev_nc_u32_e32 v20, 29, v17
	v_sub_nc_u32_e32 v17, 30, v17
	s_delay_alu instid0(VALU_DEP_2) | instskip(NEXT) | instid1(VALU_DEP_1)
	v_lshlrev_b64_e32 v[20:21], v20, v[62:63]
	v_and_b32_e32 v20, 3, v20
.LBB4_4009:                             ;   in Loop: Header=BB4_3452 Depth=2
	s_or_b32 exec_lo, exec_lo, s29
	v_lshlrev_b32_e32 v21, 24, v62
                                        ; implicit-def: $vgpr62
	s_delay_alu instid0(VALU_DEP_1) | instskip(NEXT) | instid1(VALU_DEP_1)
	v_and_b32_e32 v21, 0x80000000, v21
	v_lshl_add_u32 v17, v17, 23, v21
	s_delay_alu instid0(VALU_DEP_1) | instskip(NEXT) | instid1(VALU_DEP_1)
	v_lshl_or_b32 v17, v20, 21, v17
                                        ; implicit-def: $vgpr20
	v_add_nc_u32_e32 v17, 0x38000000, v17
.LBB4_4010:                             ;   in Loop: Header=BB4_3452 Depth=2
	s_and_not1_saveexec_b32 s28, s28
; %bb.4011:                             ;   in Loop: Header=BB4_3452 Depth=2
	v_bfe_i32 v17, v62, 0, 8
	s_delay_alu instid0(VALU_DEP_1) | instskip(SKIP_2) | instid1(VALU_DEP_2)
	v_cmp_lt_i16_e32 vcc_lo, -1, v17
	v_cndmask_b32_e32 v17, 0xff800000, v126, vcc_lo
	v_cmp_eq_u32_e32 vcc_lo, 0, v20
	v_cndmask_b32_e32 v17, 0x7f800001, v17, vcc_lo
; %bb.4012:                             ;   in Loop: Header=BB4_3452 Depth=2
	s_or_b32 exec_lo, exec_lo, s28
.LBB4_4013:                             ;   in Loop: Header=BB4_3452 Depth=2
	s_delay_alu instid0(SALU_CYCLE_1)
	s_or_b32 exec_lo, exec_lo, s11
.LBB4_4014:                             ;   in Loop: Header=BB4_3452 Depth=2
	s_delay_alu instid0(SALU_CYCLE_1) | instskip(NEXT) | instid1(SALU_CYCLE_1)
	s_or_b32 exec_lo, exec_lo, s10
	s_mov_b32 s10, exec_lo
	s_wait_loadcnt_dscnt 0xf0f
	v_cmpx_ne_u16_e32 0, v110
	s_cbranch_execz .LBB4_4024
; %bb.4015:                             ;   in Loop: Header=BB4_3452 Depth=2
	v_bfrev_b32_e32 v2, 1
	s_mov_b32 s11, exec_lo
	v_cmpx_ne_u16_e32 0xff80, v110
	s_cbranch_execz .LBB4_4023
; %bb.4016:                             ;   in Loop: Header=BB4_3452 Depth=2
	v_and_b32_e32 v2, 0x7c, v110
	v_and_b32_e32 v20, 3, v110
	s_delay_alu instid0(VALU_DEP_2) | instskip(SKIP_1) | instid1(SALU_CYCLE_1)
	v_cmp_ne_u32_e32 vcc_lo, 0x7c, v2
                                        ; implicit-def: $vgpr2
	s_and_saveexec_b32 s28, vcc_lo
	s_xor_b32 s28, exec_lo, s28
	s_cbranch_execz .LBB4_4020
; %bb.4017:                             ;   in Loop: Header=BB4_3452 Depth=2
	v_and_b32_e32 v2, 0xff, v110
	s_mov_b32 s29, exec_lo
	s_delay_alu instid0(VALU_DEP_1) | instskip(NEXT) | instid1(VALU_DEP_1)
	v_bfe_u32 v2, v2, 2, 5
	v_cmpx_eq_u32_e32 0, v2
	s_cbranch_execz .LBB4_4019
; %bb.4018:                             ;   in Loop: Header=BB4_3452 Depth=2
	v_clz_i32_u32_e32 v2, v20
	s_delay_alu instid0(VALU_DEP_1) | instskip(SKIP_1) | instid1(VALU_DEP_2)
	v_min_u32_e32 v2, 32, v2
	v_mov_b32_e32 v111, v39
	v_subrev_nc_u32_e32 v20, 29, v2
	v_sub_nc_u32_e32 v2, 30, v2
	s_delay_alu instid0(VALU_DEP_2) | instskip(NEXT) | instid1(VALU_DEP_1)
	v_lshlrev_b64_e32 v[20:21], v20, v[110:111]
	v_and_b32_e32 v20, 3, v20
.LBB4_4019:                             ;   in Loop: Header=BB4_3452 Depth=2
	s_or_b32 exec_lo, exec_lo, s29
	v_bfe_i32 v21, v110, 0, 16
                                        ; implicit-def: $vgpr110
	s_delay_alu instid0(VALU_DEP_1) | instskip(NEXT) | instid1(VALU_DEP_1)
	v_and_b32_e32 v21, 0x80000000, v21
	v_lshl_add_u32 v2, v2, 23, v21
	s_delay_alu instid0(VALU_DEP_1) | instskip(NEXT) | instid1(VALU_DEP_1)
	v_lshl_or_b32 v2, v20, 21, v2
                                        ; implicit-def: $vgpr20
	v_add_nc_u32_e32 v2, 0x38000000, v2
.LBB4_4020:                             ;   in Loop: Header=BB4_3452 Depth=2
	s_and_not1_saveexec_b32 s28, s28
; %bb.4021:                             ;   in Loop: Header=BB4_3452 Depth=2
	v_cmp_lt_i16_e32 vcc_lo, -1, v110
	v_cndmask_b32_e32 v2, 0xff800000, v126, vcc_lo
	v_cmp_eq_u32_e32 vcc_lo, 0, v20
	s_delay_alu instid0(VALU_DEP_2)
	v_cndmask_b32_e32 v2, 0x7f800001, v2, vcc_lo
; %bb.4022:                             ;   in Loop: Header=BB4_3452 Depth=2
	s_or_b32 exec_lo, exec_lo, s28
.LBB4_4023:                             ;   in Loop: Header=BB4_3452 Depth=2
	s_delay_alu instid0(SALU_CYCLE_1)
	s_or_b32 exec_lo, exec_lo, s11
.LBB4_4024:                             ;   in Loop: Header=BB4_3452 Depth=2
	s_delay_alu instid0(SALU_CYCLE_1) | instskip(NEXT) | instid1(VALU_DEP_1)
	s_or_b32 exec_lo, exec_lo, s10
	v_dual_add_f32 v17, v17, v2 :: v_dual_mov_b32 v21, v39
                                        ; implicit-def: $vgpr110
	s_mov_b32 s10, exec_lo
	s_delay_alu instid0(VALU_DEP_1) | instskip(SKIP_1) | instid1(VALU_DEP_2)
	v_and_b32_e32 v20, 0x7f800000, v17
	v_and_b32_e32 v38, 0x7fffff, v17
	v_cmpx_ne_u64_e32 0x7f800000, v[20:21]
	s_xor_b32 s11, exec_lo, s10
	s_cbranch_execz .LBB4_4042
; %bb.4025:                             ;   in Loop: Header=BB4_3452 Depth=2
	v_dual_mov_b32 v21, v39 :: v_dual_lshrrev_b32 v2, 24, v17
	v_and_b32_e32 v20, 0x7fffffff, v17
                                        ; implicit-def: $vgpr110
	s_mov_b32 s10, exec_lo
	s_delay_alu instid0(VALU_DEP_2) | instskip(NEXT) | instid1(VALU_DEP_2)
	v_and_b32_e32 v2, 0x80, v2
	v_cmpx_gt_u64_e32 0x47600001, v[20:21]
	s_xor_b32 s28, exec_lo, s10
	s_cbranch_execz .LBB4_4039
; %bb.4026:                             ;   in Loop: Header=BB4_3452 Depth=2
	v_mov_b32_e32 v110, 0
	s_mov_b32 s29, exec_lo
	v_cmpx_ne_u32_e32 0, v17
	s_cbranch_execz .LBB4_4038
; %bb.4027:                             ;   in Loop: Header=BB4_3452 Depth=2
	v_bfe_u32 v17, v17, 23, 8
	v_or_b32_e32 v31, 0x800000, v38
	s_delay_alu instid0(VALU_DEP_2) | instskip(SKIP_1) | instid1(VALU_DEP_2)
	v_dual_mov_b32 v63, v39 :: v_dual_sub_nc_u32 v20, 0x71, v17
	v_cmp_gt_u32_e32 vcc_lo, 0x72, v17
	v_cndmask_b32_e32 v20, 0, v20, vcc_lo
	v_cmp_eq_u32_e32 vcc_lo, 0, v17
	v_cndmask_b32_e32 v62, v31, v38, vcc_lo
	s_delay_alu instid0(VALU_DEP_3) | instskip(NEXT) | instid1(VALU_DEP_1)
	v_cndmask_b32_e64 v20, v20, 0x70, vcc_lo
	v_add_nc_u32_e32 v21, 21, v20
	s_delay_alu instid0(VALU_DEP_1) | instskip(SKIP_1) | instid1(VALU_DEP_1)
	v_lshlrev_b64_e64 v[24:25], v21, -1
	v_add_nc_u32_e32 v21, 20, v20
	v_lshlrev_b64_e64 v[110:111], v21, 1
	s_delay_alu instid0(VALU_DEP_3) | instskip(SKIP_2) | instid1(VALU_DEP_1)
	v_bfi_b32 v24, v24, 0, v62
	v_lshrrev_b64 v[62:63], v20, v[62:63]
	v_bfi_b32 v25, v25, 0, 0
	v_cmp_eq_u64_e64 s10, v[24:25], v[110:111]
	s_delay_alu instid0(VALU_DEP_3)
	v_mov_b64_e32 v[110:111], v[62:63]
	s_and_saveexec_b32 s40, s10
; %bb.4028:                             ;   in Loop: Header=BB4_3452 Depth=2
	v_bfe_u32 v24, v62, 21, 1
	v_mov_b32_e32 v25, v39
	s_delay_alu instid0(VALU_DEP_1) | instskip(NEXT) | instid1(VALU_DEP_1)
	v_add_nc_u64_e32 v[24:25], v[62:63], v[24:25]
	v_add_nc_u64_e32 v[110:111], -1, v[24:25]
; %bb.4029:                             ;   in Loop: Header=BB4_3452 Depth=2
	s_or_b32 exec_lo, exec_lo, s40
	v_add_nc_u32_e32 v17, 0xffffff81, v17
	s_delay_alu instid0(VALU_DEP_2) | instskip(SKIP_2) | instid1(VALU_DEP_3)
	v_and_b32_e32 v24, 0x1fffff, v110
	v_lshrrev_b32_e32 v21, 23, v62
	s_mov_b32 s10, exec_lo
	v_cndmask_b32_e64 v17, v17, 0xffffff82, vcc_lo
	s_delay_alu instid0(VALU_DEP_3) | instskip(NEXT) | instid1(VALU_DEP_2)
	v_add_nc_u32_e32 v38, v24, v62
                                        ; implicit-def: $vgpr62_vgpr63
	v_add3_u32 v20, v20, v17, v21
                                        ; implicit-def: $vgpr17
	s_delay_alu instid0(VALU_DEP_1) | instskip(NEXT) | instid1(VALU_DEP_1)
	v_add_nc_u32_e32 v21, 14, v20
	v_cmpx_ne_u32_e32 0, v21
	s_xor_b32 s10, exec_lo, s10
; %bb.4030:                             ;   in Loop: Header=BB4_3452 Depth=2
	v_cmp_lt_u64_e32 vcc_lo, 0xffffff, v[38:39]
	v_add_nc_u32_e32 v17, 15, v20
	v_cndmask_b32_e64 v20, 0, 1, vcc_lo
	s_delay_alu instid0(VALU_DEP_2) | instskip(NEXT) | instid1(VALU_DEP_2)
	v_cndmask_b32_e32 v17, v21, v17, vcc_lo
	v_lshrrev_b64 v[62:63], v20, v[38:39]
; %bb.4031:                             ;   in Loop: Header=BB4_3452 Depth=2
	s_and_not1_saveexec_b32 s10, s10
; %bb.4032:                             ;   in Loop: Header=BB4_3452 Depth=2
	v_mov_b64_e32 v[62:63], v[38:39]
	v_bfe_u32 v17, v38, 23, 1
; %bb.4033:                             ;   in Loop: Header=BB4_3452 Depth=2
	s_or_b32 exec_lo, exec_lo, s10
	s_delay_alu instid0(VALU_DEP_2) | instskip(NEXT) | instid1(VALU_DEP_2)
	v_lshrrev_b64 v[20:21], 21, v[62:63]
	v_cmp_gt_i32_e32 vcc_lo, 32, v17
	v_cmp_ne_u32_e64 s10, 0, v17
                                        ; implicit-def: $vgpr110
	s_delay_alu instid0(VALU_DEP_3) | instskip(NEXT) | instid1(VALU_DEP_1)
	v_dual_cndmask_b32 v63, 0, v21 :: v_dual_cndmask_b32 v62, 3, v20
	v_cmp_ne_u64_e32 vcc_lo, 0, v[62:63]
	s_or_b32 s10, s10, vcc_lo
	s_delay_alu instid0(SALU_CYCLE_1) | instskip(NEXT) | instid1(SALU_CYCLE_1)
	s_and_saveexec_b32 s40, s10
	s_xor_b32 s10, exec_lo, s40
; %bb.4034:                             ;   in Loop: Header=BB4_3452 Depth=2
	v_min_i32_e32 v17, 31, v17
	s_delay_alu instid0(VALU_DEP_1) | instskip(NEXT) | instid1(VALU_DEP_1)
	v_lshl_or_b32 v2, v17, 2, v2
	v_and_or_b32 v110, v62, 3, v2
                                        ; implicit-def: $vgpr2
; %bb.4035:                             ;   in Loop: Header=BB4_3452 Depth=2
	s_and_not1_saveexec_b32 s10, s10
; %bb.4036:                             ;   in Loop: Header=BB4_3452 Depth=2
	v_mov_b32_e32 v110, v2
; %bb.4037:                             ;   in Loop: Header=BB4_3452 Depth=2
	s_or_b32 exec_lo, exec_lo, s10
.LBB4_4038:                             ;   in Loop: Header=BB4_3452 Depth=2
	s_delay_alu instid0(SALU_CYCLE_1)
	s_or_b32 exec_lo, exec_lo, s29
                                        ; implicit-def: $vgpr2
.LBB4_4039:                             ;   in Loop: Header=BB4_3452 Depth=2
	s_and_not1_saveexec_b32 s10, s28
; %bb.4040:                             ;   in Loop: Header=BB4_3452 Depth=2
	v_or_b32_e32 v110, 0x7b, v2
; %bb.4041:                             ;   in Loop: Header=BB4_3452 Depth=2
	s_or_b32 exec_lo, exec_lo, s10
                                        ; implicit-def: $vgpr17
.LBB4_4042:                             ;   in Loop: Header=BB4_3452 Depth=2
	s_and_not1_saveexec_b32 s10, s11
	s_cbranch_execz .LBB4_4048
; %bb.4043:                             ;   in Loop: Header=BB4_3452 Depth=2
	s_mov_b32 s11, exec_lo
                                        ; implicit-def: $vgpr110
	v_cmpx_ne_u64_e32 0, v[38:39]
	s_xor_b32 s11, exec_lo, s11
; %bb.4044:                             ;   in Loop: Header=BB4_3452 Depth=2
	v_lshrrev_b32_e32 v2, 24, v17
                                        ; implicit-def: $vgpr17
	s_delay_alu instid0(VALU_DEP_1)
	v_or_b32_e32 v110, 0x7f, v2
; %bb.4045:                             ;   in Loop: Header=BB4_3452 Depth=2
	s_and_not1_saveexec_b32 s11, s11
; %bb.4046:                             ;   in Loop: Header=BB4_3452 Depth=2
	v_cmp_lt_i32_e32 vcc_lo, -1, v17
	v_cndmask_b32_e64 v110, -4, 0x7c, vcc_lo
; %bb.4047:                             ;   in Loop: Header=BB4_3452 Depth=2
	s_or_b32 exec_lo, exec_lo, s11
.LBB4_4048:                             ;   in Loop: Header=BB4_3452 Depth=2
	s_delay_alu instid0(SALU_CYCLE_1) | instskip(SKIP_3) | instid1(VALU_DEP_2)
	s_or_b32 exec_lo, exec_lo, s10
	v_and_b32_e32 v21, 0xff, v58
	v_dual_mov_b32 v2, 0 :: v_dual_mov_b32 v17, 0
	s_mov_b32 s10, exec_lo
	v_cmpx_ne_u16_e32 0, v21
	s_cbranch_execz .LBB4_4058
; %bb.4049:                             ;   in Loop: Header=BB4_3452 Depth=2
	v_bfrev_b32_e32 v17, 1
	s_mov_b32 s11, exec_lo
	v_cmpx_ne_u16_e32 0x80, v21
	s_cbranch_execz .LBB4_4057
; %bb.4050:                             ;   in Loop: Header=BB4_3452 Depth=2
	v_and_b32_e32 v17, 0x7c, v58
	v_and_b32_e32 v20, 3, v58
	s_delay_alu instid0(VALU_DEP_2) | instskip(SKIP_1) | instid1(SALU_CYCLE_1)
	v_cmp_ne_u32_e32 vcc_lo, 0x7c, v17
                                        ; implicit-def: $vgpr17
	s_and_saveexec_b32 s28, vcc_lo
	s_xor_b32 s28, exec_lo, s28
	s_cbranch_execz .LBB4_4054
; %bb.4051:                             ;   in Loop: Header=BB4_3452 Depth=2
	v_bfe_u32 v17, v21, 2, 5
	s_mov_b32 s29, exec_lo
	s_delay_alu instid0(VALU_DEP_1)
	v_cmpx_eq_u32_e32 0, v17
	s_cbranch_execz .LBB4_4053
; %bb.4052:                             ;   in Loop: Header=BB4_3452 Depth=2
	v_clz_i32_u32_e32 v17, v20
	s_delay_alu instid0(VALU_DEP_1) | instskip(SKIP_1) | instid1(VALU_DEP_2)
	v_min_u32_e32 v17, 32, v17
	v_mov_b32_e32 v59, v39
	v_subrev_nc_u32_e32 v20, 29, v17
	v_sub_nc_u32_e32 v17, 30, v17
	s_delay_alu instid0(VALU_DEP_2) | instskip(NEXT) | instid1(VALU_DEP_1)
	v_lshlrev_b64_e32 v[20:21], v20, v[58:59]
	v_and_b32_e32 v20, 3, v20
.LBB4_4053:                             ;   in Loop: Header=BB4_3452 Depth=2
	s_or_b32 exec_lo, exec_lo, s29
	v_lshlrev_b32_e32 v21, 24, v58
                                        ; implicit-def: $vgpr58
	s_delay_alu instid0(VALU_DEP_1) | instskip(NEXT) | instid1(VALU_DEP_1)
	v_and_b32_e32 v21, 0x80000000, v21
	v_lshl_add_u32 v17, v17, 23, v21
	s_delay_alu instid0(VALU_DEP_1) | instskip(NEXT) | instid1(VALU_DEP_1)
	v_lshl_or_b32 v17, v20, 21, v17
                                        ; implicit-def: $vgpr20
	v_add_nc_u32_e32 v17, 0x38000000, v17
.LBB4_4054:                             ;   in Loop: Header=BB4_3452 Depth=2
	s_and_not1_saveexec_b32 s28, s28
; %bb.4055:                             ;   in Loop: Header=BB4_3452 Depth=2
	v_bfe_i32 v17, v58, 0, 8
	s_delay_alu instid0(VALU_DEP_1) | instskip(SKIP_2) | instid1(VALU_DEP_2)
	v_cmp_lt_i16_e32 vcc_lo, -1, v17
	v_cndmask_b32_e32 v17, 0xff800000, v126, vcc_lo
	v_cmp_eq_u32_e32 vcc_lo, 0, v20
	v_cndmask_b32_e32 v17, 0x7f800001, v17, vcc_lo
; %bb.4056:                             ;   in Loop: Header=BB4_3452 Depth=2
	s_or_b32 exec_lo, exec_lo, s28
.LBB4_4057:                             ;   in Loop: Header=BB4_3452 Depth=2
	s_delay_alu instid0(SALU_CYCLE_1)
	s_or_b32 exec_lo, exec_lo, s11
.LBB4_4058:                             ;   in Loop: Header=BB4_3452 Depth=2
	s_delay_alu instid0(SALU_CYCLE_1) | instskip(NEXT) | instid1(SALU_CYCLE_1)
	s_or_b32 exec_lo, exec_lo, s10
	s_mov_b32 s10, exec_lo
	s_wait_loadcnt_dscnt 0xe0e
	v_cmpx_ne_u16_e32 0, v108
	s_cbranch_execz .LBB4_4068
; %bb.4059:                             ;   in Loop: Header=BB4_3452 Depth=2
	v_bfrev_b32_e32 v2, 1
	s_mov_b32 s11, exec_lo
	v_cmpx_ne_u16_e32 0xff80, v108
	s_cbranch_execz .LBB4_4067
; %bb.4060:                             ;   in Loop: Header=BB4_3452 Depth=2
	v_and_b32_e32 v2, 0x7c, v108
	v_and_b32_e32 v20, 3, v108
	s_delay_alu instid0(VALU_DEP_2) | instskip(SKIP_1) | instid1(SALU_CYCLE_1)
	v_cmp_ne_u32_e32 vcc_lo, 0x7c, v2
                                        ; implicit-def: $vgpr2
	s_and_saveexec_b32 s28, vcc_lo
	s_xor_b32 s28, exec_lo, s28
	s_cbranch_execz .LBB4_4064
; %bb.4061:                             ;   in Loop: Header=BB4_3452 Depth=2
	v_and_b32_e32 v2, 0xff, v108
	s_mov_b32 s29, exec_lo
	s_delay_alu instid0(VALU_DEP_1) | instskip(NEXT) | instid1(VALU_DEP_1)
	v_bfe_u32 v2, v2, 2, 5
	v_cmpx_eq_u32_e32 0, v2
	s_cbranch_execz .LBB4_4063
; %bb.4062:                             ;   in Loop: Header=BB4_3452 Depth=2
	v_clz_i32_u32_e32 v2, v20
	s_delay_alu instid0(VALU_DEP_1) | instskip(SKIP_1) | instid1(VALU_DEP_2)
	v_min_u32_e32 v2, 32, v2
	v_mov_b32_e32 v109, v39
	v_subrev_nc_u32_e32 v20, 29, v2
	v_sub_nc_u32_e32 v2, 30, v2
	s_delay_alu instid0(VALU_DEP_2) | instskip(NEXT) | instid1(VALU_DEP_1)
	v_lshlrev_b64_e32 v[20:21], v20, v[108:109]
	v_and_b32_e32 v20, 3, v20
.LBB4_4063:                             ;   in Loop: Header=BB4_3452 Depth=2
	s_or_b32 exec_lo, exec_lo, s29
	v_bfe_i32 v21, v108, 0, 16
                                        ; implicit-def: $vgpr108
	s_delay_alu instid0(VALU_DEP_1) | instskip(NEXT) | instid1(VALU_DEP_1)
	v_and_b32_e32 v21, 0x80000000, v21
	v_lshl_add_u32 v2, v2, 23, v21
	s_delay_alu instid0(VALU_DEP_1) | instskip(NEXT) | instid1(VALU_DEP_1)
	v_lshl_or_b32 v2, v20, 21, v2
                                        ; implicit-def: $vgpr20
	v_add_nc_u32_e32 v2, 0x38000000, v2
.LBB4_4064:                             ;   in Loop: Header=BB4_3452 Depth=2
	s_and_not1_saveexec_b32 s28, s28
; %bb.4065:                             ;   in Loop: Header=BB4_3452 Depth=2
	v_cmp_lt_i16_e32 vcc_lo, -1, v108
	v_cndmask_b32_e32 v2, 0xff800000, v126, vcc_lo
	v_cmp_eq_u32_e32 vcc_lo, 0, v20
	s_delay_alu instid0(VALU_DEP_2)
	v_cndmask_b32_e32 v2, 0x7f800001, v2, vcc_lo
; %bb.4066:                             ;   in Loop: Header=BB4_3452 Depth=2
	s_or_b32 exec_lo, exec_lo, s28
.LBB4_4067:                             ;   in Loop: Header=BB4_3452 Depth=2
	s_delay_alu instid0(SALU_CYCLE_1)
	s_or_b32 exec_lo, exec_lo, s11
.LBB4_4068:                             ;   in Loop: Header=BB4_3452 Depth=2
	s_delay_alu instid0(SALU_CYCLE_1) | instskip(NEXT) | instid1(VALU_DEP_1)
	s_or_b32 exec_lo, exec_lo, s10
	v_dual_add_f32 v17, v17, v2 :: v_dual_mov_b32 v21, v39
                                        ; implicit-def: $vgpr62
	s_mov_b32 s10, exec_lo
	s_delay_alu instid0(VALU_DEP_1) | instskip(SKIP_1) | instid1(VALU_DEP_2)
	v_and_b32_e32 v20, 0x7f800000, v17
	v_and_b32_e32 v38, 0x7fffff, v17
	v_cmpx_ne_u64_e32 0x7f800000, v[20:21]
	s_xor_b32 s11, exec_lo, s10
	s_cbranch_execz .LBB4_4086
; %bb.4069:                             ;   in Loop: Header=BB4_3452 Depth=2
	v_dual_mov_b32 v21, v39 :: v_dual_lshrrev_b32 v2, 24, v17
	v_and_b32_e32 v20, 0x7fffffff, v17
                                        ; implicit-def: $vgpr62
	s_mov_b32 s10, exec_lo
	s_delay_alu instid0(VALU_DEP_2) | instskip(NEXT) | instid1(VALU_DEP_2)
	v_and_b32_e32 v2, 0x80, v2
	v_cmpx_gt_u64_e32 0x47600001, v[20:21]
	s_xor_b32 s28, exec_lo, s10
	s_cbranch_execz .LBB4_4083
; %bb.4070:                             ;   in Loop: Header=BB4_3452 Depth=2
	v_mov_b32_e32 v62, 0
	s_mov_b32 s29, exec_lo
	v_cmpx_ne_u32_e32 0, v17
	s_cbranch_execz .LBB4_4082
; %bb.4071:                             ;   in Loop: Header=BB4_3452 Depth=2
	v_bfe_u32 v17, v17, 23, 8
	v_or_b32_e32 v31, 0x800000, v38
	s_delay_alu instid0(VALU_DEP_2) | instskip(SKIP_1) | instid1(VALU_DEP_2)
	v_dual_mov_b32 v59, v39 :: v_dual_sub_nc_u32 v20, 0x71, v17
	v_cmp_gt_u32_e32 vcc_lo, 0x72, v17
	v_cndmask_b32_e32 v20, 0, v20, vcc_lo
	v_cmp_eq_u32_e32 vcc_lo, 0, v17
	v_cndmask_b32_e32 v58, v31, v38, vcc_lo
	s_delay_alu instid0(VALU_DEP_3) | instskip(NEXT) | instid1(VALU_DEP_1)
	v_cndmask_b32_e64 v20, v20, 0x70, vcc_lo
	v_add_nc_u32_e32 v21, 21, v20
	s_delay_alu instid0(VALU_DEP_1) | instskip(SKIP_1) | instid1(VALU_DEP_1)
	v_lshlrev_b64_e64 v[24:25], v21, -1
	v_add_nc_u32_e32 v21, 20, v20
	v_lshlrev_b64_e64 v[62:63], v21, 1
	s_delay_alu instid0(VALU_DEP_3) | instskip(SKIP_2) | instid1(VALU_DEP_1)
	v_bfi_b32 v24, v24, 0, v58
	v_lshrrev_b64 v[58:59], v20, v[58:59]
	v_bfi_b32 v25, v25, 0, 0
	v_cmp_eq_u64_e64 s10, v[24:25], v[62:63]
	s_delay_alu instid0(VALU_DEP_3)
	v_mov_b64_e32 v[62:63], v[58:59]
	s_and_saveexec_b32 s40, s10
; %bb.4072:                             ;   in Loop: Header=BB4_3452 Depth=2
	v_bfe_u32 v24, v58, 21, 1
	v_mov_b32_e32 v25, v39
	s_delay_alu instid0(VALU_DEP_1) | instskip(NEXT) | instid1(VALU_DEP_1)
	v_add_nc_u64_e32 v[24:25], v[58:59], v[24:25]
	v_add_nc_u64_e32 v[62:63], -1, v[24:25]
; %bb.4073:                             ;   in Loop: Header=BB4_3452 Depth=2
	s_or_b32 exec_lo, exec_lo, s40
	v_add_nc_u32_e32 v17, 0xffffff81, v17
	s_delay_alu instid0(VALU_DEP_2) | instskip(SKIP_2) | instid1(VALU_DEP_3)
	v_and_b32_e32 v24, 0x1fffff, v62
	v_lshrrev_b32_e32 v21, 23, v58
	s_mov_b32 s10, exec_lo
	v_cndmask_b32_e64 v17, v17, 0xffffff82, vcc_lo
	s_delay_alu instid0(VALU_DEP_3) | instskip(NEXT) | instid1(VALU_DEP_2)
	v_add_nc_u32_e32 v38, v24, v58
                                        ; implicit-def: $vgpr58_vgpr59
	v_add3_u32 v20, v20, v17, v21
                                        ; implicit-def: $vgpr17
	s_delay_alu instid0(VALU_DEP_1) | instskip(NEXT) | instid1(VALU_DEP_1)
	v_add_nc_u32_e32 v21, 14, v20
	v_cmpx_ne_u32_e32 0, v21
	s_xor_b32 s10, exec_lo, s10
; %bb.4074:                             ;   in Loop: Header=BB4_3452 Depth=2
	v_cmp_lt_u64_e32 vcc_lo, 0xffffff, v[38:39]
	v_add_nc_u32_e32 v17, 15, v20
	v_cndmask_b32_e64 v20, 0, 1, vcc_lo
	s_delay_alu instid0(VALU_DEP_2) | instskip(NEXT) | instid1(VALU_DEP_2)
	v_cndmask_b32_e32 v17, v21, v17, vcc_lo
	v_lshrrev_b64 v[58:59], v20, v[38:39]
; %bb.4075:                             ;   in Loop: Header=BB4_3452 Depth=2
	s_and_not1_saveexec_b32 s10, s10
; %bb.4076:                             ;   in Loop: Header=BB4_3452 Depth=2
	v_mov_b64_e32 v[58:59], v[38:39]
	v_bfe_u32 v17, v38, 23, 1
; %bb.4077:                             ;   in Loop: Header=BB4_3452 Depth=2
	s_or_b32 exec_lo, exec_lo, s10
	s_delay_alu instid0(VALU_DEP_2) | instskip(NEXT) | instid1(VALU_DEP_2)
	v_lshrrev_b64 v[20:21], 21, v[58:59]
	v_cmp_gt_i32_e32 vcc_lo, 32, v17
	v_cmp_ne_u32_e64 s10, 0, v17
                                        ; implicit-def: $vgpr62
	s_delay_alu instid0(VALU_DEP_3) | instskip(NEXT) | instid1(VALU_DEP_1)
	v_dual_cndmask_b32 v59, 0, v21 :: v_dual_cndmask_b32 v58, 3, v20
	v_cmp_ne_u64_e32 vcc_lo, 0, v[58:59]
	s_or_b32 s10, s10, vcc_lo
	s_delay_alu instid0(SALU_CYCLE_1) | instskip(NEXT) | instid1(SALU_CYCLE_1)
	s_and_saveexec_b32 s40, s10
	s_xor_b32 s10, exec_lo, s40
; %bb.4078:                             ;   in Loop: Header=BB4_3452 Depth=2
	v_min_i32_e32 v17, 31, v17
	s_delay_alu instid0(VALU_DEP_1) | instskip(NEXT) | instid1(VALU_DEP_1)
	v_lshl_or_b32 v2, v17, 2, v2
	v_and_or_b32 v62, v58, 3, v2
                                        ; implicit-def: $vgpr2
; %bb.4079:                             ;   in Loop: Header=BB4_3452 Depth=2
	s_and_not1_saveexec_b32 s10, s10
; %bb.4080:                             ;   in Loop: Header=BB4_3452 Depth=2
	v_mov_b32_e32 v62, v2
; %bb.4081:                             ;   in Loop: Header=BB4_3452 Depth=2
	s_or_b32 exec_lo, exec_lo, s10
.LBB4_4082:                             ;   in Loop: Header=BB4_3452 Depth=2
	s_delay_alu instid0(SALU_CYCLE_1)
	s_or_b32 exec_lo, exec_lo, s29
                                        ; implicit-def: $vgpr2
.LBB4_4083:                             ;   in Loop: Header=BB4_3452 Depth=2
	s_and_not1_saveexec_b32 s10, s28
; %bb.4084:                             ;   in Loop: Header=BB4_3452 Depth=2
	v_or_b32_e32 v62, 0x7b, v2
; %bb.4085:                             ;   in Loop: Header=BB4_3452 Depth=2
	s_or_b32 exec_lo, exec_lo, s10
                                        ; implicit-def: $vgpr17
.LBB4_4086:                             ;   in Loop: Header=BB4_3452 Depth=2
	s_and_not1_saveexec_b32 s10, s11
	s_cbranch_execz .LBB4_4092
; %bb.4087:                             ;   in Loop: Header=BB4_3452 Depth=2
	s_mov_b32 s11, exec_lo
                                        ; implicit-def: $vgpr62
	v_cmpx_ne_u64_e32 0, v[38:39]
	s_xor_b32 s11, exec_lo, s11
; %bb.4088:                             ;   in Loop: Header=BB4_3452 Depth=2
	v_lshrrev_b32_e32 v2, 24, v17
                                        ; implicit-def: $vgpr17
	s_delay_alu instid0(VALU_DEP_1)
	v_or_b32_e32 v62, 0x7f, v2
; %bb.4089:                             ;   in Loop: Header=BB4_3452 Depth=2
	s_and_not1_saveexec_b32 s11, s11
; %bb.4090:                             ;   in Loop: Header=BB4_3452 Depth=2
	v_cmp_lt_i32_e32 vcc_lo, -1, v17
	v_cndmask_b32_e64 v62, -4, 0x7c, vcc_lo
; %bb.4091:                             ;   in Loop: Header=BB4_3452 Depth=2
	s_or_b32 exec_lo, exec_lo, s11
.LBB4_4092:                             ;   in Loop: Header=BB4_3452 Depth=2
	s_delay_alu instid0(SALU_CYCLE_1) | instskip(SKIP_3) | instid1(VALU_DEP_2)
	s_or_b32 exec_lo, exec_lo, s10
	v_and_b32_e32 v21, 0xff, v56
	v_dual_mov_b32 v2, 0 :: v_dual_mov_b32 v17, 0
	s_mov_b32 s10, exec_lo
	v_cmpx_ne_u16_e32 0, v21
	s_cbranch_execz .LBB4_4102
; %bb.4093:                             ;   in Loop: Header=BB4_3452 Depth=2
	v_bfrev_b32_e32 v17, 1
	s_mov_b32 s11, exec_lo
	v_cmpx_ne_u16_e32 0x80, v21
	s_cbranch_execz .LBB4_4101
; %bb.4094:                             ;   in Loop: Header=BB4_3452 Depth=2
	v_and_b32_e32 v17, 0x7c, v56
	v_and_b32_e32 v20, 3, v56
	s_delay_alu instid0(VALU_DEP_2) | instskip(SKIP_1) | instid1(SALU_CYCLE_1)
	v_cmp_ne_u32_e32 vcc_lo, 0x7c, v17
                                        ; implicit-def: $vgpr17
	s_and_saveexec_b32 s28, vcc_lo
	s_xor_b32 s28, exec_lo, s28
	s_cbranch_execz .LBB4_4098
; %bb.4095:                             ;   in Loop: Header=BB4_3452 Depth=2
	v_bfe_u32 v17, v21, 2, 5
	s_mov_b32 s29, exec_lo
	s_delay_alu instid0(VALU_DEP_1)
	v_cmpx_eq_u32_e32 0, v17
	s_cbranch_execz .LBB4_4097
; %bb.4096:                             ;   in Loop: Header=BB4_3452 Depth=2
	v_clz_i32_u32_e32 v17, v20
	s_delay_alu instid0(VALU_DEP_1) | instskip(SKIP_1) | instid1(VALU_DEP_2)
	v_min_u32_e32 v17, 32, v17
	v_mov_b32_e32 v57, v39
	v_subrev_nc_u32_e32 v20, 29, v17
	v_sub_nc_u32_e32 v17, 30, v17
	s_delay_alu instid0(VALU_DEP_2) | instskip(NEXT) | instid1(VALU_DEP_1)
	v_lshlrev_b64_e32 v[20:21], v20, v[56:57]
	v_and_b32_e32 v20, 3, v20
.LBB4_4097:                             ;   in Loop: Header=BB4_3452 Depth=2
	s_or_b32 exec_lo, exec_lo, s29
	v_lshlrev_b32_e32 v21, 24, v56
                                        ; implicit-def: $vgpr56
	s_delay_alu instid0(VALU_DEP_1) | instskip(NEXT) | instid1(VALU_DEP_1)
	v_and_b32_e32 v21, 0x80000000, v21
	v_lshl_add_u32 v17, v17, 23, v21
	s_delay_alu instid0(VALU_DEP_1) | instskip(NEXT) | instid1(VALU_DEP_1)
	v_lshl_or_b32 v17, v20, 21, v17
                                        ; implicit-def: $vgpr20
	v_add_nc_u32_e32 v17, 0x38000000, v17
.LBB4_4098:                             ;   in Loop: Header=BB4_3452 Depth=2
	s_and_not1_saveexec_b32 s28, s28
; %bb.4099:                             ;   in Loop: Header=BB4_3452 Depth=2
	v_bfe_i32 v17, v56, 0, 8
	s_delay_alu instid0(VALU_DEP_1) | instskip(SKIP_2) | instid1(VALU_DEP_2)
	v_cmp_lt_i16_e32 vcc_lo, -1, v17
	v_cndmask_b32_e32 v17, 0xff800000, v126, vcc_lo
	v_cmp_eq_u32_e32 vcc_lo, 0, v20
	v_cndmask_b32_e32 v17, 0x7f800001, v17, vcc_lo
; %bb.4100:                             ;   in Loop: Header=BB4_3452 Depth=2
	s_or_b32 exec_lo, exec_lo, s28
.LBB4_4101:                             ;   in Loop: Header=BB4_3452 Depth=2
	s_delay_alu instid0(SALU_CYCLE_1)
	s_or_b32 exec_lo, exec_lo, s11
.LBB4_4102:                             ;   in Loop: Header=BB4_3452 Depth=2
	s_delay_alu instid0(SALU_CYCLE_1) | instskip(NEXT) | instid1(SALU_CYCLE_1)
	s_or_b32 exec_lo, exec_lo, s10
	s_mov_b32 s10, exec_lo
	s_wait_loadcnt_dscnt 0xd0d
	v_cmpx_ne_u16_e32 0, v106
	s_cbranch_execz .LBB4_4112
; %bb.4103:                             ;   in Loop: Header=BB4_3452 Depth=2
	v_bfrev_b32_e32 v2, 1
	s_mov_b32 s11, exec_lo
	v_cmpx_ne_u16_e32 0xff80, v106
	s_cbranch_execz .LBB4_4111
; %bb.4104:                             ;   in Loop: Header=BB4_3452 Depth=2
	v_and_b32_e32 v2, 0x7c, v106
	v_and_b32_e32 v20, 3, v106
	s_delay_alu instid0(VALU_DEP_2) | instskip(SKIP_1) | instid1(SALU_CYCLE_1)
	v_cmp_ne_u32_e32 vcc_lo, 0x7c, v2
                                        ; implicit-def: $vgpr2
	s_and_saveexec_b32 s28, vcc_lo
	s_xor_b32 s28, exec_lo, s28
	s_cbranch_execz .LBB4_4108
; %bb.4105:                             ;   in Loop: Header=BB4_3452 Depth=2
	v_and_b32_e32 v2, 0xff, v106
	s_mov_b32 s29, exec_lo
	s_delay_alu instid0(VALU_DEP_1) | instskip(NEXT) | instid1(VALU_DEP_1)
	v_bfe_u32 v2, v2, 2, 5
	v_cmpx_eq_u32_e32 0, v2
	s_cbranch_execz .LBB4_4107
; %bb.4106:                             ;   in Loop: Header=BB4_3452 Depth=2
	v_clz_i32_u32_e32 v2, v20
	s_delay_alu instid0(VALU_DEP_1) | instskip(SKIP_1) | instid1(VALU_DEP_2)
	v_min_u32_e32 v2, 32, v2
	v_mov_b32_e32 v107, v39
	v_subrev_nc_u32_e32 v20, 29, v2
	v_sub_nc_u32_e32 v2, 30, v2
	s_delay_alu instid0(VALU_DEP_2) | instskip(NEXT) | instid1(VALU_DEP_1)
	v_lshlrev_b64_e32 v[20:21], v20, v[106:107]
	v_and_b32_e32 v20, 3, v20
.LBB4_4107:                             ;   in Loop: Header=BB4_3452 Depth=2
	s_or_b32 exec_lo, exec_lo, s29
	v_bfe_i32 v21, v106, 0, 16
                                        ; implicit-def: $vgpr106
	s_delay_alu instid0(VALU_DEP_1) | instskip(NEXT) | instid1(VALU_DEP_1)
	v_and_b32_e32 v21, 0x80000000, v21
	v_lshl_add_u32 v2, v2, 23, v21
	s_delay_alu instid0(VALU_DEP_1) | instskip(NEXT) | instid1(VALU_DEP_1)
	v_lshl_or_b32 v2, v20, 21, v2
                                        ; implicit-def: $vgpr20
	v_add_nc_u32_e32 v2, 0x38000000, v2
.LBB4_4108:                             ;   in Loop: Header=BB4_3452 Depth=2
	s_and_not1_saveexec_b32 s28, s28
; %bb.4109:                             ;   in Loop: Header=BB4_3452 Depth=2
	v_cmp_lt_i16_e32 vcc_lo, -1, v106
	v_cndmask_b32_e32 v2, 0xff800000, v126, vcc_lo
	v_cmp_eq_u32_e32 vcc_lo, 0, v20
	s_delay_alu instid0(VALU_DEP_2)
	v_cndmask_b32_e32 v2, 0x7f800001, v2, vcc_lo
; %bb.4110:                             ;   in Loop: Header=BB4_3452 Depth=2
	s_or_b32 exec_lo, exec_lo, s28
.LBB4_4111:                             ;   in Loop: Header=BB4_3452 Depth=2
	s_delay_alu instid0(SALU_CYCLE_1)
	s_or_b32 exec_lo, exec_lo, s11
.LBB4_4112:                             ;   in Loop: Header=BB4_3452 Depth=2
	s_delay_alu instid0(SALU_CYCLE_1) | instskip(NEXT) | instid1(VALU_DEP_1)
	s_or_b32 exec_lo, exec_lo, s10
	v_dual_add_f32 v17, v17, v2 :: v_dual_mov_b32 v21, v39
                                        ; implicit-def: $vgpr58
	s_mov_b32 s10, exec_lo
	s_delay_alu instid0(VALU_DEP_1) | instskip(SKIP_1) | instid1(VALU_DEP_2)
	v_and_b32_e32 v20, 0x7f800000, v17
	v_and_b32_e32 v38, 0x7fffff, v17
	v_cmpx_ne_u64_e32 0x7f800000, v[20:21]
	s_xor_b32 s11, exec_lo, s10
	s_cbranch_execz .LBB4_4130
; %bb.4113:                             ;   in Loop: Header=BB4_3452 Depth=2
	v_dual_mov_b32 v21, v39 :: v_dual_lshrrev_b32 v2, 24, v17
	v_and_b32_e32 v20, 0x7fffffff, v17
                                        ; implicit-def: $vgpr58
	s_mov_b32 s10, exec_lo
	s_delay_alu instid0(VALU_DEP_2) | instskip(NEXT) | instid1(VALU_DEP_2)
	v_and_b32_e32 v2, 0x80, v2
	v_cmpx_gt_u64_e32 0x47600001, v[20:21]
	s_xor_b32 s28, exec_lo, s10
	s_cbranch_execz .LBB4_4127
; %bb.4114:                             ;   in Loop: Header=BB4_3452 Depth=2
	v_mov_b32_e32 v58, 0
	s_mov_b32 s29, exec_lo
	v_cmpx_ne_u32_e32 0, v17
	s_cbranch_execz .LBB4_4126
; %bb.4115:                             ;   in Loop: Header=BB4_3452 Depth=2
	v_bfe_u32 v17, v17, 23, 8
	v_or_b32_e32 v31, 0x800000, v38
	s_delay_alu instid0(VALU_DEP_2) | instskip(SKIP_1) | instid1(VALU_DEP_2)
	v_dual_mov_b32 v57, v39 :: v_dual_sub_nc_u32 v20, 0x71, v17
	v_cmp_gt_u32_e32 vcc_lo, 0x72, v17
	v_cndmask_b32_e32 v20, 0, v20, vcc_lo
	v_cmp_eq_u32_e32 vcc_lo, 0, v17
	v_cndmask_b32_e32 v56, v31, v38, vcc_lo
	s_delay_alu instid0(VALU_DEP_3) | instskip(NEXT) | instid1(VALU_DEP_1)
	v_cndmask_b32_e64 v20, v20, 0x70, vcc_lo
	v_add_nc_u32_e32 v21, 21, v20
	s_delay_alu instid0(VALU_DEP_1) | instskip(SKIP_1) | instid1(VALU_DEP_1)
	v_lshlrev_b64_e64 v[24:25], v21, -1
	v_add_nc_u32_e32 v21, 20, v20
	v_lshlrev_b64_e64 v[58:59], v21, 1
	s_delay_alu instid0(VALU_DEP_3) | instskip(SKIP_2) | instid1(VALU_DEP_1)
	v_bfi_b32 v24, v24, 0, v56
	v_lshrrev_b64 v[56:57], v20, v[56:57]
	v_bfi_b32 v25, v25, 0, 0
	v_cmp_eq_u64_e64 s10, v[24:25], v[58:59]
	s_delay_alu instid0(VALU_DEP_3)
	v_mov_b64_e32 v[58:59], v[56:57]
	s_and_saveexec_b32 s40, s10
; %bb.4116:                             ;   in Loop: Header=BB4_3452 Depth=2
	v_bfe_u32 v24, v56, 21, 1
	v_mov_b32_e32 v25, v39
	s_delay_alu instid0(VALU_DEP_1) | instskip(NEXT) | instid1(VALU_DEP_1)
	v_add_nc_u64_e32 v[24:25], v[56:57], v[24:25]
	v_add_nc_u64_e32 v[58:59], -1, v[24:25]
; %bb.4117:                             ;   in Loop: Header=BB4_3452 Depth=2
	s_or_b32 exec_lo, exec_lo, s40
	v_add_nc_u32_e32 v17, 0xffffff81, v17
	s_delay_alu instid0(VALU_DEP_2) | instskip(SKIP_2) | instid1(VALU_DEP_3)
	v_and_b32_e32 v24, 0x1fffff, v58
	v_lshrrev_b32_e32 v21, 23, v56
	s_mov_b32 s10, exec_lo
	v_cndmask_b32_e64 v17, v17, 0xffffff82, vcc_lo
	s_delay_alu instid0(VALU_DEP_3) | instskip(NEXT) | instid1(VALU_DEP_2)
	v_add_nc_u32_e32 v38, v24, v56
                                        ; implicit-def: $vgpr56_vgpr57
	v_add3_u32 v20, v20, v17, v21
                                        ; implicit-def: $vgpr17
	s_delay_alu instid0(VALU_DEP_1) | instskip(NEXT) | instid1(VALU_DEP_1)
	v_add_nc_u32_e32 v21, 14, v20
	v_cmpx_ne_u32_e32 0, v21
	s_xor_b32 s10, exec_lo, s10
; %bb.4118:                             ;   in Loop: Header=BB4_3452 Depth=2
	v_cmp_lt_u64_e32 vcc_lo, 0xffffff, v[38:39]
	v_add_nc_u32_e32 v17, 15, v20
	v_cndmask_b32_e64 v20, 0, 1, vcc_lo
	s_delay_alu instid0(VALU_DEP_2) | instskip(NEXT) | instid1(VALU_DEP_2)
	v_cndmask_b32_e32 v17, v21, v17, vcc_lo
	v_lshrrev_b64 v[56:57], v20, v[38:39]
; %bb.4119:                             ;   in Loop: Header=BB4_3452 Depth=2
	s_and_not1_saveexec_b32 s10, s10
; %bb.4120:                             ;   in Loop: Header=BB4_3452 Depth=2
	v_mov_b64_e32 v[56:57], v[38:39]
	v_bfe_u32 v17, v38, 23, 1
; %bb.4121:                             ;   in Loop: Header=BB4_3452 Depth=2
	s_or_b32 exec_lo, exec_lo, s10
	s_delay_alu instid0(VALU_DEP_2) | instskip(NEXT) | instid1(VALU_DEP_2)
	v_lshrrev_b64 v[20:21], 21, v[56:57]
	v_cmp_gt_i32_e32 vcc_lo, 32, v17
	v_cmp_ne_u32_e64 s10, 0, v17
                                        ; implicit-def: $vgpr58
	s_delay_alu instid0(VALU_DEP_3) | instskip(NEXT) | instid1(VALU_DEP_1)
	v_dual_cndmask_b32 v57, 0, v21 :: v_dual_cndmask_b32 v56, 3, v20
	v_cmp_ne_u64_e32 vcc_lo, 0, v[56:57]
	s_or_b32 s10, s10, vcc_lo
	s_delay_alu instid0(SALU_CYCLE_1) | instskip(NEXT) | instid1(SALU_CYCLE_1)
	s_and_saveexec_b32 s40, s10
	s_xor_b32 s10, exec_lo, s40
; %bb.4122:                             ;   in Loop: Header=BB4_3452 Depth=2
	v_min_i32_e32 v17, 31, v17
	s_delay_alu instid0(VALU_DEP_1) | instskip(NEXT) | instid1(VALU_DEP_1)
	v_lshl_or_b32 v2, v17, 2, v2
	v_and_or_b32 v58, v56, 3, v2
                                        ; implicit-def: $vgpr2
; %bb.4123:                             ;   in Loop: Header=BB4_3452 Depth=2
	s_and_not1_saveexec_b32 s10, s10
; %bb.4124:                             ;   in Loop: Header=BB4_3452 Depth=2
	v_mov_b32_e32 v58, v2
; %bb.4125:                             ;   in Loop: Header=BB4_3452 Depth=2
	s_or_b32 exec_lo, exec_lo, s10
.LBB4_4126:                             ;   in Loop: Header=BB4_3452 Depth=2
	s_delay_alu instid0(SALU_CYCLE_1)
	s_or_b32 exec_lo, exec_lo, s29
                                        ; implicit-def: $vgpr2
.LBB4_4127:                             ;   in Loop: Header=BB4_3452 Depth=2
	s_and_not1_saveexec_b32 s10, s28
; %bb.4128:                             ;   in Loop: Header=BB4_3452 Depth=2
	v_or_b32_e32 v58, 0x7b, v2
; %bb.4129:                             ;   in Loop: Header=BB4_3452 Depth=2
	s_or_b32 exec_lo, exec_lo, s10
                                        ; implicit-def: $vgpr17
.LBB4_4130:                             ;   in Loop: Header=BB4_3452 Depth=2
	s_and_not1_saveexec_b32 s10, s11
	s_cbranch_execz .LBB4_4136
; %bb.4131:                             ;   in Loop: Header=BB4_3452 Depth=2
	s_mov_b32 s11, exec_lo
                                        ; implicit-def: $vgpr58
	v_cmpx_ne_u64_e32 0, v[38:39]
	s_xor_b32 s11, exec_lo, s11
; %bb.4132:                             ;   in Loop: Header=BB4_3452 Depth=2
	v_lshrrev_b32_e32 v2, 24, v17
                                        ; implicit-def: $vgpr17
	s_delay_alu instid0(VALU_DEP_1)
	v_or_b32_e32 v58, 0x7f, v2
; %bb.4133:                             ;   in Loop: Header=BB4_3452 Depth=2
	s_and_not1_saveexec_b32 s11, s11
; %bb.4134:                             ;   in Loop: Header=BB4_3452 Depth=2
	v_cmp_lt_i32_e32 vcc_lo, -1, v17
	v_cndmask_b32_e64 v58, -4, 0x7c, vcc_lo
; %bb.4135:                             ;   in Loop: Header=BB4_3452 Depth=2
	s_or_b32 exec_lo, exec_lo, s11
.LBB4_4136:                             ;   in Loop: Header=BB4_3452 Depth=2
	s_delay_alu instid0(SALU_CYCLE_1) | instskip(SKIP_3) | instid1(VALU_DEP_2)
	s_or_b32 exec_lo, exec_lo, s10
	v_and_b32_e32 v21, 0xff, v46
	v_dual_mov_b32 v2, 0 :: v_dual_mov_b32 v17, 0
	s_mov_b32 s10, exec_lo
	v_cmpx_ne_u16_e32 0, v21
	s_cbranch_execz .LBB4_4146
; %bb.4137:                             ;   in Loop: Header=BB4_3452 Depth=2
	v_bfrev_b32_e32 v17, 1
	s_mov_b32 s11, exec_lo
	v_cmpx_ne_u16_e32 0x80, v21
	s_cbranch_execz .LBB4_4145
; %bb.4138:                             ;   in Loop: Header=BB4_3452 Depth=2
	v_and_b32_e32 v17, 0x7c, v46
	v_and_b32_e32 v20, 3, v46
	s_delay_alu instid0(VALU_DEP_2) | instskip(SKIP_1) | instid1(SALU_CYCLE_1)
	v_cmp_ne_u32_e32 vcc_lo, 0x7c, v17
                                        ; implicit-def: $vgpr17
	s_and_saveexec_b32 s28, vcc_lo
	s_xor_b32 s28, exec_lo, s28
	s_cbranch_execz .LBB4_4142
; %bb.4139:                             ;   in Loop: Header=BB4_3452 Depth=2
	v_bfe_u32 v17, v21, 2, 5
	s_mov_b32 s29, exec_lo
	s_delay_alu instid0(VALU_DEP_1)
	v_cmpx_eq_u32_e32 0, v17
	s_cbranch_execz .LBB4_4141
; %bb.4140:                             ;   in Loop: Header=BB4_3452 Depth=2
	v_clz_i32_u32_e32 v17, v20
	s_delay_alu instid0(VALU_DEP_1) | instskip(SKIP_1) | instid1(VALU_DEP_2)
	v_min_u32_e32 v17, 32, v17
	v_mov_b32_e32 v47, v39
	v_subrev_nc_u32_e32 v20, 29, v17
	v_sub_nc_u32_e32 v17, 30, v17
	s_delay_alu instid0(VALU_DEP_2) | instskip(NEXT) | instid1(VALU_DEP_1)
	v_lshlrev_b64_e32 v[20:21], v20, v[46:47]
	v_and_b32_e32 v20, 3, v20
.LBB4_4141:                             ;   in Loop: Header=BB4_3452 Depth=2
	s_or_b32 exec_lo, exec_lo, s29
	v_lshlrev_b32_e32 v21, 24, v46
                                        ; implicit-def: $vgpr46
	s_delay_alu instid0(VALU_DEP_1) | instskip(NEXT) | instid1(VALU_DEP_1)
	v_and_b32_e32 v21, 0x80000000, v21
	v_lshl_add_u32 v17, v17, 23, v21
	s_delay_alu instid0(VALU_DEP_1) | instskip(NEXT) | instid1(VALU_DEP_1)
	v_lshl_or_b32 v17, v20, 21, v17
                                        ; implicit-def: $vgpr20
	v_add_nc_u32_e32 v17, 0x38000000, v17
.LBB4_4142:                             ;   in Loop: Header=BB4_3452 Depth=2
	s_and_not1_saveexec_b32 s28, s28
; %bb.4143:                             ;   in Loop: Header=BB4_3452 Depth=2
	v_bfe_i32 v17, v46, 0, 8
	s_delay_alu instid0(VALU_DEP_1) | instskip(SKIP_2) | instid1(VALU_DEP_2)
	v_cmp_lt_i16_e32 vcc_lo, -1, v17
	v_cndmask_b32_e32 v17, 0xff800000, v126, vcc_lo
	v_cmp_eq_u32_e32 vcc_lo, 0, v20
	v_cndmask_b32_e32 v17, 0x7f800001, v17, vcc_lo
; %bb.4144:                             ;   in Loop: Header=BB4_3452 Depth=2
	s_or_b32 exec_lo, exec_lo, s28
.LBB4_4145:                             ;   in Loop: Header=BB4_3452 Depth=2
	s_delay_alu instid0(SALU_CYCLE_1)
	s_or_b32 exec_lo, exec_lo, s11
.LBB4_4146:                             ;   in Loop: Header=BB4_3452 Depth=2
	s_delay_alu instid0(SALU_CYCLE_1) | instskip(NEXT) | instid1(SALU_CYCLE_1)
	s_or_b32 exec_lo, exec_lo, s10
	s_mov_b32 s10, exec_lo
	s_wait_loadcnt_dscnt 0xc0c
	v_cmpx_ne_u16_e32 0, v104
	s_cbranch_execz .LBB4_4156
; %bb.4147:                             ;   in Loop: Header=BB4_3452 Depth=2
	v_bfrev_b32_e32 v2, 1
	s_mov_b32 s11, exec_lo
	v_cmpx_ne_u16_e32 0xff80, v104
	s_cbranch_execz .LBB4_4155
; %bb.4148:                             ;   in Loop: Header=BB4_3452 Depth=2
	v_and_b32_e32 v2, 0x7c, v104
	v_and_b32_e32 v20, 3, v104
	s_delay_alu instid0(VALU_DEP_2) | instskip(SKIP_1) | instid1(SALU_CYCLE_1)
	v_cmp_ne_u32_e32 vcc_lo, 0x7c, v2
                                        ; implicit-def: $vgpr2
	s_and_saveexec_b32 s28, vcc_lo
	s_xor_b32 s28, exec_lo, s28
	s_cbranch_execz .LBB4_4152
; %bb.4149:                             ;   in Loop: Header=BB4_3452 Depth=2
	v_and_b32_e32 v2, 0xff, v104
	s_mov_b32 s29, exec_lo
	s_delay_alu instid0(VALU_DEP_1) | instskip(NEXT) | instid1(VALU_DEP_1)
	v_bfe_u32 v2, v2, 2, 5
	v_cmpx_eq_u32_e32 0, v2
	s_cbranch_execz .LBB4_4151
; %bb.4150:                             ;   in Loop: Header=BB4_3452 Depth=2
	v_clz_i32_u32_e32 v2, v20
	s_delay_alu instid0(VALU_DEP_1) | instskip(SKIP_1) | instid1(VALU_DEP_2)
	v_min_u32_e32 v2, 32, v2
	v_mov_b32_e32 v105, v39
	v_subrev_nc_u32_e32 v20, 29, v2
	v_sub_nc_u32_e32 v2, 30, v2
	s_delay_alu instid0(VALU_DEP_2) | instskip(NEXT) | instid1(VALU_DEP_1)
	v_lshlrev_b64_e32 v[20:21], v20, v[104:105]
	v_and_b32_e32 v20, 3, v20
.LBB4_4151:                             ;   in Loop: Header=BB4_3452 Depth=2
	s_or_b32 exec_lo, exec_lo, s29
	v_bfe_i32 v21, v104, 0, 16
                                        ; implicit-def: $vgpr104
	s_delay_alu instid0(VALU_DEP_1) | instskip(NEXT) | instid1(VALU_DEP_1)
	v_and_b32_e32 v21, 0x80000000, v21
	v_lshl_add_u32 v2, v2, 23, v21
	s_delay_alu instid0(VALU_DEP_1) | instskip(NEXT) | instid1(VALU_DEP_1)
	v_lshl_or_b32 v2, v20, 21, v2
                                        ; implicit-def: $vgpr20
	v_add_nc_u32_e32 v2, 0x38000000, v2
.LBB4_4152:                             ;   in Loop: Header=BB4_3452 Depth=2
	s_and_not1_saveexec_b32 s28, s28
; %bb.4153:                             ;   in Loop: Header=BB4_3452 Depth=2
	v_cmp_lt_i16_e32 vcc_lo, -1, v104
	v_cndmask_b32_e32 v2, 0xff800000, v126, vcc_lo
	v_cmp_eq_u32_e32 vcc_lo, 0, v20
	s_delay_alu instid0(VALU_DEP_2)
	v_cndmask_b32_e32 v2, 0x7f800001, v2, vcc_lo
; %bb.4154:                             ;   in Loop: Header=BB4_3452 Depth=2
	s_or_b32 exec_lo, exec_lo, s28
.LBB4_4155:                             ;   in Loop: Header=BB4_3452 Depth=2
	s_delay_alu instid0(SALU_CYCLE_1)
	s_or_b32 exec_lo, exec_lo, s11
.LBB4_4156:                             ;   in Loop: Header=BB4_3452 Depth=2
	s_delay_alu instid0(SALU_CYCLE_1) | instskip(NEXT) | instid1(VALU_DEP_1)
	s_or_b32 exec_lo, exec_lo, s10
	v_dual_add_f32 v17, v17, v2 :: v_dual_mov_b32 v21, v39
                                        ; implicit-def: $vgpr56
	s_mov_b32 s10, exec_lo
	s_delay_alu instid0(VALU_DEP_1) | instskip(SKIP_1) | instid1(VALU_DEP_2)
	v_and_b32_e32 v20, 0x7f800000, v17
	v_and_b32_e32 v38, 0x7fffff, v17
	v_cmpx_ne_u64_e32 0x7f800000, v[20:21]
	s_xor_b32 s11, exec_lo, s10
	s_cbranch_execz .LBB4_4174
; %bb.4157:                             ;   in Loop: Header=BB4_3452 Depth=2
	v_dual_mov_b32 v21, v39 :: v_dual_lshrrev_b32 v2, 24, v17
	v_and_b32_e32 v20, 0x7fffffff, v17
                                        ; implicit-def: $vgpr56
	s_mov_b32 s10, exec_lo
	s_delay_alu instid0(VALU_DEP_2) | instskip(NEXT) | instid1(VALU_DEP_2)
	v_and_b32_e32 v2, 0x80, v2
	v_cmpx_gt_u64_e32 0x47600001, v[20:21]
	s_xor_b32 s28, exec_lo, s10
	s_cbranch_execz .LBB4_4171
; %bb.4158:                             ;   in Loop: Header=BB4_3452 Depth=2
	v_mov_b32_e32 v56, 0
	s_mov_b32 s29, exec_lo
	v_cmpx_ne_u32_e32 0, v17
	s_cbranch_execz .LBB4_4170
; %bb.4159:                             ;   in Loop: Header=BB4_3452 Depth=2
	v_bfe_u32 v17, v17, 23, 8
	v_or_b32_e32 v31, 0x800000, v38
	s_delay_alu instid0(VALU_DEP_2) | instskip(SKIP_1) | instid1(VALU_DEP_2)
	v_dual_mov_b32 v47, v39 :: v_dual_sub_nc_u32 v20, 0x71, v17
	v_cmp_gt_u32_e32 vcc_lo, 0x72, v17
	v_cndmask_b32_e32 v20, 0, v20, vcc_lo
	v_cmp_eq_u32_e32 vcc_lo, 0, v17
	v_cndmask_b32_e32 v46, v31, v38, vcc_lo
	s_delay_alu instid0(VALU_DEP_3) | instskip(NEXT) | instid1(VALU_DEP_1)
	v_cndmask_b32_e64 v20, v20, 0x70, vcc_lo
	v_add_nc_u32_e32 v21, 21, v20
	s_delay_alu instid0(VALU_DEP_1) | instskip(SKIP_1) | instid1(VALU_DEP_1)
	v_lshlrev_b64_e64 v[24:25], v21, -1
	v_add_nc_u32_e32 v21, 20, v20
	v_lshlrev_b64_e64 v[56:57], v21, 1
	s_delay_alu instid0(VALU_DEP_3) | instskip(SKIP_2) | instid1(VALU_DEP_1)
	v_bfi_b32 v24, v24, 0, v46
	v_lshrrev_b64 v[46:47], v20, v[46:47]
	v_bfi_b32 v25, v25, 0, 0
	v_cmp_eq_u64_e64 s10, v[24:25], v[56:57]
	s_delay_alu instid0(VALU_DEP_3)
	v_mov_b64_e32 v[56:57], v[46:47]
	s_and_saveexec_b32 s40, s10
; %bb.4160:                             ;   in Loop: Header=BB4_3452 Depth=2
	v_bfe_u32 v24, v46, 21, 1
	v_mov_b32_e32 v25, v39
	s_delay_alu instid0(VALU_DEP_1) | instskip(NEXT) | instid1(VALU_DEP_1)
	v_add_nc_u64_e32 v[24:25], v[46:47], v[24:25]
	v_add_nc_u64_e32 v[56:57], -1, v[24:25]
; %bb.4161:                             ;   in Loop: Header=BB4_3452 Depth=2
	s_or_b32 exec_lo, exec_lo, s40
	v_add_nc_u32_e32 v17, 0xffffff81, v17
	s_delay_alu instid0(VALU_DEP_2) | instskip(SKIP_2) | instid1(VALU_DEP_3)
	v_and_b32_e32 v24, 0x1fffff, v56
	v_lshrrev_b32_e32 v21, 23, v46
	s_mov_b32 s10, exec_lo
	v_cndmask_b32_e64 v17, v17, 0xffffff82, vcc_lo
	s_delay_alu instid0(VALU_DEP_3) | instskip(NEXT) | instid1(VALU_DEP_2)
	v_add_nc_u32_e32 v38, v24, v46
                                        ; implicit-def: $vgpr46_vgpr47
	v_add3_u32 v20, v20, v17, v21
                                        ; implicit-def: $vgpr17
	s_delay_alu instid0(VALU_DEP_1) | instskip(NEXT) | instid1(VALU_DEP_1)
	v_add_nc_u32_e32 v21, 14, v20
	v_cmpx_ne_u32_e32 0, v21
	s_xor_b32 s10, exec_lo, s10
; %bb.4162:                             ;   in Loop: Header=BB4_3452 Depth=2
	v_cmp_lt_u64_e32 vcc_lo, 0xffffff, v[38:39]
	v_add_nc_u32_e32 v17, 15, v20
	v_cndmask_b32_e64 v20, 0, 1, vcc_lo
	s_delay_alu instid0(VALU_DEP_2) | instskip(NEXT) | instid1(VALU_DEP_2)
	v_cndmask_b32_e32 v17, v21, v17, vcc_lo
	v_lshrrev_b64 v[46:47], v20, v[38:39]
; %bb.4163:                             ;   in Loop: Header=BB4_3452 Depth=2
	s_and_not1_saveexec_b32 s10, s10
; %bb.4164:                             ;   in Loop: Header=BB4_3452 Depth=2
	v_mov_b64_e32 v[46:47], v[38:39]
	v_bfe_u32 v17, v38, 23, 1
; %bb.4165:                             ;   in Loop: Header=BB4_3452 Depth=2
	s_or_b32 exec_lo, exec_lo, s10
	s_delay_alu instid0(VALU_DEP_2) | instskip(NEXT) | instid1(VALU_DEP_2)
	v_lshrrev_b64 v[20:21], 21, v[46:47]
	v_cmp_gt_i32_e32 vcc_lo, 32, v17
	v_cmp_ne_u32_e64 s10, 0, v17
                                        ; implicit-def: $vgpr56
	s_delay_alu instid0(VALU_DEP_3) | instskip(NEXT) | instid1(VALU_DEP_1)
	v_dual_cndmask_b32 v47, 0, v21 :: v_dual_cndmask_b32 v46, 3, v20
	v_cmp_ne_u64_e32 vcc_lo, 0, v[46:47]
	s_or_b32 s10, s10, vcc_lo
	s_delay_alu instid0(SALU_CYCLE_1) | instskip(NEXT) | instid1(SALU_CYCLE_1)
	s_and_saveexec_b32 s40, s10
	s_xor_b32 s10, exec_lo, s40
; %bb.4166:                             ;   in Loop: Header=BB4_3452 Depth=2
	v_min_i32_e32 v17, 31, v17
	s_delay_alu instid0(VALU_DEP_1) | instskip(NEXT) | instid1(VALU_DEP_1)
	v_lshl_or_b32 v2, v17, 2, v2
	v_and_or_b32 v56, v46, 3, v2
                                        ; implicit-def: $vgpr2
; %bb.4167:                             ;   in Loop: Header=BB4_3452 Depth=2
	s_and_not1_saveexec_b32 s10, s10
; %bb.4168:                             ;   in Loop: Header=BB4_3452 Depth=2
	v_mov_b32_e32 v56, v2
; %bb.4169:                             ;   in Loop: Header=BB4_3452 Depth=2
	s_or_b32 exec_lo, exec_lo, s10
.LBB4_4170:                             ;   in Loop: Header=BB4_3452 Depth=2
	s_delay_alu instid0(SALU_CYCLE_1)
	s_or_b32 exec_lo, exec_lo, s29
                                        ; implicit-def: $vgpr2
.LBB4_4171:                             ;   in Loop: Header=BB4_3452 Depth=2
	s_and_not1_saveexec_b32 s10, s28
; %bb.4172:                             ;   in Loop: Header=BB4_3452 Depth=2
	v_or_b32_e32 v56, 0x7b, v2
; %bb.4173:                             ;   in Loop: Header=BB4_3452 Depth=2
	s_or_b32 exec_lo, exec_lo, s10
                                        ; implicit-def: $vgpr17
.LBB4_4174:                             ;   in Loop: Header=BB4_3452 Depth=2
	s_and_not1_saveexec_b32 s10, s11
	s_cbranch_execz .LBB4_4180
; %bb.4175:                             ;   in Loop: Header=BB4_3452 Depth=2
	s_mov_b32 s11, exec_lo
                                        ; implicit-def: $vgpr56
	v_cmpx_ne_u64_e32 0, v[38:39]
	s_xor_b32 s11, exec_lo, s11
; %bb.4176:                             ;   in Loop: Header=BB4_3452 Depth=2
	v_lshrrev_b32_e32 v2, 24, v17
                                        ; implicit-def: $vgpr17
	s_delay_alu instid0(VALU_DEP_1)
	v_or_b32_e32 v56, 0x7f, v2
; %bb.4177:                             ;   in Loop: Header=BB4_3452 Depth=2
	s_and_not1_saveexec_b32 s11, s11
; %bb.4178:                             ;   in Loop: Header=BB4_3452 Depth=2
	v_cmp_lt_i32_e32 vcc_lo, -1, v17
	v_cndmask_b32_e64 v56, -4, 0x7c, vcc_lo
; %bb.4179:                             ;   in Loop: Header=BB4_3452 Depth=2
	s_or_b32 exec_lo, exec_lo, s11
.LBB4_4180:                             ;   in Loop: Header=BB4_3452 Depth=2
	s_delay_alu instid0(SALU_CYCLE_1) | instskip(SKIP_3) | instid1(VALU_DEP_2)
	s_or_b32 exec_lo, exec_lo, s10
	v_and_b32_e32 v21, 0xff, v44
	v_dual_mov_b32 v2, 0 :: v_dual_mov_b32 v17, 0
	s_mov_b32 s10, exec_lo
	v_cmpx_ne_u16_e32 0, v21
	s_cbranch_execz .LBB4_4190
; %bb.4181:                             ;   in Loop: Header=BB4_3452 Depth=2
	v_bfrev_b32_e32 v17, 1
	s_mov_b32 s11, exec_lo
	v_cmpx_ne_u16_e32 0x80, v21
	s_cbranch_execz .LBB4_4189
; %bb.4182:                             ;   in Loop: Header=BB4_3452 Depth=2
	v_and_b32_e32 v17, 0x7c, v44
	v_and_b32_e32 v20, 3, v44
	s_delay_alu instid0(VALU_DEP_2) | instskip(SKIP_1) | instid1(SALU_CYCLE_1)
	v_cmp_ne_u32_e32 vcc_lo, 0x7c, v17
                                        ; implicit-def: $vgpr17
	s_and_saveexec_b32 s28, vcc_lo
	s_xor_b32 s28, exec_lo, s28
	s_cbranch_execz .LBB4_4186
; %bb.4183:                             ;   in Loop: Header=BB4_3452 Depth=2
	v_bfe_u32 v17, v21, 2, 5
	s_mov_b32 s29, exec_lo
	s_delay_alu instid0(VALU_DEP_1)
	v_cmpx_eq_u32_e32 0, v17
	s_cbranch_execz .LBB4_4185
; %bb.4184:                             ;   in Loop: Header=BB4_3452 Depth=2
	v_clz_i32_u32_e32 v17, v20
	s_delay_alu instid0(VALU_DEP_1) | instskip(SKIP_1) | instid1(VALU_DEP_2)
	v_min_u32_e32 v17, 32, v17
	v_mov_b32_e32 v45, v39
	v_subrev_nc_u32_e32 v20, 29, v17
	v_sub_nc_u32_e32 v17, 30, v17
	s_delay_alu instid0(VALU_DEP_2) | instskip(NEXT) | instid1(VALU_DEP_1)
	v_lshlrev_b64_e32 v[20:21], v20, v[44:45]
	v_and_b32_e32 v20, 3, v20
.LBB4_4185:                             ;   in Loop: Header=BB4_3452 Depth=2
	s_or_b32 exec_lo, exec_lo, s29
	v_lshlrev_b32_e32 v21, 24, v44
                                        ; implicit-def: $vgpr44
	s_delay_alu instid0(VALU_DEP_1) | instskip(NEXT) | instid1(VALU_DEP_1)
	v_and_b32_e32 v21, 0x80000000, v21
	v_lshl_add_u32 v17, v17, 23, v21
	s_delay_alu instid0(VALU_DEP_1) | instskip(NEXT) | instid1(VALU_DEP_1)
	v_lshl_or_b32 v17, v20, 21, v17
                                        ; implicit-def: $vgpr20
	v_add_nc_u32_e32 v17, 0x38000000, v17
.LBB4_4186:                             ;   in Loop: Header=BB4_3452 Depth=2
	s_and_not1_saveexec_b32 s28, s28
; %bb.4187:                             ;   in Loop: Header=BB4_3452 Depth=2
	v_bfe_i32 v17, v44, 0, 8
	s_delay_alu instid0(VALU_DEP_1) | instskip(SKIP_2) | instid1(VALU_DEP_2)
	v_cmp_lt_i16_e32 vcc_lo, -1, v17
	v_cndmask_b32_e32 v17, 0xff800000, v126, vcc_lo
	v_cmp_eq_u32_e32 vcc_lo, 0, v20
	v_cndmask_b32_e32 v17, 0x7f800001, v17, vcc_lo
; %bb.4188:                             ;   in Loop: Header=BB4_3452 Depth=2
	s_or_b32 exec_lo, exec_lo, s28
.LBB4_4189:                             ;   in Loop: Header=BB4_3452 Depth=2
	s_delay_alu instid0(SALU_CYCLE_1)
	s_or_b32 exec_lo, exec_lo, s11
.LBB4_4190:                             ;   in Loop: Header=BB4_3452 Depth=2
	s_delay_alu instid0(SALU_CYCLE_1) | instskip(NEXT) | instid1(SALU_CYCLE_1)
	s_or_b32 exec_lo, exec_lo, s10
	s_mov_b32 s10, exec_lo
	s_wait_loadcnt_dscnt 0xb0b
	v_cmpx_ne_u16_e32 0, v94
	s_cbranch_execz .LBB4_4200
; %bb.4191:                             ;   in Loop: Header=BB4_3452 Depth=2
	v_bfrev_b32_e32 v2, 1
	s_mov_b32 s11, exec_lo
	v_cmpx_ne_u16_e32 0xff80, v94
	s_cbranch_execz .LBB4_4199
; %bb.4192:                             ;   in Loop: Header=BB4_3452 Depth=2
	v_and_b32_e32 v2, 0x7c, v94
	v_and_b32_e32 v20, 3, v94
	s_delay_alu instid0(VALU_DEP_2) | instskip(SKIP_1) | instid1(SALU_CYCLE_1)
	v_cmp_ne_u32_e32 vcc_lo, 0x7c, v2
                                        ; implicit-def: $vgpr2
	s_and_saveexec_b32 s28, vcc_lo
	s_xor_b32 s28, exec_lo, s28
	s_cbranch_execz .LBB4_4196
; %bb.4193:                             ;   in Loop: Header=BB4_3452 Depth=2
	v_and_b32_e32 v2, 0xff, v94
	s_mov_b32 s29, exec_lo
	s_delay_alu instid0(VALU_DEP_1) | instskip(NEXT) | instid1(VALU_DEP_1)
	v_bfe_u32 v2, v2, 2, 5
	v_cmpx_eq_u32_e32 0, v2
	s_cbranch_execz .LBB4_4195
; %bb.4194:                             ;   in Loop: Header=BB4_3452 Depth=2
	v_clz_i32_u32_e32 v2, v20
	s_delay_alu instid0(VALU_DEP_1) | instskip(SKIP_1) | instid1(VALU_DEP_2)
	v_min_u32_e32 v2, 32, v2
	v_mov_b32_e32 v95, v39
	v_subrev_nc_u32_e32 v20, 29, v2
	v_sub_nc_u32_e32 v2, 30, v2
	s_delay_alu instid0(VALU_DEP_2) | instskip(NEXT) | instid1(VALU_DEP_1)
	v_lshlrev_b64_e32 v[20:21], v20, v[94:95]
	v_and_b32_e32 v20, 3, v20
.LBB4_4195:                             ;   in Loop: Header=BB4_3452 Depth=2
	s_or_b32 exec_lo, exec_lo, s29
	v_bfe_i32 v21, v94, 0, 16
                                        ; implicit-def: $vgpr94
	s_delay_alu instid0(VALU_DEP_1) | instskip(NEXT) | instid1(VALU_DEP_1)
	v_and_b32_e32 v21, 0x80000000, v21
	v_lshl_add_u32 v2, v2, 23, v21
	s_delay_alu instid0(VALU_DEP_1) | instskip(NEXT) | instid1(VALU_DEP_1)
	v_lshl_or_b32 v2, v20, 21, v2
                                        ; implicit-def: $vgpr20
	v_add_nc_u32_e32 v2, 0x38000000, v2
.LBB4_4196:                             ;   in Loop: Header=BB4_3452 Depth=2
	s_and_not1_saveexec_b32 s28, s28
; %bb.4197:                             ;   in Loop: Header=BB4_3452 Depth=2
	v_cmp_lt_i16_e32 vcc_lo, -1, v94
	v_cndmask_b32_e32 v2, 0xff800000, v126, vcc_lo
	v_cmp_eq_u32_e32 vcc_lo, 0, v20
	s_delay_alu instid0(VALU_DEP_2)
	v_cndmask_b32_e32 v2, 0x7f800001, v2, vcc_lo
; %bb.4198:                             ;   in Loop: Header=BB4_3452 Depth=2
	s_or_b32 exec_lo, exec_lo, s28
.LBB4_4199:                             ;   in Loop: Header=BB4_3452 Depth=2
	s_delay_alu instid0(SALU_CYCLE_1)
	s_or_b32 exec_lo, exec_lo, s11
.LBB4_4200:                             ;   in Loop: Header=BB4_3452 Depth=2
	s_delay_alu instid0(SALU_CYCLE_1) | instskip(NEXT) | instid1(VALU_DEP_1)
	s_or_b32 exec_lo, exec_lo, s10
	v_dual_add_f32 v17, v17, v2 :: v_dual_mov_b32 v21, v39
                                        ; implicit-def: $vgpr46
	s_mov_b32 s10, exec_lo
	s_delay_alu instid0(VALU_DEP_1) | instskip(SKIP_1) | instid1(VALU_DEP_2)
	v_and_b32_e32 v20, 0x7f800000, v17
	v_and_b32_e32 v38, 0x7fffff, v17
	v_cmpx_ne_u64_e32 0x7f800000, v[20:21]
	s_xor_b32 s11, exec_lo, s10
	s_cbranch_execz .LBB4_4218
; %bb.4201:                             ;   in Loop: Header=BB4_3452 Depth=2
	v_dual_mov_b32 v21, v39 :: v_dual_lshrrev_b32 v2, 24, v17
	v_and_b32_e32 v20, 0x7fffffff, v17
                                        ; implicit-def: $vgpr46
	s_mov_b32 s10, exec_lo
	s_delay_alu instid0(VALU_DEP_2) | instskip(NEXT) | instid1(VALU_DEP_2)
	v_and_b32_e32 v2, 0x80, v2
	v_cmpx_gt_u64_e32 0x47600001, v[20:21]
	s_xor_b32 s28, exec_lo, s10
	s_cbranch_execz .LBB4_4215
; %bb.4202:                             ;   in Loop: Header=BB4_3452 Depth=2
	v_mov_b32_e32 v46, 0
	s_mov_b32 s29, exec_lo
	v_cmpx_ne_u32_e32 0, v17
	s_cbranch_execz .LBB4_4214
; %bb.4203:                             ;   in Loop: Header=BB4_3452 Depth=2
	v_bfe_u32 v17, v17, 23, 8
	v_or_b32_e32 v31, 0x800000, v38
	s_delay_alu instid0(VALU_DEP_2) | instskip(SKIP_1) | instid1(VALU_DEP_2)
	v_dual_mov_b32 v45, v39 :: v_dual_sub_nc_u32 v20, 0x71, v17
	v_cmp_gt_u32_e32 vcc_lo, 0x72, v17
	v_cndmask_b32_e32 v20, 0, v20, vcc_lo
	v_cmp_eq_u32_e32 vcc_lo, 0, v17
	v_cndmask_b32_e32 v44, v31, v38, vcc_lo
	s_delay_alu instid0(VALU_DEP_3) | instskip(NEXT) | instid1(VALU_DEP_1)
	v_cndmask_b32_e64 v20, v20, 0x70, vcc_lo
	v_add_nc_u32_e32 v21, 21, v20
	s_delay_alu instid0(VALU_DEP_1) | instskip(SKIP_1) | instid1(VALU_DEP_1)
	v_lshlrev_b64_e64 v[24:25], v21, -1
	v_add_nc_u32_e32 v21, 20, v20
	v_lshlrev_b64_e64 v[46:47], v21, 1
	s_delay_alu instid0(VALU_DEP_3) | instskip(SKIP_2) | instid1(VALU_DEP_1)
	v_bfi_b32 v24, v24, 0, v44
	v_lshrrev_b64 v[44:45], v20, v[44:45]
	v_bfi_b32 v25, v25, 0, 0
	v_cmp_eq_u64_e64 s10, v[24:25], v[46:47]
	s_delay_alu instid0(VALU_DEP_3)
	v_mov_b64_e32 v[46:47], v[44:45]
	s_and_saveexec_b32 s40, s10
; %bb.4204:                             ;   in Loop: Header=BB4_3452 Depth=2
	v_bfe_u32 v24, v44, 21, 1
	v_mov_b32_e32 v25, v39
	s_delay_alu instid0(VALU_DEP_1) | instskip(NEXT) | instid1(VALU_DEP_1)
	v_add_nc_u64_e32 v[24:25], v[44:45], v[24:25]
	v_add_nc_u64_e32 v[46:47], -1, v[24:25]
; %bb.4205:                             ;   in Loop: Header=BB4_3452 Depth=2
	s_or_b32 exec_lo, exec_lo, s40
	v_add_nc_u32_e32 v17, 0xffffff81, v17
	s_delay_alu instid0(VALU_DEP_2) | instskip(SKIP_2) | instid1(VALU_DEP_3)
	v_and_b32_e32 v24, 0x1fffff, v46
	v_lshrrev_b32_e32 v21, 23, v44
	s_mov_b32 s10, exec_lo
	v_cndmask_b32_e64 v17, v17, 0xffffff82, vcc_lo
	s_delay_alu instid0(VALU_DEP_3) | instskip(NEXT) | instid1(VALU_DEP_2)
	v_add_nc_u32_e32 v38, v24, v44
                                        ; implicit-def: $vgpr44_vgpr45
	v_add3_u32 v20, v20, v17, v21
                                        ; implicit-def: $vgpr17
	s_delay_alu instid0(VALU_DEP_1) | instskip(NEXT) | instid1(VALU_DEP_1)
	v_add_nc_u32_e32 v21, 14, v20
	v_cmpx_ne_u32_e32 0, v21
	s_xor_b32 s10, exec_lo, s10
; %bb.4206:                             ;   in Loop: Header=BB4_3452 Depth=2
	v_cmp_lt_u64_e32 vcc_lo, 0xffffff, v[38:39]
	v_add_nc_u32_e32 v17, 15, v20
	v_cndmask_b32_e64 v20, 0, 1, vcc_lo
	s_delay_alu instid0(VALU_DEP_2) | instskip(NEXT) | instid1(VALU_DEP_2)
	v_cndmask_b32_e32 v17, v21, v17, vcc_lo
	v_lshrrev_b64 v[44:45], v20, v[38:39]
; %bb.4207:                             ;   in Loop: Header=BB4_3452 Depth=2
	s_and_not1_saveexec_b32 s10, s10
; %bb.4208:                             ;   in Loop: Header=BB4_3452 Depth=2
	v_mov_b64_e32 v[44:45], v[38:39]
	v_bfe_u32 v17, v38, 23, 1
; %bb.4209:                             ;   in Loop: Header=BB4_3452 Depth=2
	s_or_b32 exec_lo, exec_lo, s10
	s_delay_alu instid0(VALU_DEP_2) | instskip(NEXT) | instid1(VALU_DEP_2)
	v_lshrrev_b64 v[20:21], 21, v[44:45]
	v_cmp_gt_i32_e32 vcc_lo, 32, v17
	v_cmp_ne_u32_e64 s10, 0, v17
                                        ; implicit-def: $vgpr46
	s_delay_alu instid0(VALU_DEP_3) | instskip(NEXT) | instid1(VALU_DEP_1)
	v_dual_cndmask_b32 v45, 0, v21 :: v_dual_cndmask_b32 v44, 3, v20
	v_cmp_ne_u64_e32 vcc_lo, 0, v[44:45]
	s_or_b32 s10, s10, vcc_lo
	s_delay_alu instid0(SALU_CYCLE_1) | instskip(NEXT) | instid1(SALU_CYCLE_1)
	s_and_saveexec_b32 s40, s10
	s_xor_b32 s10, exec_lo, s40
; %bb.4210:                             ;   in Loop: Header=BB4_3452 Depth=2
	v_min_i32_e32 v17, 31, v17
	s_delay_alu instid0(VALU_DEP_1) | instskip(NEXT) | instid1(VALU_DEP_1)
	v_lshl_or_b32 v2, v17, 2, v2
	v_and_or_b32 v46, v44, 3, v2
                                        ; implicit-def: $vgpr2
; %bb.4211:                             ;   in Loop: Header=BB4_3452 Depth=2
	s_and_not1_saveexec_b32 s10, s10
; %bb.4212:                             ;   in Loop: Header=BB4_3452 Depth=2
	v_mov_b32_e32 v46, v2
; %bb.4213:                             ;   in Loop: Header=BB4_3452 Depth=2
	s_or_b32 exec_lo, exec_lo, s10
.LBB4_4214:                             ;   in Loop: Header=BB4_3452 Depth=2
	s_delay_alu instid0(SALU_CYCLE_1)
	s_or_b32 exec_lo, exec_lo, s29
                                        ; implicit-def: $vgpr2
.LBB4_4215:                             ;   in Loop: Header=BB4_3452 Depth=2
	s_and_not1_saveexec_b32 s10, s28
; %bb.4216:                             ;   in Loop: Header=BB4_3452 Depth=2
	v_or_b32_e32 v46, 0x7b, v2
; %bb.4217:                             ;   in Loop: Header=BB4_3452 Depth=2
	s_or_b32 exec_lo, exec_lo, s10
                                        ; implicit-def: $vgpr17
.LBB4_4218:                             ;   in Loop: Header=BB4_3452 Depth=2
	s_and_not1_saveexec_b32 s10, s11
	s_cbranch_execz .LBB4_4224
; %bb.4219:                             ;   in Loop: Header=BB4_3452 Depth=2
	s_mov_b32 s11, exec_lo
                                        ; implicit-def: $vgpr46
	v_cmpx_ne_u64_e32 0, v[38:39]
	s_xor_b32 s11, exec_lo, s11
; %bb.4220:                             ;   in Loop: Header=BB4_3452 Depth=2
	v_lshrrev_b32_e32 v2, 24, v17
                                        ; implicit-def: $vgpr17
	s_delay_alu instid0(VALU_DEP_1)
	v_or_b32_e32 v46, 0x7f, v2
; %bb.4221:                             ;   in Loop: Header=BB4_3452 Depth=2
	s_and_not1_saveexec_b32 s11, s11
; %bb.4222:                             ;   in Loop: Header=BB4_3452 Depth=2
	v_cmp_lt_i32_e32 vcc_lo, -1, v17
	v_cndmask_b32_e64 v46, -4, 0x7c, vcc_lo
; %bb.4223:                             ;   in Loop: Header=BB4_3452 Depth=2
	s_or_b32 exec_lo, exec_lo, s11
.LBB4_4224:                             ;   in Loop: Header=BB4_3452 Depth=2
	s_delay_alu instid0(SALU_CYCLE_1) | instskip(SKIP_3) | instid1(VALU_DEP_2)
	s_or_b32 exec_lo, exec_lo, s10
	v_and_b32_e32 v21, 0xff, v42
	v_dual_mov_b32 v2, 0 :: v_dual_mov_b32 v17, 0
	s_mov_b32 s10, exec_lo
	v_cmpx_ne_u16_e32 0, v21
	s_cbranch_execz .LBB4_4234
; %bb.4225:                             ;   in Loop: Header=BB4_3452 Depth=2
	v_bfrev_b32_e32 v17, 1
	s_mov_b32 s11, exec_lo
	v_cmpx_ne_u16_e32 0x80, v21
	s_cbranch_execz .LBB4_4233
; %bb.4226:                             ;   in Loop: Header=BB4_3452 Depth=2
	v_and_b32_e32 v17, 0x7c, v42
	v_and_b32_e32 v20, 3, v42
	s_delay_alu instid0(VALU_DEP_2) | instskip(SKIP_1) | instid1(SALU_CYCLE_1)
	v_cmp_ne_u32_e32 vcc_lo, 0x7c, v17
                                        ; implicit-def: $vgpr17
	s_and_saveexec_b32 s28, vcc_lo
	s_xor_b32 s28, exec_lo, s28
	s_cbranch_execz .LBB4_4230
; %bb.4227:                             ;   in Loop: Header=BB4_3452 Depth=2
	v_bfe_u32 v17, v21, 2, 5
	s_mov_b32 s29, exec_lo
	s_delay_alu instid0(VALU_DEP_1)
	v_cmpx_eq_u32_e32 0, v17
	s_cbranch_execz .LBB4_4229
; %bb.4228:                             ;   in Loop: Header=BB4_3452 Depth=2
	v_clz_i32_u32_e32 v17, v20
	s_delay_alu instid0(VALU_DEP_1) | instskip(SKIP_1) | instid1(VALU_DEP_2)
	v_min_u32_e32 v17, 32, v17
	v_mov_b32_e32 v43, v39
	v_subrev_nc_u32_e32 v20, 29, v17
	v_sub_nc_u32_e32 v17, 30, v17
	s_delay_alu instid0(VALU_DEP_2) | instskip(NEXT) | instid1(VALU_DEP_1)
	v_lshlrev_b64_e32 v[20:21], v20, v[42:43]
	v_and_b32_e32 v20, 3, v20
.LBB4_4229:                             ;   in Loop: Header=BB4_3452 Depth=2
	s_or_b32 exec_lo, exec_lo, s29
	v_lshlrev_b32_e32 v21, 24, v42
                                        ; implicit-def: $vgpr42
	s_delay_alu instid0(VALU_DEP_1) | instskip(NEXT) | instid1(VALU_DEP_1)
	v_and_b32_e32 v21, 0x80000000, v21
	v_lshl_add_u32 v17, v17, 23, v21
	s_delay_alu instid0(VALU_DEP_1) | instskip(NEXT) | instid1(VALU_DEP_1)
	v_lshl_or_b32 v17, v20, 21, v17
                                        ; implicit-def: $vgpr20
	v_add_nc_u32_e32 v17, 0x38000000, v17
.LBB4_4230:                             ;   in Loop: Header=BB4_3452 Depth=2
	s_and_not1_saveexec_b32 s28, s28
; %bb.4231:                             ;   in Loop: Header=BB4_3452 Depth=2
	v_bfe_i32 v17, v42, 0, 8
	s_delay_alu instid0(VALU_DEP_1) | instskip(SKIP_2) | instid1(VALU_DEP_2)
	v_cmp_lt_i16_e32 vcc_lo, -1, v17
	v_cndmask_b32_e32 v17, 0xff800000, v126, vcc_lo
	v_cmp_eq_u32_e32 vcc_lo, 0, v20
	v_cndmask_b32_e32 v17, 0x7f800001, v17, vcc_lo
; %bb.4232:                             ;   in Loop: Header=BB4_3452 Depth=2
	s_or_b32 exec_lo, exec_lo, s28
.LBB4_4233:                             ;   in Loop: Header=BB4_3452 Depth=2
	s_delay_alu instid0(SALU_CYCLE_1)
	s_or_b32 exec_lo, exec_lo, s11
.LBB4_4234:                             ;   in Loop: Header=BB4_3452 Depth=2
	s_delay_alu instid0(SALU_CYCLE_1) | instskip(NEXT) | instid1(SALU_CYCLE_1)
	s_or_b32 exec_lo, exec_lo, s10
	s_mov_b32 s10, exec_lo
	s_wait_loadcnt_dscnt 0xa0a
	v_cmpx_ne_u16_e32 0, v92
	s_cbranch_execz .LBB4_4244
; %bb.4235:                             ;   in Loop: Header=BB4_3452 Depth=2
	v_bfrev_b32_e32 v2, 1
	s_mov_b32 s11, exec_lo
	v_cmpx_ne_u16_e32 0xff80, v92
	s_cbranch_execz .LBB4_4243
; %bb.4236:                             ;   in Loop: Header=BB4_3452 Depth=2
	v_and_b32_e32 v2, 0x7c, v92
	v_and_b32_e32 v20, 3, v92
	s_delay_alu instid0(VALU_DEP_2) | instskip(SKIP_1) | instid1(SALU_CYCLE_1)
	v_cmp_ne_u32_e32 vcc_lo, 0x7c, v2
                                        ; implicit-def: $vgpr2
	s_and_saveexec_b32 s28, vcc_lo
	s_xor_b32 s28, exec_lo, s28
	s_cbranch_execz .LBB4_4240
; %bb.4237:                             ;   in Loop: Header=BB4_3452 Depth=2
	v_and_b32_e32 v2, 0xff, v92
	s_mov_b32 s29, exec_lo
	s_delay_alu instid0(VALU_DEP_1) | instskip(NEXT) | instid1(VALU_DEP_1)
	v_bfe_u32 v2, v2, 2, 5
	v_cmpx_eq_u32_e32 0, v2
	s_cbranch_execz .LBB4_4239
; %bb.4238:                             ;   in Loop: Header=BB4_3452 Depth=2
	v_clz_i32_u32_e32 v2, v20
	s_delay_alu instid0(VALU_DEP_1) | instskip(SKIP_1) | instid1(VALU_DEP_2)
	v_min_u32_e32 v2, 32, v2
	v_mov_b32_e32 v93, v39
	v_subrev_nc_u32_e32 v20, 29, v2
	v_sub_nc_u32_e32 v2, 30, v2
	s_delay_alu instid0(VALU_DEP_2) | instskip(NEXT) | instid1(VALU_DEP_1)
	v_lshlrev_b64_e32 v[20:21], v20, v[92:93]
	v_and_b32_e32 v20, 3, v20
.LBB4_4239:                             ;   in Loop: Header=BB4_3452 Depth=2
	s_or_b32 exec_lo, exec_lo, s29
	v_bfe_i32 v21, v92, 0, 16
                                        ; implicit-def: $vgpr92
	s_delay_alu instid0(VALU_DEP_1) | instskip(NEXT) | instid1(VALU_DEP_1)
	v_and_b32_e32 v21, 0x80000000, v21
	v_lshl_add_u32 v2, v2, 23, v21
	s_delay_alu instid0(VALU_DEP_1) | instskip(NEXT) | instid1(VALU_DEP_1)
	v_lshl_or_b32 v2, v20, 21, v2
                                        ; implicit-def: $vgpr20
	v_add_nc_u32_e32 v2, 0x38000000, v2
.LBB4_4240:                             ;   in Loop: Header=BB4_3452 Depth=2
	s_and_not1_saveexec_b32 s28, s28
; %bb.4241:                             ;   in Loop: Header=BB4_3452 Depth=2
	v_cmp_lt_i16_e32 vcc_lo, -1, v92
	v_cndmask_b32_e32 v2, 0xff800000, v126, vcc_lo
	v_cmp_eq_u32_e32 vcc_lo, 0, v20
	s_delay_alu instid0(VALU_DEP_2)
	v_cndmask_b32_e32 v2, 0x7f800001, v2, vcc_lo
; %bb.4242:                             ;   in Loop: Header=BB4_3452 Depth=2
	s_or_b32 exec_lo, exec_lo, s28
.LBB4_4243:                             ;   in Loop: Header=BB4_3452 Depth=2
	s_delay_alu instid0(SALU_CYCLE_1)
	s_or_b32 exec_lo, exec_lo, s11
.LBB4_4244:                             ;   in Loop: Header=BB4_3452 Depth=2
	s_delay_alu instid0(SALU_CYCLE_1) | instskip(NEXT) | instid1(VALU_DEP_1)
	s_or_b32 exec_lo, exec_lo, s10
	v_dual_add_f32 v17, v17, v2 :: v_dual_mov_b32 v21, v39
                                        ; implicit-def: $vgpr44
	s_mov_b32 s10, exec_lo
	s_delay_alu instid0(VALU_DEP_1) | instskip(SKIP_1) | instid1(VALU_DEP_2)
	v_and_b32_e32 v20, 0x7f800000, v17
	v_and_b32_e32 v38, 0x7fffff, v17
	v_cmpx_ne_u64_e32 0x7f800000, v[20:21]
	s_xor_b32 s11, exec_lo, s10
	s_cbranch_execz .LBB4_4262
; %bb.4245:                             ;   in Loop: Header=BB4_3452 Depth=2
	v_dual_mov_b32 v21, v39 :: v_dual_lshrrev_b32 v2, 24, v17
	v_and_b32_e32 v20, 0x7fffffff, v17
                                        ; implicit-def: $vgpr44
	s_mov_b32 s10, exec_lo
	s_delay_alu instid0(VALU_DEP_2) | instskip(NEXT) | instid1(VALU_DEP_2)
	v_and_b32_e32 v2, 0x80, v2
	v_cmpx_gt_u64_e32 0x47600001, v[20:21]
	s_xor_b32 s28, exec_lo, s10
	s_cbranch_execz .LBB4_4259
; %bb.4246:                             ;   in Loop: Header=BB4_3452 Depth=2
	v_mov_b32_e32 v44, 0
	s_mov_b32 s29, exec_lo
	v_cmpx_ne_u32_e32 0, v17
	s_cbranch_execz .LBB4_4258
; %bb.4247:                             ;   in Loop: Header=BB4_3452 Depth=2
	v_bfe_u32 v17, v17, 23, 8
	v_or_b32_e32 v31, 0x800000, v38
	s_delay_alu instid0(VALU_DEP_2) | instskip(SKIP_1) | instid1(VALU_DEP_2)
	v_dual_mov_b32 v43, v39 :: v_dual_sub_nc_u32 v20, 0x71, v17
	v_cmp_gt_u32_e32 vcc_lo, 0x72, v17
	v_cndmask_b32_e32 v20, 0, v20, vcc_lo
	v_cmp_eq_u32_e32 vcc_lo, 0, v17
	v_cndmask_b32_e32 v42, v31, v38, vcc_lo
	s_delay_alu instid0(VALU_DEP_3) | instskip(NEXT) | instid1(VALU_DEP_1)
	v_cndmask_b32_e64 v20, v20, 0x70, vcc_lo
	v_add_nc_u32_e32 v21, 21, v20
	s_delay_alu instid0(VALU_DEP_1) | instskip(SKIP_1) | instid1(VALU_DEP_1)
	v_lshlrev_b64_e64 v[24:25], v21, -1
	v_add_nc_u32_e32 v21, 20, v20
	v_lshlrev_b64_e64 v[44:45], v21, 1
	s_delay_alu instid0(VALU_DEP_3) | instskip(SKIP_2) | instid1(VALU_DEP_1)
	v_bfi_b32 v24, v24, 0, v42
	v_lshrrev_b64 v[42:43], v20, v[42:43]
	v_bfi_b32 v25, v25, 0, 0
	v_cmp_eq_u64_e64 s10, v[24:25], v[44:45]
	s_delay_alu instid0(VALU_DEP_3)
	v_mov_b64_e32 v[44:45], v[42:43]
	s_and_saveexec_b32 s40, s10
; %bb.4248:                             ;   in Loop: Header=BB4_3452 Depth=2
	v_bfe_u32 v24, v42, 21, 1
	v_mov_b32_e32 v25, v39
	s_delay_alu instid0(VALU_DEP_1) | instskip(NEXT) | instid1(VALU_DEP_1)
	v_add_nc_u64_e32 v[24:25], v[42:43], v[24:25]
	v_add_nc_u64_e32 v[44:45], -1, v[24:25]
; %bb.4249:                             ;   in Loop: Header=BB4_3452 Depth=2
	s_or_b32 exec_lo, exec_lo, s40
	v_add_nc_u32_e32 v17, 0xffffff81, v17
	s_delay_alu instid0(VALU_DEP_2) | instskip(SKIP_2) | instid1(VALU_DEP_3)
	v_and_b32_e32 v24, 0x1fffff, v44
	v_lshrrev_b32_e32 v21, 23, v42
	s_mov_b32 s10, exec_lo
	v_cndmask_b32_e64 v17, v17, 0xffffff82, vcc_lo
	s_delay_alu instid0(VALU_DEP_3) | instskip(NEXT) | instid1(VALU_DEP_2)
	v_add_nc_u32_e32 v38, v24, v42
                                        ; implicit-def: $vgpr42_vgpr43
	v_add3_u32 v20, v20, v17, v21
                                        ; implicit-def: $vgpr17
	s_delay_alu instid0(VALU_DEP_1) | instskip(NEXT) | instid1(VALU_DEP_1)
	v_add_nc_u32_e32 v21, 14, v20
	v_cmpx_ne_u32_e32 0, v21
	s_xor_b32 s10, exec_lo, s10
; %bb.4250:                             ;   in Loop: Header=BB4_3452 Depth=2
	v_cmp_lt_u64_e32 vcc_lo, 0xffffff, v[38:39]
	v_add_nc_u32_e32 v17, 15, v20
	v_cndmask_b32_e64 v20, 0, 1, vcc_lo
	s_delay_alu instid0(VALU_DEP_2) | instskip(NEXT) | instid1(VALU_DEP_2)
	v_cndmask_b32_e32 v17, v21, v17, vcc_lo
	v_lshrrev_b64 v[42:43], v20, v[38:39]
; %bb.4251:                             ;   in Loop: Header=BB4_3452 Depth=2
	s_and_not1_saveexec_b32 s10, s10
; %bb.4252:                             ;   in Loop: Header=BB4_3452 Depth=2
	v_mov_b64_e32 v[42:43], v[38:39]
	v_bfe_u32 v17, v38, 23, 1
; %bb.4253:                             ;   in Loop: Header=BB4_3452 Depth=2
	s_or_b32 exec_lo, exec_lo, s10
	s_delay_alu instid0(VALU_DEP_2) | instskip(NEXT) | instid1(VALU_DEP_2)
	v_lshrrev_b64 v[20:21], 21, v[42:43]
	v_cmp_gt_i32_e32 vcc_lo, 32, v17
	v_cmp_ne_u32_e64 s10, 0, v17
                                        ; implicit-def: $vgpr44
	s_delay_alu instid0(VALU_DEP_3) | instskip(NEXT) | instid1(VALU_DEP_1)
	v_dual_cndmask_b32 v43, 0, v21 :: v_dual_cndmask_b32 v42, 3, v20
	v_cmp_ne_u64_e32 vcc_lo, 0, v[42:43]
	s_or_b32 s10, s10, vcc_lo
	s_delay_alu instid0(SALU_CYCLE_1) | instskip(NEXT) | instid1(SALU_CYCLE_1)
	s_and_saveexec_b32 s40, s10
	s_xor_b32 s10, exec_lo, s40
; %bb.4254:                             ;   in Loop: Header=BB4_3452 Depth=2
	v_min_i32_e32 v17, 31, v17
	s_delay_alu instid0(VALU_DEP_1) | instskip(NEXT) | instid1(VALU_DEP_1)
	v_lshl_or_b32 v2, v17, 2, v2
	v_and_or_b32 v44, v42, 3, v2
                                        ; implicit-def: $vgpr2
; %bb.4255:                             ;   in Loop: Header=BB4_3452 Depth=2
	s_and_not1_saveexec_b32 s10, s10
; %bb.4256:                             ;   in Loop: Header=BB4_3452 Depth=2
	v_mov_b32_e32 v44, v2
; %bb.4257:                             ;   in Loop: Header=BB4_3452 Depth=2
	s_or_b32 exec_lo, exec_lo, s10
.LBB4_4258:                             ;   in Loop: Header=BB4_3452 Depth=2
	s_delay_alu instid0(SALU_CYCLE_1)
	s_or_b32 exec_lo, exec_lo, s29
                                        ; implicit-def: $vgpr2
.LBB4_4259:                             ;   in Loop: Header=BB4_3452 Depth=2
	s_and_not1_saveexec_b32 s10, s28
; %bb.4260:                             ;   in Loop: Header=BB4_3452 Depth=2
	v_or_b32_e32 v44, 0x7b, v2
; %bb.4261:                             ;   in Loop: Header=BB4_3452 Depth=2
	s_or_b32 exec_lo, exec_lo, s10
                                        ; implicit-def: $vgpr17
.LBB4_4262:                             ;   in Loop: Header=BB4_3452 Depth=2
	s_and_not1_saveexec_b32 s10, s11
	s_cbranch_execz .LBB4_4268
; %bb.4263:                             ;   in Loop: Header=BB4_3452 Depth=2
	s_mov_b32 s11, exec_lo
                                        ; implicit-def: $vgpr44
	v_cmpx_ne_u64_e32 0, v[38:39]
	s_xor_b32 s11, exec_lo, s11
; %bb.4264:                             ;   in Loop: Header=BB4_3452 Depth=2
	v_lshrrev_b32_e32 v2, 24, v17
                                        ; implicit-def: $vgpr17
	s_delay_alu instid0(VALU_DEP_1)
	v_or_b32_e32 v44, 0x7f, v2
; %bb.4265:                             ;   in Loop: Header=BB4_3452 Depth=2
	s_and_not1_saveexec_b32 s11, s11
; %bb.4266:                             ;   in Loop: Header=BB4_3452 Depth=2
	v_cmp_lt_i32_e32 vcc_lo, -1, v17
	v_cndmask_b32_e64 v44, -4, 0x7c, vcc_lo
; %bb.4267:                             ;   in Loop: Header=BB4_3452 Depth=2
	s_or_b32 exec_lo, exec_lo, s11
.LBB4_4268:                             ;   in Loop: Header=BB4_3452 Depth=2
	s_delay_alu instid0(SALU_CYCLE_1) | instskip(SKIP_3) | instid1(VALU_DEP_2)
	s_or_b32 exec_lo, exec_lo, s10
	v_and_b32_e32 v21, 0xff, v118
	v_dual_mov_b32 v2, 0 :: v_dual_mov_b32 v17, 0
	s_mov_b32 s10, exec_lo
	v_cmpx_ne_u16_e32 0, v21
	s_cbranch_execz .LBB4_4278
; %bb.4269:                             ;   in Loop: Header=BB4_3452 Depth=2
	v_bfrev_b32_e32 v17, 1
	s_mov_b32 s11, exec_lo
	v_cmpx_ne_u16_e32 0x80, v21
	s_cbranch_execz .LBB4_4277
; %bb.4270:                             ;   in Loop: Header=BB4_3452 Depth=2
	v_and_b32_e32 v17, 0x7c, v118
	v_and_b32_e32 v20, 3, v118
	s_delay_alu instid0(VALU_DEP_2) | instskip(SKIP_1) | instid1(SALU_CYCLE_1)
	v_cmp_ne_u32_e32 vcc_lo, 0x7c, v17
                                        ; implicit-def: $vgpr17
	s_and_saveexec_b32 s28, vcc_lo
	s_xor_b32 s28, exec_lo, s28
	s_cbranch_execz .LBB4_4274
; %bb.4271:                             ;   in Loop: Header=BB4_3452 Depth=2
	v_bfe_u32 v17, v21, 2, 5
	s_mov_b32 s29, exec_lo
	s_delay_alu instid0(VALU_DEP_1)
	v_cmpx_eq_u32_e32 0, v17
	s_cbranch_execz .LBB4_4273
; %bb.4272:                             ;   in Loop: Header=BB4_3452 Depth=2
	v_clz_i32_u32_e32 v17, v20
	s_delay_alu instid0(VALU_DEP_1) | instskip(SKIP_1) | instid1(VALU_DEP_2)
	v_min_u32_e32 v17, 32, v17
	v_mov_b32_e32 v119, v39
	v_subrev_nc_u32_e32 v20, 29, v17
	v_sub_nc_u32_e32 v17, 30, v17
	s_delay_alu instid0(VALU_DEP_2) | instskip(NEXT) | instid1(VALU_DEP_1)
	v_lshlrev_b64_e32 v[20:21], v20, v[118:119]
	v_and_b32_e32 v20, 3, v20
.LBB4_4273:                             ;   in Loop: Header=BB4_3452 Depth=2
	s_or_b32 exec_lo, exec_lo, s29
	v_lshlrev_b32_e32 v21, 24, v118
                                        ; implicit-def: $vgpr118
	s_delay_alu instid0(VALU_DEP_1) | instskip(NEXT) | instid1(VALU_DEP_1)
	v_and_b32_e32 v21, 0x80000000, v21
	v_lshl_add_u32 v17, v17, 23, v21
	s_delay_alu instid0(VALU_DEP_1) | instskip(NEXT) | instid1(VALU_DEP_1)
	v_lshl_or_b32 v17, v20, 21, v17
                                        ; implicit-def: $vgpr20
	v_add_nc_u32_e32 v17, 0x38000000, v17
.LBB4_4274:                             ;   in Loop: Header=BB4_3452 Depth=2
	s_and_not1_saveexec_b32 s28, s28
; %bb.4275:                             ;   in Loop: Header=BB4_3452 Depth=2
	v_bfe_i32 v17, v118, 0, 8
	s_delay_alu instid0(VALU_DEP_1) | instskip(SKIP_2) | instid1(VALU_DEP_2)
	v_cmp_lt_i16_e32 vcc_lo, -1, v17
	v_cndmask_b32_e32 v17, 0xff800000, v126, vcc_lo
	v_cmp_eq_u32_e32 vcc_lo, 0, v20
	v_cndmask_b32_e32 v17, 0x7f800001, v17, vcc_lo
; %bb.4276:                             ;   in Loop: Header=BB4_3452 Depth=2
	s_or_b32 exec_lo, exec_lo, s28
.LBB4_4277:                             ;   in Loop: Header=BB4_3452 Depth=2
	s_delay_alu instid0(SALU_CYCLE_1)
	s_or_b32 exec_lo, exec_lo, s11
.LBB4_4278:                             ;   in Loop: Header=BB4_3452 Depth=2
	s_delay_alu instid0(SALU_CYCLE_1) | instskip(NEXT) | instid1(SALU_CYCLE_1)
	s_or_b32 exec_lo, exec_lo, s10
	s_mov_b32 s10, exec_lo
	s_wait_loadcnt_dscnt 0x909
	v_cmpx_ne_u16_e32 0, v90
	s_cbranch_execz .LBB4_4288
; %bb.4279:                             ;   in Loop: Header=BB4_3452 Depth=2
	v_bfrev_b32_e32 v2, 1
	s_mov_b32 s11, exec_lo
	v_cmpx_ne_u16_e32 0xff80, v90
	s_cbranch_execz .LBB4_4287
; %bb.4280:                             ;   in Loop: Header=BB4_3452 Depth=2
	v_and_b32_e32 v2, 0x7c, v90
	v_and_b32_e32 v20, 3, v90
	s_delay_alu instid0(VALU_DEP_2) | instskip(SKIP_1) | instid1(SALU_CYCLE_1)
	v_cmp_ne_u32_e32 vcc_lo, 0x7c, v2
                                        ; implicit-def: $vgpr2
	s_and_saveexec_b32 s28, vcc_lo
	s_xor_b32 s28, exec_lo, s28
	s_cbranch_execz .LBB4_4284
; %bb.4281:                             ;   in Loop: Header=BB4_3452 Depth=2
	v_and_b32_e32 v2, 0xff, v90
	s_mov_b32 s29, exec_lo
	s_delay_alu instid0(VALU_DEP_1) | instskip(NEXT) | instid1(VALU_DEP_1)
	v_bfe_u32 v2, v2, 2, 5
	v_cmpx_eq_u32_e32 0, v2
	s_cbranch_execz .LBB4_4283
; %bb.4282:                             ;   in Loop: Header=BB4_3452 Depth=2
	v_clz_i32_u32_e32 v2, v20
	s_delay_alu instid0(VALU_DEP_1) | instskip(SKIP_1) | instid1(VALU_DEP_2)
	v_min_u32_e32 v2, 32, v2
	v_mov_b32_e32 v91, v39
	v_subrev_nc_u32_e32 v20, 29, v2
	v_sub_nc_u32_e32 v2, 30, v2
	s_delay_alu instid0(VALU_DEP_2) | instskip(NEXT) | instid1(VALU_DEP_1)
	v_lshlrev_b64_e32 v[20:21], v20, v[90:91]
	v_and_b32_e32 v20, 3, v20
.LBB4_4283:                             ;   in Loop: Header=BB4_3452 Depth=2
	s_or_b32 exec_lo, exec_lo, s29
	v_bfe_i32 v21, v90, 0, 16
                                        ; implicit-def: $vgpr90
	s_delay_alu instid0(VALU_DEP_1) | instskip(NEXT) | instid1(VALU_DEP_1)
	v_and_b32_e32 v21, 0x80000000, v21
	v_lshl_add_u32 v2, v2, 23, v21
	s_delay_alu instid0(VALU_DEP_1) | instskip(NEXT) | instid1(VALU_DEP_1)
	v_lshl_or_b32 v2, v20, 21, v2
                                        ; implicit-def: $vgpr20
	v_add_nc_u32_e32 v2, 0x38000000, v2
.LBB4_4284:                             ;   in Loop: Header=BB4_3452 Depth=2
	s_and_not1_saveexec_b32 s28, s28
; %bb.4285:                             ;   in Loop: Header=BB4_3452 Depth=2
	v_cmp_lt_i16_e32 vcc_lo, -1, v90
	v_cndmask_b32_e32 v2, 0xff800000, v126, vcc_lo
	v_cmp_eq_u32_e32 vcc_lo, 0, v20
	s_delay_alu instid0(VALU_DEP_2)
	v_cndmask_b32_e32 v2, 0x7f800001, v2, vcc_lo
; %bb.4286:                             ;   in Loop: Header=BB4_3452 Depth=2
	s_or_b32 exec_lo, exec_lo, s28
.LBB4_4287:                             ;   in Loop: Header=BB4_3452 Depth=2
	s_delay_alu instid0(SALU_CYCLE_1)
	s_or_b32 exec_lo, exec_lo, s11
.LBB4_4288:                             ;   in Loop: Header=BB4_3452 Depth=2
	s_delay_alu instid0(SALU_CYCLE_1) | instskip(NEXT) | instid1(VALU_DEP_1)
	s_or_b32 exec_lo, exec_lo, s10
	v_dual_add_f32 v17, v17, v2 :: v_dual_mov_b32 v21, v39
                                        ; implicit-def: $vgpr42
	s_mov_b32 s10, exec_lo
	s_delay_alu instid0(VALU_DEP_1) | instskip(SKIP_1) | instid1(VALU_DEP_2)
	v_and_b32_e32 v20, 0x7f800000, v17
	v_and_b32_e32 v38, 0x7fffff, v17
	v_cmpx_ne_u64_e32 0x7f800000, v[20:21]
	s_xor_b32 s11, exec_lo, s10
	s_cbranch_execz .LBB4_4306
; %bb.4289:                             ;   in Loop: Header=BB4_3452 Depth=2
	v_dual_mov_b32 v21, v39 :: v_dual_lshrrev_b32 v2, 24, v17
	v_and_b32_e32 v20, 0x7fffffff, v17
                                        ; implicit-def: $vgpr42
	s_mov_b32 s10, exec_lo
	s_delay_alu instid0(VALU_DEP_2) | instskip(NEXT) | instid1(VALU_DEP_2)
	v_and_b32_e32 v2, 0x80, v2
	v_cmpx_gt_u64_e32 0x47600001, v[20:21]
	s_xor_b32 s28, exec_lo, s10
	s_cbranch_execz .LBB4_4303
; %bb.4290:                             ;   in Loop: Header=BB4_3452 Depth=2
	v_mov_b32_e32 v42, 0
	s_mov_b32 s29, exec_lo
	v_cmpx_ne_u32_e32 0, v17
	s_cbranch_execz .LBB4_4302
; %bb.4291:                             ;   in Loop: Header=BB4_3452 Depth=2
	v_bfe_u32 v17, v17, 23, 8
	v_or_b32_e32 v31, 0x800000, v38
	s_delay_alu instid0(VALU_DEP_2) | instskip(SKIP_1) | instid1(VALU_DEP_2)
	v_dual_mov_b32 v119, v39 :: v_dual_sub_nc_u32 v20, 0x71, v17
	v_cmp_gt_u32_e32 vcc_lo, 0x72, v17
	v_cndmask_b32_e32 v20, 0, v20, vcc_lo
	v_cmp_eq_u32_e32 vcc_lo, 0, v17
	v_cndmask_b32_e32 v118, v31, v38, vcc_lo
	s_delay_alu instid0(VALU_DEP_3) | instskip(NEXT) | instid1(VALU_DEP_1)
	v_cndmask_b32_e64 v20, v20, 0x70, vcc_lo
	v_add_nc_u32_e32 v21, 21, v20
	s_delay_alu instid0(VALU_DEP_1) | instskip(SKIP_1) | instid1(VALU_DEP_1)
	v_lshlrev_b64_e64 v[24:25], v21, -1
	v_add_nc_u32_e32 v21, 20, v20
	v_lshlrev_b64_e64 v[42:43], v21, 1
	s_delay_alu instid0(VALU_DEP_3) | instskip(SKIP_2) | instid1(VALU_DEP_1)
	v_bfi_b32 v24, v24, 0, v118
	v_lshrrev_b64 v[118:119], v20, v[118:119]
	v_bfi_b32 v25, v25, 0, 0
	v_cmp_eq_u64_e64 s10, v[24:25], v[42:43]
	s_delay_alu instid0(VALU_DEP_3)
	v_mov_b64_e32 v[42:43], v[118:119]
	s_and_saveexec_b32 s40, s10
; %bb.4292:                             ;   in Loop: Header=BB4_3452 Depth=2
	v_bfe_u32 v24, v118, 21, 1
	v_mov_b32_e32 v25, v39
	s_delay_alu instid0(VALU_DEP_1) | instskip(NEXT) | instid1(VALU_DEP_1)
	v_add_nc_u64_e32 v[24:25], v[118:119], v[24:25]
	v_add_nc_u64_e32 v[42:43], -1, v[24:25]
; %bb.4293:                             ;   in Loop: Header=BB4_3452 Depth=2
	s_or_b32 exec_lo, exec_lo, s40
	v_add_nc_u32_e32 v17, 0xffffff81, v17
	s_delay_alu instid0(VALU_DEP_2) | instskip(SKIP_2) | instid1(VALU_DEP_3)
	v_and_b32_e32 v24, 0x1fffff, v42
	v_lshrrev_b32_e32 v21, 23, v118
	s_mov_b32 s10, exec_lo
	v_cndmask_b32_e64 v17, v17, 0xffffff82, vcc_lo
	s_delay_alu instid0(VALU_DEP_3) | instskip(NEXT) | instid1(VALU_DEP_2)
	v_add_nc_u32_e32 v38, v24, v118
                                        ; implicit-def: $vgpr118_vgpr119
	v_add3_u32 v20, v20, v17, v21
                                        ; implicit-def: $vgpr17
	s_delay_alu instid0(VALU_DEP_1) | instskip(NEXT) | instid1(VALU_DEP_1)
	v_add_nc_u32_e32 v21, 14, v20
	v_cmpx_ne_u32_e32 0, v21
	s_xor_b32 s10, exec_lo, s10
; %bb.4294:                             ;   in Loop: Header=BB4_3452 Depth=2
	v_cmp_lt_u64_e32 vcc_lo, 0xffffff, v[38:39]
	v_add_nc_u32_e32 v17, 15, v20
	v_cndmask_b32_e64 v20, 0, 1, vcc_lo
	s_delay_alu instid0(VALU_DEP_2) | instskip(NEXT) | instid1(VALU_DEP_2)
	v_cndmask_b32_e32 v17, v21, v17, vcc_lo
	v_lshrrev_b64 v[118:119], v20, v[38:39]
; %bb.4295:                             ;   in Loop: Header=BB4_3452 Depth=2
	s_and_not1_saveexec_b32 s10, s10
; %bb.4296:                             ;   in Loop: Header=BB4_3452 Depth=2
	v_mov_b64_e32 v[118:119], v[38:39]
	v_bfe_u32 v17, v38, 23, 1
; %bb.4297:                             ;   in Loop: Header=BB4_3452 Depth=2
	s_or_b32 exec_lo, exec_lo, s10
	s_delay_alu instid0(VALU_DEP_2) | instskip(NEXT) | instid1(VALU_DEP_2)
	v_lshrrev_b64 v[20:21], 21, v[118:119]
	v_cmp_gt_i32_e32 vcc_lo, 32, v17
	v_cmp_ne_u32_e64 s10, 0, v17
                                        ; implicit-def: $vgpr42
	s_delay_alu instid0(VALU_DEP_3) | instskip(NEXT) | instid1(VALU_DEP_1)
	v_dual_cndmask_b32 v119, 0, v21 :: v_dual_cndmask_b32 v118, 3, v20
	v_cmp_ne_u64_e32 vcc_lo, 0, v[118:119]
	s_or_b32 s10, s10, vcc_lo
	s_delay_alu instid0(SALU_CYCLE_1) | instskip(NEXT) | instid1(SALU_CYCLE_1)
	s_and_saveexec_b32 s40, s10
	s_xor_b32 s10, exec_lo, s40
; %bb.4298:                             ;   in Loop: Header=BB4_3452 Depth=2
	v_min_i32_e32 v17, 31, v17
	s_delay_alu instid0(VALU_DEP_1) | instskip(NEXT) | instid1(VALU_DEP_1)
	v_lshl_or_b32 v2, v17, 2, v2
	v_and_or_b32 v42, v118, 3, v2
                                        ; implicit-def: $vgpr2
; %bb.4299:                             ;   in Loop: Header=BB4_3452 Depth=2
	s_and_not1_saveexec_b32 s10, s10
; %bb.4300:                             ;   in Loop: Header=BB4_3452 Depth=2
	v_mov_b32_e32 v42, v2
; %bb.4301:                             ;   in Loop: Header=BB4_3452 Depth=2
	s_or_b32 exec_lo, exec_lo, s10
.LBB4_4302:                             ;   in Loop: Header=BB4_3452 Depth=2
	s_delay_alu instid0(SALU_CYCLE_1)
	s_or_b32 exec_lo, exec_lo, s29
                                        ; implicit-def: $vgpr2
.LBB4_4303:                             ;   in Loop: Header=BB4_3452 Depth=2
	s_and_not1_saveexec_b32 s10, s28
; %bb.4304:                             ;   in Loop: Header=BB4_3452 Depth=2
	v_or_b32_e32 v42, 0x7b, v2
; %bb.4305:                             ;   in Loop: Header=BB4_3452 Depth=2
	s_or_b32 exec_lo, exec_lo, s10
                                        ; implicit-def: $vgpr17
.LBB4_4306:                             ;   in Loop: Header=BB4_3452 Depth=2
	s_and_not1_saveexec_b32 s10, s11
	s_cbranch_execz .LBB4_4312
; %bb.4307:                             ;   in Loop: Header=BB4_3452 Depth=2
	s_mov_b32 s11, exec_lo
                                        ; implicit-def: $vgpr42
	v_cmpx_ne_u64_e32 0, v[38:39]
	s_xor_b32 s11, exec_lo, s11
; %bb.4308:                             ;   in Loop: Header=BB4_3452 Depth=2
	v_lshrrev_b32_e32 v2, 24, v17
                                        ; implicit-def: $vgpr17
	s_delay_alu instid0(VALU_DEP_1)
	v_or_b32_e32 v42, 0x7f, v2
; %bb.4309:                             ;   in Loop: Header=BB4_3452 Depth=2
	s_and_not1_saveexec_b32 s11, s11
; %bb.4310:                             ;   in Loop: Header=BB4_3452 Depth=2
	v_cmp_lt_i32_e32 vcc_lo, -1, v17
	v_cndmask_b32_e64 v42, -4, 0x7c, vcc_lo
; %bb.4311:                             ;   in Loop: Header=BB4_3452 Depth=2
	s_or_b32 exec_lo, exec_lo, s11
.LBB4_4312:                             ;   in Loop: Header=BB4_3452 Depth=2
	s_delay_alu instid0(SALU_CYCLE_1) | instskip(SKIP_3) | instid1(VALU_DEP_2)
	s_or_b32 exec_lo, exec_lo, s10
	v_and_b32_e32 v21, 0xff, v116
	v_dual_mov_b32 v2, 0 :: v_dual_mov_b32 v17, 0
	s_mov_b32 s10, exec_lo
	v_cmpx_ne_u16_e32 0, v21
	s_cbranch_execz .LBB4_4322
; %bb.4313:                             ;   in Loop: Header=BB4_3452 Depth=2
	v_bfrev_b32_e32 v17, 1
	s_mov_b32 s11, exec_lo
	v_cmpx_ne_u16_e32 0x80, v21
	s_cbranch_execz .LBB4_4321
; %bb.4314:                             ;   in Loop: Header=BB4_3452 Depth=2
	v_and_b32_e32 v17, 0x7c, v116
	v_and_b32_e32 v20, 3, v116
	s_delay_alu instid0(VALU_DEP_2) | instskip(SKIP_1) | instid1(SALU_CYCLE_1)
	v_cmp_ne_u32_e32 vcc_lo, 0x7c, v17
                                        ; implicit-def: $vgpr17
	s_and_saveexec_b32 s28, vcc_lo
	s_xor_b32 s28, exec_lo, s28
	s_cbranch_execz .LBB4_4318
; %bb.4315:                             ;   in Loop: Header=BB4_3452 Depth=2
	v_bfe_u32 v17, v21, 2, 5
	s_mov_b32 s29, exec_lo
	s_delay_alu instid0(VALU_DEP_1)
	v_cmpx_eq_u32_e32 0, v17
	s_cbranch_execz .LBB4_4317
; %bb.4316:                             ;   in Loop: Header=BB4_3452 Depth=2
	v_clz_i32_u32_e32 v17, v20
	s_delay_alu instid0(VALU_DEP_1) | instskip(SKIP_1) | instid1(VALU_DEP_2)
	v_min_u32_e32 v17, 32, v17
	v_mov_b32_e32 v117, v39
	v_subrev_nc_u32_e32 v20, 29, v17
	v_sub_nc_u32_e32 v17, 30, v17
	s_delay_alu instid0(VALU_DEP_2) | instskip(NEXT) | instid1(VALU_DEP_1)
	v_lshlrev_b64_e32 v[20:21], v20, v[116:117]
	v_and_b32_e32 v20, 3, v20
.LBB4_4317:                             ;   in Loop: Header=BB4_3452 Depth=2
	s_or_b32 exec_lo, exec_lo, s29
	v_lshlrev_b32_e32 v21, 24, v116
                                        ; implicit-def: $vgpr116
	s_delay_alu instid0(VALU_DEP_1) | instskip(NEXT) | instid1(VALU_DEP_1)
	v_and_b32_e32 v21, 0x80000000, v21
	v_lshl_add_u32 v17, v17, 23, v21
	s_delay_alu instid0(VALU_DEP_1) | instskip(NEXT) | instid1(VALU_DEP_1)
	v_lshl_or_b32 v17, v20, 21, v17
                                        ; implicit-def: $vgpr20
	v_add_nc_u32_e32 v17, 0x38000000, v17
.LBB4_4318:                             ;   in Loop: Header=BB4_3452 Depth=2
	s_and_not1_saveexec_b32 s28, s28
; %bb.4319:                             ;   in Loop: Header=BB4_3452 Depth=2
	v_bfe_i32 v17, v116, 0, 8
	s_delay_alu instid0(VALU_DEP_1) | instskip(SKIP_2) | instid1(VALU_DEP_2)
	v_cmp_lt_i16_e32 vcc_lo, -1, v17
	v_cndmask_b32_e32 v17, 0xff800000, v126, vcc_lo
	v_cmp_eq_u32_e32 vcc_lo, 0, v20
	v_cndmask_b32_e32 v17, 0x7f800001, v17, vcc_lo
; %bb.4320:                             ;   in Loop: Header=BB4_3452 Depth=2
	s_or_b32 exec_lo, exec_lo, s28
.LBB4_4321:                             ;   in Loop: Header=BB4_3452 Depth=2
	s_delay_alu instid0(SALU_CYCLE_1)
	s_or_b32 exec_lo, exec_lo, s11
.LBB4_4322:                             ;   in Loop: Header=BB4_3452 Depth=2
	s_delay_alu instid0(SALU_CYCLE_1) | instskip(NEXT) | instid1(SALU_CYCLE_1)
	s_or_b32 exec_lo, exec_lo, s10
	s_mov_b32 s10, exec_lo
	s_wait_loadcnt_dscnt 0x808
	v_cmpx_ne_u16_e32 0, v88
	s_cbranch_execz .LBB4_4332
; %bb.4323:                             ;   in Loop: Header=BB4_3452 Depth=2
	v_bfrev_b32_e32 v2, 1
	s_mov_b32 s11, exec_lo
	v_cmpx_ne_u16_e32 0xff80, v88
	s_cbranch_execz .LBB4_4331
; %bb.4324:                             ;   in Loop: Header=BB4_3452 Depth=2
	v_and_b32_e32 v2, 0x7c, v88
	v_and_b32_e32 v20, 3, v88
	s_delay_alu instid0(VALU_DEP_2) | instskip(SKIP_1) | instid1(SALU_CYCLE_1)
	v_cmp_ne_u32_e32 vcc_lo, 0x7c, v2
                                        ; implicit-def: $vgpr2
	s_and_saveexec_b32 s28, vcc_lo
	s_xor_b32 s28, exec_lo, s28
	s_cbranch_execz .LBB4_4328
; %bb.4325:                             ;   in Loop: Header=BB4_3452 Depth=2
	v_and_b32_e32 v2, 0xff, v88
	s_mov_b32 s29, exec_lo
	s_delay_alu instid0(VALU_DEP_1) | instskip(NEXT) | instid1(VALU_DEP_1)
	v_bfe_u32 v2, v2, 2, 5
	v_cmpx_eq_u32_e32 0, v2
	s_cbranch_execz .LBB4_4327
; %bb.4326:                             ;   in Loop: Header=BB4_3452 Depth=2
	v_clz_i32_u32_e32 v2, v20
	s_delay_alu instid0(VALU_DEP_1) | instskip(SKIP_1) | instid1(VALU_DEP_2)
	v_min_u32_e32 v2, 32, v2
	v_mov_b32_e32 v89, v39
	v_subrev_nc_u32_e32 v20, 29, v2
	v_sub_nc_u32_e32 v2, 30, v2
	s_delay_alu instid0(VALU_DEP_2) | instskip(NEXT) | instid1(VALU_DEP_1)
	v_lshlrev_b64_e32 v[20:21], v20, v[88:89]
	v_and_b32_e32 v20, 3, v20
.LBB4_4327:                             ;   in Loop: Header=BB4_3452 Depth=2
	s_or_b32 exec_lo, exec_lo, s29
	v_bfe_i32 v21, v88, 0, 16
                                        ; implicit-def: $vgpr88
	s_delay_alu instid0(VALU_DEP_1) | instskip(NEXT) | instid1(VALU_DEP_1)
	v_and_b32_e32 v21, 0x80000000, v21
	v_lshl_add_u32 v2, v2, 23, v21
	s_delay_alu instid0(VALU_DEP_1) | instskip(NEXT) | instid1(VALU_DEP_1)
	v_lshl_or_b32 v2, v20, 21, v2
                                        ; implicit-def: $vgpr20
	v_add_nc_u32_e32 v2, 0x38000000, v2
.LBB4_4328:                             ;   in Loop: Header=BB4_3452 Depth=2
	s_and_not1_saveexec_b32 s28, s28
; %bb.4329:                             ;   in Loop: Header=BB4_3452 Depth=2
	v_cmp_lt_i16_e32 vcc_lo, -1, v88
	v_cndmask_b32_e32 v2, 0xff800000, v126, vcc_lo
	v_cmp_eq_u32_e32 vcc_lo, 0, v20
	s_delay_alu instid0(VALU_DEP_2)
	v_cndmask_b32_e32 v2, 0x7f800001, v2, vcc_lo
; %bb.4330:                             ;   in Loop: Header=BB4_3452 Depth=2
	s_or_b32 exec_lo, exec_lo, s28
.LBB4_4331:                             ;   in Loop: Header=BB4_3452 Depth=2
	s_delay_alu instid0(SALU_CYCLE_1)
	s_or_b32 exec_lo, exec_lo, s11
.LBB4_4332:                             ;   in Loop: Header=BB4_3452 Depth=2
	s_delay_alu instid0(SALU_CYCLE_1) | instskip(NEXT) | instid1(VALU_DEP_1)
	s_or_b32 exec_lo, exec_lo, s10
	v_dual_add_f32 v17, v17, v2 :: v_dual_mov_b32 v21, v39
                                        ; implicit-def: $vgpr118
	s_mov_b32 s10, exec_lo
	s_delay_alu instid0(VALU_DEP_1) | instskip(SKIP_1) | instid1(VALU_DEP_2)
	v_and_b32_e32 v20, 0x7f800000, v17
	v_and_b32_e32 v38, 0x7fffff, v17
	v_cmpx_ne_u64_e32 0x7f800000, v[20:21]
	s_xor_b32 s11, exec_lo, s10
	s_cbranch_execz .LBB4_4350
; %bb.4333:                             ;   in Loop: Header=BB4_3452 Depth=2
	v_dual_mov_b32 v21, v39 :: v_dual_lshrrev_b32 v2, 24, v17
	v_and_b32_e32 v20, 0x7fffffff, v17
                                        ; implicit-def: $vgpr118
	s_mov_b32 s10, exec_lo
	s_delay_alu instid0(VALU_DEP_2) | instskip(NEXT) | instid1(VALU_DEP_2)
	v_and_b32_e32 v2, 0x80, v2
	v_cmpx_gt_u64_e32 0x47600001, v[20:21]
	s_xor_b32 s28, exec_lo, s10
	s_cbranch_execz .LBB4_4347
; %bb.4334:                             ;   in Loop: Header=BB4_3452 Depth=2
	v_mov_b32_e32 v118, 0
	s_mov_b32 s29, exec_lo
	v_cmpx_ne_u32_e32 0, v17
	s_cbranch_execz .LBB4_4346
; %bb.4335:                             ;   in Loop: Header=BB4_3452 Depth=2
	v_bfe_u32 v17, v17, 23, 8
	v_or_b32_e32 v31, 0x800000, v38
	s_delay_alu instid0(VALU_DEP_2) | instskip(SKIP_1) | instid1(VALU_DEP_2)
	v_dual_mov_b32 v117, v39 :: v_dual_sub_nc_u32 v20, 0x71, v17
	v_cmp_gt_u32_e32 vcc_lo, 0x72, v17
	v_cndmask_b32_e32 v20, 0, v20, vcc_lo
	v_cmp_eq_u32_e32 vcc_lo, 0, v17
	v_cndmask_b32_e32 v116, v31, v38, vcc_lo
	s_delay_alu instid0(VALU_DEP_3) | instskip(NEXT) | instid1(VALU_DEP_1)
	v_cndmask_b32_e64 v20, v20, 0x70, vcc_lo
	v_add_nc_u32_e32 v21, 21, v20
	s_delay_alu instid0(VALU_DEP_1) | instskip(SKIP_1) | instid1(VALU_DEP_1)
	v_lshlrev_b64_e64 v[24:25], v21, -1
	v_add_nc_u32_e32 v21, 20, v20
	v_lshlrev_b64_e64 v[118:119], v21, 1
	s_delay_alu instid0(VALU_DEP_3) | instskip(SKIP_2) | instid1(VALU_DEP_1)
	v_bfi_b32 v24, v24, 0, v116
	v_lshrrev_b64 v[116:117], v20, v[116:117]
	v_bfi_b32 v25, v25, 0, 0
	v_cmp_eq_u64_e64 s10, v[24:25], v[118:119]
	s_delay_alu instid0(VALU_DEP_3)
	v_mov_b64_e32 v[118:119], v[116:117]
	s_and_saveexec_b32 s40, s10
; %bb.4336:                             ;   in Loop: Header=BB4_3452 Depth=2
	v_bfe_u32 v24, v116, 21, 1
	v_mov_b32_e32 v25, v39
	s_delay_alu instid0(VALU_DEP_1) | instskip(NEXT) | instid1(VALU_DEP_1)
	v_add_nc_u64_e32 v[24:25], v[116:117], v[24:25]
	v_add_nc_u64_e32 v[118:119], -1, v[24:25]
; %bb.4337:                             ;   in Loop: Header=BB4_3452 Depth=2
	s_or_b32 exec_lo, exec_lo, s40
	v_add_nc_u32_e32 v17, 0xffffff81, v17
	s_delay_alu instid0(VALU_DEP_2) | instskip(SKIP_2) | instid1(VALU_DEP_3)
	v_and_b32_e32 v24, 0x1fffff, v118
	v_lshrrev_b32_e32 v21, 23, v116
	s_mov_b32 s10, exec_lo
	v_cndmask_b32_e64 v17, v17, 0xffffff82, vcc_lo
	s_delay_alu instid0(VALU_DEP_3) | instskip(NEXT) | instid1(VALU_DEP_2)
	v_add_nc_u32_e32 v38, v24, v116
                                        ; implicit-def: $vgpr116_vgpr117
	v_add3_u32 v20, v20, v17, v21
                                        ; implicit-def: $vgpr17
	s_delay_alu instid0(VALU_DEP_1) | instskip(NEXT) | instid1(VALU_DEP_1)
	v_add_nc_u32_e32 v21, 14, v20
	v_cmpx_ne_u32_e32 0, v21
	s_xor_b32 s10, exec_lo, s10
; %bb.4338:                             ;   in Loop: Header=BB4_3452 Depth=2
	v_cmp_lt_u64_e32 vcc_lo, 0xffffff, v[38:39]
	v_add_nc_u32_e32 v17, 15, v20
	v_cndmask_b32_e64 v20, 0, 1, vcc_lo
	s_delay_alu instid0(VALU_DEP_2) | instskip(NEXT) | instid1(VALU_DEP_2)
	v_cndmask_b32_e32 v17, v21, v17, vcc_lo
	v_lshrrev_b64 v[116:117], v20, v[38:39]
; %bb.4339:                             ;   in Loop: Header=BB4_3452 Depth=2
	s_and_not1_saveexec_b32 s10, s10
; %bb.4340:                             ;   in Loop: Header=BB4_3452 Depth=2
	v_mov_b64_e32 v[116:117], v[38:39]
	v_bfe_u32 v17, v38, 23, 1
; %bb.4341:                             ;   in Loop: Header=BB4_3452 Depth=2
	s_or_b32 exec_lo, exec_lo, s10
	s_delay_alu instid0(VALU_DEP_2) | instskip(NEXT) | instid1(VALU_DEP_2)
	v_lshrrev_b64 v[20:21], 21, v[116:117]
	v_cmp_gt_i32_e32 vcc_lo, 32, v17
	v_cmp_ne_u32_e64 s10, 0, v17
                                        ; implicit-def: $vgpr118
	s_delay_alu instid0(VALU_DEP_3) | instskip(NEXT) | instid1(VALU_DEP_1)
	v_dual_cndmask_b32 v117, 0, v21 :: v_dual_cndmask_b32 v116, 3, v20
	v_cmp_ne_u64_e32 vcc_lo, 0, v[116:117]
	s_or_b32 s10, s10, vcc_lo
	s_delay_alu instid0(SALU_CYCLE_1) | instskip(NEXT) | instid1(SALU_CYCLE_1)
	s_and_saveexec_b32 s40, s10
	s_xor_b32 s10, exec_lo, s40
; %bb.4342:                             ;   in Loop: Header=BB4_3452 Depth=2
	v_min_i32_e32 v17, 31, v17
	s_delay_alu instid0(VALU_DEP_1) | instskip(NEXT) | instid1(VALU_DEP_1)
	v_lshl_or_b32 v2, v17, 2, v2
	v_and_or_b32 v118, v116, 3, v2
                                        ; implicit-def: $vgpr2
; %bb.4343:                             ;   in Loop: Header=BB4_3452 Depth=2
	s_and_not1_saveexec_b32 s10, s10
; %bb.4344:                             ;   in Loop: Header=BB4_3452 Depth=2
	v_mov_b32_e32 v118, v2
; %bb.4345:                             ;   in Loop: Header=BB4_3452 Depth=2
	s_or_b32 exec_lo, exec_lo, s10
.LBB4_4346:                             ;   in Loop: Header=BB4_3452 Depth=2
	s_delay_alu instid0(SALU_CYCLE_1)
	s_or_b32 exec_lo, exec_lo, s29
                                        ; implicit-def: $vgpr2
.LBB4_4347:                             ;   in Loop: Header=BB4_3452 Depth=2
	s_and_not1_saveexec_b32 s10, s28
; %bb.4348:                             ;   in Loop: Header=BB4_3452 Depth=2
	v_or_b32_e32 v118, 0x7b, v2
; %bb.4349:                             ;   in Loop: Header=BB4_3452 Depth=2
	s_or_b32 exec_lo, exec_lo, s10
                                        ; implicit-def: $vgpr17
.LBB4_4350:                             ;   in Loop: Header=BB4_3452 Depth=2
	s_and_not1_saveexec_b32 s10, s11
	s_cbranch_execz .LBB4_4356
; %bb.4351:                             ;   in Loop: Header=BB4_3452 Depth=2
	s_mov_b32 s11, exec_lo
                                        ; implicit-def: $vgpr118
	v_cmpx_ne_u64_e32 0, v[38:39]
	s_xor_b32 s11, exec_lo, s11
; %bb.4352:                             ;   in Loop: Header=BB4_3452 Depth=2
	v_lshrrev_b32_e32 v2, 24, v17
                                        ; implicit-def: $vgpr17
	s_delay_alu instid0(VALU_DEP_1)
	v_or_b32_e32 v118, 0x7f, v2
; %bb.4353:                             ;   in Loop: Header=BB4_3452 Depth=2
	s_and_not1_saveexec_b32 s11, s11
; %bb.4354:                             ;   in Loop: Header=BB4_3452 Depth=2
	v_cmp_lt_i32_e32 vcc_lo, -1, v17
	v_cndmask_b32_e64 v118, -4, 0x7c, vcc_lo
; %bb.4355:                             ;   in Loop: Header=BB4_3452 Depth=2
	s_or_b32 exec_lo, exec_lo, s11
.LBB4_4356:                             ;   in Loop: Header=BB4_3452 Depth=2
	s_delay_alu instid0(SALU_CYCLE_1) | instskip(SKIP_3) | instid1(VALU_DEP_2)
	s_or_b32 exec_lo, exec_lo, s10
	v_and_b32_e32 v21, 0xff, v114
	v_dual_mov_b32 v2, 0 :: v_dual_mov_b32 v17, 0
	s_mov_b32 s10, exec_lo
	v_cmpx_ne_u16_e32 0, v21
	s_cbranch_execz .LBB4_4366
; %bb.4357:                             ;   in Loop: Header=BB4_3452 Depth=2
	v_bfrev_b32_e32 v17, 1
	s_mov_b32 s11, exec_lo
	v_cmpx_ne_u16_e32 0x80, v21
	s_cbranch_execz .LBB4_4365
; %bb.4358:                             ;   in Loop: Header=BB4_3452 Depth=2
	v_and_b32_e32 v17, 0x7c, v114
	v_and_b32_e32 v20, 3, v114
	s_delay_alu instid0(VALU_DEP_2) | instskip(SKIP_1) | instid1(SALU_CYCLE_1)
	v_cmp_ne_u32_e32 vcc_lo, 0x7c, v17
                                        ; implicit-def: $vgpr17
	s_and_saveexec_b32 s28, vcc_lo
	s_xor_b32 s28, exec_lo, s28
	s_cbranch_execz .LBB4_4362
; %bb.4359:                             ;   in Loop: Header=BB4_3452 Depth=2
	v_bfe_u32 v17, v21, 2, 5
	s_mov_b32 s29, exec_lo
	s_delay_alu instid0(VALU_DEP_1)
	v_cmpx_eq_u32_e32 0, v17
	s_cbranch_execz .LBB4_4361
; %bb.4360:                             ;   in Loop: Header=BB4_3452 Depth=2
	v_clz_i32_u32_e32 v17, v20
	s_delay_alu instid0(VALU_DEP_1) | instskip(SKIP_1) | instid1(VALU_DEP_2)
	v_min_u32_e32 v17, 32, v17
	v_mov_b32_e32 v115, v39
	v_subrev_nc_u32_e32 v20, 29, v17
	v_sub_nc_u32_e32 v17, 30, v17
	s_delay_alu instid0(VALU_DEP_2) | instskip(NEXT) | instid1(VALU_DEP_1)
	v_lshlrev_b64_e32 v[20:21], v20, v[114:115]
	v_and_b32_e32 v20, 3, v20
.LBB4_4361:                             ;   in Loop: Header=BB4_3452 Depth=2
	s_or_b32 exec_lo, exec_lo, s29
	v_lshlrev_b32_e32 v21, 24, v114
                                        ; implicit-def: $vgpr114
	s_delay_alu instid0(VALU_DEP_1) | instskip(NEXT) | instid1(VALU_DEP_1)
	v_and_b32_e32 v21, 0x80000000, v21
	v_lshl_add_u32 v17, v17, 23, v21
	s_delay_alu instid0(VALU_DEP_1) | instskip(NEXT) | instid1(VALU_DEP_1)
	v_lshl_or_b32 v17, v20, 21, v17
                                        ; implicit-def: $vgpr20
	v_add_nc_u32_e32 v17, 0x38000000, v17
.LBB4_4362:                             ;   in Loop: Header=BB4_3452 Depth=2
	s_and_not1_saveexec_b32 s28, s28
; %bb.4363:                             ;   in Loop: Header=BB4_3452 Depth=2
	v_bfe_i32 v17, v114, 0, 8
	s_delay_alu instid0(VALU_DEP_1) | instskip(SKIP_2) | instid1(VALU_DEP_2)
	v_cmp_lt_i16_e32 vcc_lo, -1, v17
	v_cndmask_b32_e32 v17, 0xff800000, v126, vcc_lo
	v_cmp_eq_u32_e32 vcc_lo, 0, v20
	v_cndmask_b32_e32 v17, 0x7f800001, v17, vcc_lo
; %bb.4364:                             ;   in Loop: Header=BB4_3452 Depth=2
	s_or_b32 exec_lo, exec_lo, s28
.LBB4_4365:                             ;   in Loop: Header=BB4_3452 Depth=2
	s_delay_alu instid0(SALU_CYCLE_1)
	s_or_b32 exec_lo, exec_lo, s11
.LBB4_4366:                             ;   in Loop: Header=BB4_3452 Depth=2
	s_delay_alu instid0(SALU_CYCLE_1) | instskip(NEXT) | instid1(SALU_CYCLE_1)
	s_or_b32 exec_lo, exec_lo, s10
	s_mov_b32 s10, exec_lo
	s_wait_loadcnt_dscnt 0x707
	v_cmpx_ne_u16_e32 0, v78
	s_cbranch_execz .LBB4_4376
; %bb.4367:                             ;   in Loop: Header=BB4_3452 Depth=2
	v_bfrev_b32_e32 v2, 1
	s_mov_b32 s11, exec_lo
	v_cmpx_ne_u16_e32 0xff80, v78
	s_cbranch_execz .LBB4_4375
; %bb.4368:                             ;   in Loop: Header=BB4_3452 Depth=2
	v_and_b32_e32 v2, 0x7c, v78
	v_and_b32_e32 v20, 3, v78
	s_delay_alu instid0(VALU_DEP_2) | instskip(SKIP_1) | instid1(SALU_CYCLE_1)
	v_cmp_ne_u32_e32 vcc_lo, 0x7c, v2
                                        ; implicit-def: $vgpr2
	s_and_saveexec_b32 s28, vcc_lo
	s_xor_b32 s28, exec_lo, s28
	s_cbranch_execz .LBB4_4372
; %bb.4369:                             ;   in Loop: Header=BB4_3452 Depth=2
	v_and_b32_e32 v2, 0xff, v78
	s_mov_b32 s29, exec_lo
	s_delay_alu instid0(VALU_DEP_1) | instskip(NEXT) | instid1(VALU_DEP_1)
	v_bfe_u32 v2, v2, 2, 5
	v_cmpx_eq_u32_e32 0, v2
	s_cbranch_execz .LBB4_4371
; %bb.4370:                             ;   in Loop: Header=BB4_3452 Depth=2
	v_clz_i32_u32_e32 v2, v20
	s_delay_alu instid0(VALU_DEP_1) | instskip(SKIP_1) | instid1(VALU_DEP_2)
	v_min_u32_e32 v2, 32, v2
	v_mov_b32_e32 v79, v39
	v_subrev_nc_u32_e32 v20, 29, v2
	v_sub_nc_u32_e32 v2, 30, v2
	s_delay_alu instid0(VALU_DEP_2) | instskip(NEXT) | instid1(VALU_DEP_1)
	v_lshlrev_b64_e32 v[20:21], v20, v[78:79]
	v_and_b32_e32 v20, 3, v20
.LBB4_4371:                             ;   in Loop: Header=BB4_3452 Depth=2
	s_or_b32 exec_lo, exec_lo, s29
	v_bfe_i32 v21, v78, 0, 16
                                        ; implicit-def: $vgpr78
	s_delay_alu instid0(VALU_DEP_1) | instskip(NEXT) | instid1(VALU_DEP_1)
	v_and_b32_e32 v21, 0x80000000, v21
	v_lshl_add_u32 v2, v2, 23, v21
	s_delay_alu instid0(VALU_DEP_1) | instskip(NEXT) | instid1(VALU_DEP_1)
	v_lshl_or_b32 v2, v20, 21, v2
                                        ; implicit-def: $vgpr20
	v_add_nc_u32_e32 v2, 0x38000000, v2
.LBB4_4372:                             ;   in Loop: Header=BB4_3452 Depth=2
	s_and_not1_saveexec_b32 s28, s28
; %bb.4373:                             ;   in Loop: Header=BB4_3452 Depth=2
	v_cmp_lt_i16_e32 vcc_lo, -1, v78
	v_cndmask_b32_e32 v2, 0xff800000, v126, vcc_lo
	v_cmp_eq_u32_e32 vcc_lo, 0, v20
	s_delay_alu instid0(VALU_DEP_2)
	v_cndmask_b32_e32 v2, 0x7f800001, v2, vcc_lo
; %bb.4374:                             ;   in Loop: Header=BB4_3452 Depth=2
	s_or_b32 exec_lo, exec_lo, s28
.LBB4_4375:                             ;   in Loop: Header=BB4_3452 Depth=2
	s_delay_alu instid0(SALU_CYCLE_1)
	s_or_b32 exec_lo, exec_lo, s11
.LBB4_4376:                             ;   in Loop: Header=BB4_3452 Depth=2
	s_delay_alu instid0(SALU_CYCLE_1) | instskip(NEXT) | instid1(VALU_DEP_1)
	s_or_b32 exec_lo, exec_lo, s10
	v_dual_add_f32 v17, v17, v2 :: v_dual_mov_b32 v21, v39
                                        ; implicit-def: $vgpr116
	s_mov_b32 s10, exec_lo
	s_delay_alu instid0(VALU_DEP_1) | instskip(SKIP_1) | instid1(VALU_DEP_2)
	v_and_b32_e32 v20, 0x7f800000, v17
	v_and_b32_e32 v38, 0x7fffff, v17
	v_cmpx_ne_u64_e32 0x7f800000, v[20:21]
	s_xor_b32 s11, exec_lo, s10
	s_cbranch_execz .LBB4_4394
; %bb.4377:                             ;   in Loop: Header=BB4_3452 Depth=2
	v_dual_mov_b32 v21, v39 :: v_dual_lshrrev_b32 v2, 24, v17
	v_and_b32_e32 v20, 0x7fffffff, v17
                                        ; implicit-def: $vgpr116
	s_mov_b32 s10, exec_lo
	s_delay_alu instid0(VALU_DEP_2) | instskip(NEXT) | instid1(VALU_DEP_2)
	v_and_b32_e32 v2, 0x80, v2
	v_cmpx_gt_u64_e32 0x47600001, v[20:21]
	s_xor_b32 s28, exec_lo, s10
	s_cbranch_execz .LBB4_4391
; %bb.4378:                             ;   in Loop: Header=BB4_3452 Depth=2
	v_mov_b32_e32 v116, 0
	s_mov_b32 s29, exec_lo
	v_cmpx_ne_u32_e32 0, v17
	s_cbranch_execz .LBB4_4390
; %bb.4379:                             ;   in Loop: Header=BB4_3452 Depth=2
	v_bfe_u32 v17, v17, 23, 8
	v_or_b32_e32 v31, 0x800000, v38
	s_delay_alu instid0(VALU_DEP_2) | instskip(SKIP_1) | instid1(VALU_DEP_2)
	v_dual_mov_b32 v115, v39 :: v_dual_sub_nc_u32 v20, 0x71, v17
	v_cmp_gt_u32_e32 vcc_lo, 0x72, v17
	v_cndmask_b32_e32 v20, 0, v20, vcc_lo
	v_cmp_eq_u32_e32 vcc_lo, 0, v17
	v_cndmask_b32_e32 v114, v31, v38, vcc_lo
	s_delay_alu instid0(VALU_DEP_3) | instskip(NEXT) | instid1(VALU_DEP_1)
	v_cndmask_b32_e64 v20, v20, 0x70, vcc_lo
	v_add_nc_u32_e32 v21, 21, v20
	s_delay_alu instid0(VALU_DEP_1) | instskip(SKIP_1) | instid1(VALU_DEP_1)
	v_lshlrev_b64_e64 v[24:25], v21, -1
	v_add_nc_u32_e32 v21, 20, v20
	v_lshlrev_b64_e64 v[116:117], v21, 1
	s_delay_alu instid0(VALU_DEP_3) | instskip(SKIP_2) | instid1(VALU_DEP_1)
	v_bfi_b32 v24, v24, 0, v114
	v_lshrrev_b64 v[114:115], v20, v[114:115]
	v_bfi_b32 v25, v25, 0, 0
	v_cmp_eq_u64_e64 s10, v[24:25], v[116:117]
	s_delay_alu instid0(VALU_DEP_3)
	v_mov_b64_e32 v[116:117], v[114:115]
	s_and_saveexec_b32 s40, s10
; %bb.4380:                             ;   in Loop: Header=BB4_3452 Depth=2
	v_bfe_u32 v24, v114, 21, 1
	v_mov_b32_e32 v25, v39
	s_delay_alu instid0(VALU_DEP_1) | instskip(NEXT) | instid1(VALU_DEP_1)
	v_add_nc_u64_e32 v[24:25], v[114:115], v[24:25]
	v_add_nc_u64_e32 v[116:117], -1, v[24:25]
; %bb.4381:                             ;   in Loop: Header=BB4_3452 Depth=2
	s_or_b32 exec_lo, exec_lo, s40
	v_add_nc_u32_e32 v17, 0xffffff81, v17
	s_delay_alu instid0(VALU_DEP_2) | instskip(SKIP_2) | instid1(VALU_DEP_3)
	v_and_b32_e32 v24, 0x1fffff, v116
	v_lshrrev_b32_e32 v21, 23, v114
	s_mov_b32 s10, exec_lo
	v_cndmask_b32_e64 v17, v17, 0xffffff82, vcc_lo
	s_delay_alu instid0(VALU_DEP_3) | instskip(NEXT) | instid1(VALU_DEP_2)
	v_add_nc_u32_e32 v38, v24, v114
                                        ; implicit-def: $vgpr114_vgpr115
	v_add3_u32 v20, v20, v17, v21
                                        ; implicit-def: $vgpr17
	s_delay_alu instid0(VALU_DEP_1) | instskip(NEXT) | instid1(VALU_DEP_1)
	v_add_nc_u32_e32 v21, 14, v20
	v_cmpx_ne_u32_e32 0, v21
	s_xor_b32 s10, exec_lo, s10
; %bb.4382:                             ;   in Loop: Header=BB4_3452 Depth=2
	v_cmp_lt_u64_e32 vcc_lo, 0xffffff, v[38:39]
	v_add_nc_u32_e32 v17, 15, v20
	v_cndmask_b32_e64 v20, 0, 1, vcc_lo
	s_delay_alu instid0(VALU_DEP_2) | instskip(NEXT) | instid1(VALU_DEP_2)
	v_cndmask_b32_e32 v17, v21, v17, vcc_lo
	v_lshrrev_b64 v[114:115], v20, v[38:39]
; %bb.4383:                             ;   in Loop: Header=BB4_3452 Depth=2
	s_and_not1_saveexec_b32 s10, s10
; %bb.4384:                             ;   in Loop: Header=BB4_3452 Depth=2
	v_mov_b64_e32 v[114:115], v[38:39]
	v_bfe_u32 v17, v38, 23, 1
; %bb.4385:                             ;   in Loop: Header=BB4_3452 Depth=2
	s_or_b32 exec_lo, exec_lo, s10
	s_delay_alu instid0(VALU_DEP_2) | instskip(NEXT) | instid1(VALU_DEP_2)
	v_lshrrev_b64 v[20:21], 21, v[114:115]
	v_cmp_gt_i32_e32 vcc_lo, 32, v17
	v_cmp_ne_u32_e64 s10, 0, v17
                                        ; implicit-def: $vgpr116
	s_delay_alu instid0(VALU_DEP_3) | instskip(NEXT) | instid1(VALU_DEP_1)
	v_dual_cndmask_b32 v115, 0, v21 :: v_dual_cndmask_b32 v114, 3, v20
	v_cmp_ne_u64_e32 vcc_lo, 0, v[114:115]
	s_or_b32 s10, s10, vcc_lo
	s_delay_alu instid0(SALU_CYCLE_1) | instskip(NEXT) | instid1(SALU_CYCLE_1)
	s_and_saveexec_b32 s40, s10
	s_xor_b32 s10, exec_lo, s40
; %bb.4386:                             ;   in Loop: Header=BB4_3452 Depth=2
	v_min_i32_e32 v17, 31, v17
	s_delay_alu instid0(VALU_DEP_1) | instskip(NEXT) | instid1(VALU_DEP_1)
	v_lshl_or_b32 v2, v17, 2, v2
	v_and_or_b32 v116, v114, 3, v2
                                        ; implicit-def: $vgpr2
; %bb.4387:                             ;   in Loop: Header=BB4_3452 Depth=2
	s_and_not1_saveexec_b32 s10, s10
; %bb.4388:                             ;   in Loop: Header=BB4_3452 Depth=2
	v_mov_b32_e32 v116, v2
; %bb.4389:                             ;   in Loop: Header=BB4_3452 Depth=2
	s_or_b32 exec_lo, exec_lo, s10
.LBB4_4390:                             ;   in Loop: Header=BB4_3452 Depth=2
	s_delay_alu instid0(SALU_CYCLE_1)
	s_or_b32 exec_lo, exec_lo, s29
                                        ; implicit-def: $vgpr2
.LBB4_4391:                             ;   in Loop: Header=BB4_3452 Depth=2
	s_and_not1_saveexec_b32 s10, s28
; %bb.4392:                             ;   in Loop: Header=BB4_3452 Depth=2
	v_or_b32_e32 v116, 0x7b, v2
; %bb.4393:                             ;   in Loop: Header=BB4_3452 Depth=2
	s_or_b32 exec_lo, exec_lo, s10
                                        ; implicit-def: $vgpr17
.LBB4_4394:                             ;   in Loop: Header=BB4_3452 Depth=2
	s_and_not1_saveexec_b32 s10, s11
	s_cbranch_execz .LBB4_4400
; %bb.4395:                             ;   in Loop: Header=BB4_3452 Depth=2
	s_mov_b32 s11, exec_lo
                                        ; implicit-def: $vgpr116
	v_cmpx_ne_u64_e32 0, v[38:39]
	s_xor_b32 s11, exec_lo, s11
; %bb.4396:                             ;   in Loop: Header=BB4_3452 Depth=2
	v_lshrrev_b32_e32 v2, 24, v17
                                        ; implicit-def: $vgpr17
	s_delay_alu instid0(VALU_DEP_1)
	v_or_b32_e32 v116, 0x7f, v2
; %bb.4397:                             ;   in Loop: Header=BB4_3452 Depth=2
	s_and_not1_saveexec_b32 s11, s11
; %bb.4398:                             ;   in Loop: Header=BB4_3452 Depth=2
	v_cmp_lt_i32_e32 vcc_lo, -1, v17
	v_cndmask_b32_e64 v116, -4, 0x7c, vcc_lo
; %bb.4399:                             ;   in Loop: Header=BB4_3452 Depth=2
	s_or_b32 exec_lo, exec_lo, s11
.LBB4_4400:                             ;   in Loop: Header=BB4_3452 Depth=2
	s_delay_alu instid0(SALU_CYCLE_1) | instskip(SKIP_3) | instid1(VALU_DEP_2)
	s_or_b32 exec_lo, exec_lo, s10
	v_and_b32_e32 v21, 0xff, v112
	v_dual_mov_b32 v2, 0 :: v_dual_mov_b32 v17, 0
	s_mov_b32 s10, exec_lo
	v_cmpx_ne_u16_e32 0, v21
	s_cbranch_execz .LBB4_4410
; %bb.4401:                             ;   in Loop: Header=BB4_3452 Depth=2
	v_bfrev_b32_e32 v17, 1
	s_mov_b32 s11, exec_lo
	v_cmpx_ne_u16_e32 0x80, v21
	s_cbranch_execz .LBB4_4409
; %bb.4402:                             ;   in Loop: Header=BB4_3452 Depth=2
	v_and_b32_e32 v17, 0x7c, v112
	v_and_b32_e32 v20, 3, v112
	s_delay_alu instid0(VALU_DEP_2) | instskip(SKIP_1) | instid1(SALU_CYCLE_1)
	v_cmp_ne_u32_e32 vcc_lo, 0x7c, v17
                                        ; implicit-def: $vgpr17
	s_and_saveexec_b32 s28, vcc_lo
	s_xor_b32 s28, exec_lo, s28
	s_cbranch_execz .LBB4_4406
; %bb.4403:                             ;   in Loop: Header=BB4_3452 Depth=2
	v_bfe_u32 v17, v21, 2, 5
	s_mov_b32 s29, exec_lo
	s_delay_alu instid0(VALU_DEP_1)
	v_cmpx_eq_u32_e32 0, v17
	s_cbranch_execz .LBB4_4405
; %bb.4404:                             ;   in Loop: Header=BB4_3452 Depth=2
	v_clz_i32_u32_e32 v17, v20
	s_delay_alu instid0(VALU_DEP_1) | instskip(SKIP_1) | instid1(VALU_DEP_2)
	v_min_u32_e32 v17, 32, v17
	v_mov_b32_e32 v113, v39
	v_subrev_nc_u32_e32 v20, 29, v17
	v_sub_nc_u32_e32 v17, 30, v17
	s_delay_alu instid0(VALU_DEP_2) | instskip(NEXT) | instid1(VALU_DEP_1)
	v_lshlrev_b64_e32 v[20:21], v20, v[112:113]
	v_and_b32_e32 v20, 3, v20
.LBB4_4405:                             ;   in Loop: Header=BB4_3452 Depth=2
	s_or_b32 exec_lo, exec_lo, s29
	v_lshlrev_b32_e32 v21, 24, v112
                                        ; implicit-def: $vgpr112
	s_delay_alu instid0(VALU_DEP_1) | instskip(NEXT) | instid1(VALU_DEP_1)
	v_and_b32_e32 v21, 0x80000000, v21
	v_lshl_add_u32 v17, v17, 23, v21
	s_delay_alu instid0(VALU_DEP_1) | instskip(NEXT) | instid1(VALU_DEP_1)
	v_lshl_or_b32 v17, v20, 21, v17
                                        ; implicit-def: $vgpr20
	v_add_nc_u32_e32 v17, 0x38000000, v17
.LBB4_4406:                             ;   in Loop: Header=BB4_3452 Depth=2
	s_and_not1_saveexec_b32 s28, s28
; %bb.4407:                             ;   in Loop: Header=BB4_3452 Depth=2
	v_bfe_i32 v17, v112, 0, 8
	s_delay_alu instid0(VALU_DEP_1) | instskip(SKIP_2) | instid1(VALU_DEP_2)
	v_cmp_lt_i16_e32 vcc_lo, -1, v17
	v_cndmask_b32_e32 v17, 0xff800000, v126, vcc_lo
	v_cmp_eq_u32_e32 vcc_lo, 0, v20
	v_cndmask_b32_e32 v17, 0x7f800001, v17, vcc_lo
; %bb.4408:                             ;   in Loop: Header=BB4_3452 Depth=2
	s_or_b32 exec_lo, exec_lo, s28
.LBB4_4409:                             ;   in Loop: Header=BB4_3452 Depth=2
	s_delay_alu instid0(SALU_CYCLE_1)
	s_or_b32 exec_lo, exec_lo, s11
.LBB4_4410:                             ;   in Loop: Header=BB4_3452 Depth=2
	s_delay_alu instid0(SALU_CYCLE_1) | instskip(NEXT) | instid1(SALU_CYCLE_1)
	s_or_b32 exec_lo, exec_lo, s10
	s_mov_b32 s10, exec_lo
	s_wait_loadcnt_dscnt 0x606
	v_cmpx_ne_u16_e32 0, v76
	s_cbranch_execz .LBB4_4420
; %bb.4411:                             ;   in Loop: Header=BB4_3452 Depth=2
	v_bfrev_b32_e32 v2, 1
	s_mov_b32 s11, exec_lo
	v_cmpx_ne_u16_e32 0xff80, v76
	s_cbranch_execz .LBB4_4419
; %bb.4412:                             ;   in Loop: Header=BB4_3452 Depth=2
	v_and_b32_e32 v2, 0x7c, v76
	v_and_b32_e32 v20, 3, v76
	s_delay_alu instid0(VALU_DEP_2) | instskip(SKIP_1) | instid1(SALU_CYCLE_1)
	v_cmp_ne_u32_e32 vcc_lo, 0x7c, v2
                                        ; implicit-def: $vgpr2
	s_and_saveexec_b32 s28, vcc_lo
	s_xor_b32 s28, exec_lo, s28
	s_cbranch_execz .LBB4_4416
; %bb.4413:                             ;   in Loop: Header=BB4_3452 Depth=2
	v_and_b32_e32 v2, 0xff, v76
	s_mov_b32 s29, exec_lo
	s_delay_alu instid0(VALU_DEP_1) | instskip(NEXT) | instid1(VALU_DEP_1)
	v_bfe_u32 v2, v2, 2, 5
	v_cmpx_eq_u32_e32 0, v2
	s_cbranch_execz .LBB4_4415
; %bb.4414:                             ;   in Loop: Header=BB4_3452 Depth=2
	v_clz_i32_u32_e32 v2, v20
	s_delay_alu instid0(VALU_DEP_1) | instskip(SKIP_1) | instid1(VALU_DEP_2)
	v_min_u32_e32 v2, 32, v2
	v_mov_b32_e32 v77, v39
	v_subrev_nc_u32_e32 v20, 29, v2
	v_sub_nc_u32_e32 v2, 30, v2
	s_delay_alu instid0(VALU_DEP_2) | instskip(NEXT) | instid1(VALU_DEP_1)
	v_lshlrev_b64_e32 v[20:21], v20, v[76:77]
	v_and_b32_e32 v20, 3, v20
.LBB4_4415:                             ;   in Loop: Header=BB4_3452 Depth=2
	s_or_b32 exec_lo, exec_lo, s29
	v_bfe_i32 v21, v76, 0, 16
                                        ; implicit-def: $vgpr76
	s_delay_alu instid0(VALU_DEP_1) | instskip(NEXT) | instid1(VALU_DEP_1)
	v_and_b32_e32 v21, 0x80000000, v21
	v_lshl_add_u32 v2, v2, 23, v21
	s_delay_alu instid0(VALU_DEP_1) | instskip(NEXT) | instid1(VALU_DEP_1)
	v_lshl_or_b32 v2, v20, 21, v2
                                        ; implicit-def: $vgpr20
	v_add_nc_u32_e32 v2, 0x38000000, v2
.LBB4_4416:                             ;   in Loop: Header=BB4_3452 Depth=2
	s_and_not1_saveexec_b32 s28, s28
; %bb.4417:                             ;   in Loop: Header=BB4_3452 Depth=2
	v_cmp_lt_i16_e32 vcc_lo, -1, v76
	v_cndmask_b32_e32 v2, 0xff800000, v126, vcc_lo
	v_cmp_eq_u32_e32 vcc_lo, 0, v20
	s_delay_alu instid0(VALU_DEP_2)
	v_cndmask_b32_e32 v2, 0x7f800001, v2, vcc_lo
; %bb.4418:                             ;   in Loop: Header=BB4_3452 Depth=2
	s_or_b32 exec_lo, exec_lo, s28
.LBB4_4419:                             ;   in Loop: Header=BB4_3452 Depth=2
	s_delay_alu instid0(SALU_CYCLE_1)
	s_or_b32 exec_lo, exec_lo, s11
.LBB4_4420:                             ;   in Loop: Header=BB4_3452 Depth=2
	s_delay_alu instid0(SALU_CYCLE_1) | instskip(NEXT) | instid1(VALU_DEP_1)
	s_or_b32 exec_lo, exec_lo, s10
	v_dual_add_f32 v17, v17, v2 :: v_dual_mov_b32 v21, v39
                                        ; implicit-def: $vgpr114
	s_mov_b32 s10, exec_lo
	s_delay_alu instid0(VALU_DEP_1) | instskip(SKIP_1) | instid1(VALU_DEP_2)
	v_and_b32_e32 v20, 0x7f800000, v17
	v_and_b32_e32 v38, 0x7fffff, v17
	v_cmpx_ne_u64_e32 0x7f800000, v[20:21]
	s_xor_b32 s11, exec_lo, s10
	s_cbranch_execz .LBB4_4438
; %bb.4421:                             ;   in Loop: Header=BB4_3452 Depth=2
	v_dual_mov_b32 v21, v39 :: v_dual_lshrrev_b32 v2, 24, v17
	v_and_b32_e32 v20, 0x7fffffff, v17
                                        ; implicit-def: $vgpr114
	s_mov_b32 s10, exec_lo
	s_delay_alu instid0(VALU_DEP_2) | instskip(NEXT) | instid1(VALU_DEP_2)
	v_and_b32_e32 v2, 0x80, v2
	v_cmpx_gt_u64_e32 0x47600001, v[20:21]
	s_xor_b32 s28, exec_lo, s10
	s_cbranch_execz .LBB4_4435
; %bb.4422:                             ;   in Loop: Header=BB4_3452 Depth=2
	v_mov_b32_e32 v114, 0
	s_mov_b32 s29, exec_lo
	v_cmpx_ne_u32_e32 0, v17
	s_cbranch_execz .LBB4_4434
; %bb.4423:                             ;   in Loop: Header=BB4_3452 Depth=2
	v_bfe_u32 v17, v17, 23, 8
	v_or_b32_e32 v31, 0x800000, v38
	s_delay_alu instid0(VALU_DEP_2) | instskip(SKIP_1) | instid1(VALU_DEP_2)
	v_dual_mov_b32 v113, v39 :: v_dual_sub_nc_u32 v20, 0x71, v17
	v_cmp_gt_u32_e32 vcc_lo, 0x72, v17
	v_cndmask_b32_e32 v20, 0, v20, vcc_lo
	v_cmp_eq_u32_e32 vcc_lo, 0, v17
	v_cndmask_b32_e32 v112, v31, v38, vcc_lo
	s_delay_alu instid0(VALU_DEP_3) | instskip(NEXT) | instid1(VALU_DEP_1)
	v_cndmask_b32_e64 v20, v20, 0x70, vcc_lo
	v_add_nc_u32_e32 v21, 21, v20
	s_delay_alu instid0(VALU_DEP_1) | instskip(SKIP_1) | instid1(VALU_DEP_1)
	v_lshlrev_b64_e64 v[24:25], v21, -1
	v_add_nc_u32_e32 v21, 20, v20
	v_lshlrev_b64_e64 v[114:115], v21, 1
	s_delay_alu instid0(VALU_DEP_3) | instskip(SKIP_2) | instid1(VALU_DEP_1)
	v_bfi_b32 v24, v24, 0, v112
	v_lshrrev_b64 v[112:113], v20, v[112:113]
	v_bfi_b32 v25, v25, 0, 0
	v_cmp_eq_u64_e64 s10, v[24:25], v[114:115]
	s_delay_alu instid0(VALU_DEP_3)
	v_mov_b64_e32 v[114:115], v[112:113]
	s_and_saveexec_b32 s40, s10
; %bb.4424:                             ;   in Loop: Header=BB4_3452 Depth=2
	v_bfe_u32 v24, v112, 21, 1
	v_mov_b32_e32 v25, v39
	s_delay_alu instid0(VALU_DEP_1) | instskip(NEXT) | instid1(VALU_DEP_1)
	v_add_nc_u64_e32 v[24:25], v[112:113], v[24:25]
	v_add_nc_u64_e32 v[114:115], -1, v[24:25]
; %bb.4425:                             ;   in Loop: Header=BB4_3452 Depth=2
	s_or_b32 exec_lo, exec_lo, s40
	v_add_nc_u32_e32 v17, 0xffffff81, v17
	s_delay_alu instid0(VALU_DEP_2) | instskip(SKIP_2) | instid1(VALU_DEP_3)
	v_and_b32_e32 v24, 0x1fffff, v114
	v_lshrrev_b32_e32 v21, 23, v112
	s_mov_b32 s10, exec_lo
	v_cndmask_b32_e64 v17, v17, 0xffffff82, vcc_lo
	s_delay_alu instid0(VALU_DEP_3) | instskip(NEXT) | instid1(VALU_DEP_2)
	v_add_nc_u32_e32 v38, v24, v112
                                        ; implicit-def: $vgpr112_vgpr113
	v_add3_u32 v20, v20, v17, v21
                                        ; implicit-def: $vgpr17
	s_delay_alu instid0(VALU_DEP_1) | instskip(NEXT) | instid1(VALU_DEP_1)
	v_add_nc_u32_e32 v21, 14, v20
	v_cmpx_ne_u32_e32 0, v21
	s_xor_b32 s10, exec_lo, s10
; %bb.4426:                             ;   in Loop: Header=BB4_3452 Depth=2
	v_cmp_lt_u64_e32 vcc_lo, 0xffffff, v[38:39]
	v_add_nc_u32_e32 v17, 15, v20
	v_cndmask_b32_e64 v20, 0, 1, vcc_lo
	s_delay_alu instid0(VALU_DEP_2) | instskip(NEXT) | instid1(VALU_DEP_2)
	v_cndmask_b32_e32 v17, v21, v17, vcc_lo
	v_lshrrev_b64 v[112:113], v20, v[38:39]
; %bb.4427:                             ;   in Loop: Header=BB4_3452 Depth=2
	s_and_not1_saveexec_b32 s10, s10
; %bb.4428:                             ;   in Loop: Header=BB4_3452 Depth=2
	v_mov_b64_e32 v[112:113], v[38:39]
	v_bfe_u32 v17, v38, 23, 1
; %bb.4429:                             ;   in Loop: Header=BB4_3452 Depth=2
	s_or_b32 exec_lo, exec_lo, s10
	s_delay_alu instid0(VALU_DEP_2) | instskip(NEXT) | instid1(VALU_DEP_2)
	v_lshrrev_b64 v[20:21], 21, v[112:113]
	v_cmp_gt_i32_e32 vcc_lo, 32, v17
	v_cmp_ne_u32_e64 s10, 0, v17
                                        ; implicit-def: $vgpr114
	s_delay_alu instid0(VALU_DEP_3) | instskip(NEXT) | instid1(VALU_DEP_1)
	v_dual_cndmask_b32 v113, 0, v21 :: v_dual_cndmask_b32 v112, 3, v20
	v_cmp_ne_u64_e32 vcc_lo, 0, v[112:113]
	s_or_b32 s10, s10, vcc_lo
	s_delay_alu instid0(SALU_CYCLE_1) | instskip(NEXT) | instid1(SALU_CYCLE_1)
	s_and_saveexec_b32 s40, s10
	s_xor_b32 s10, exec_lo, s40
; %bb.4430:                             ;   in Loop: Header=BB4_3452 Depth=2
	v_min_i32_e32 v17, 31, v17
	s_delay_alu instid0(VALU_DEP_1) | instskip(NEXT) | instid1(VALU_DEP_1)
	v_lshl_or_b32 v2, v17, 2, v2
	v_and_or_b32 v114, v112, 3, v2
                                        ; implicit-def: $vgpr2
; %bb.4431:                             ;   in Loop: Header=BB4_3452 Depth=2
	s_and_not1_saveexec_b32 s10, s10
; %bb.4432:                             ;   in Loop: Header=BB4_3452 Depth=2
	v_mov_b32_e32 v114, v2
; %bb.4433:                             ;   in Loop: Header=BB4_3452 Depth=2
	s_or_b32 exec_lo, exec_lo, s10
.LBB4_4434:                             ;   in Loop: Header=BB4_3452 Depth=2
	s_delay_alu instid0(SALU_CYCLE_1)
	s_or_b32 exec_lo, exec_lo, s29
                                        ; implicit-def: $vgpr2
.LBB4_4435:                             ;   in Loop: Header=BB4_3452 Depth=2
	s_and_not1_saveexec_b32 s10, s28
; %bb.4436:                             ;   in Loop: Header=BB4_3452 Depth=2
	v_or_b32_e32 v114, 0x7b, v2
; %bb.4437:                             ;   in Loop: Header=BB4_3452 Depth=2
	s_or_b32 exec_lo, exec_lo, s10
                                        ; implicit-def: $vgpr17
.LBB4_4438:                             ;   in Loop: Header=BB4_3452 Depth=2
	s_and_not1_saveexec_b32 s10, s11
	s_cbranch_execz .LBB4_4444
; %bb.4439:                             ;   in Loop: Header=BB4_3452 Depth=2
	s_mov_b32 s11, exec_lo
                                        ; implicit-def: $vgpr114
	v_cmpx_ne_u64_e32 0, v[38:39]
	s_xor_b32 s11, exec_lo, s11
; %bb.4440:                             ;   in Loop: Header=BB4_3452 Depth=2
	v_lshrrev_b32_e32 v2, 24, v17
                                        ; implicit-def: $vgpr17
	s_delay_alu instid0(VALU_DEP_1)
	v_or_b32_e32 v114, 0x7f, v2
; %bb.4441:                             ;   in Loop: Header=BB4_3452 Depth=2
	s_and_not1_saveexec_b32 s11, s11
; %bb.4442:                             ;   in Loop: Header=BB4_3452 Depth=2
	v_cmp_lt_i32_e32 vcc_lo, -1, v17
	v_cndmask_b32_e64 v114, -4, 0x7c, vcc_lo
; %bb.4443:                             ;   in Loop: Header=BB4_3452 Depth=2
	s_or_b32 exec_lo, exec_lo, s11
.LBB4_4444:                             ;   in Loop: Header=BB4_3452 Depth=2
	s_delay_alu instid0(SALU_CYCLE_1) | instskip(SKIP_3) | instid1(VALU_DEP_2)
	s_or_b32 exec_lo, exec_lo, s10
	v_and_b32_e32 v21, 0xff, v100
	v_dual_mov_b32 v2, 0 :: v_dual_mov_b32 v17, 0
	s_mov_b32 s10, exec_lo
	v_cmpx_ne_u16_e32 0, v21
	s_cbranch_execz .LBB4_4454
; %bb.4445:                             ;   in Loop: Header=BB4_3452 Depth=2
	v_bfrev_b32_e32 v17, 1
	s_mov_b32 s11, exec_lo
	v_cmpx_ne_u16_e32 0x80, v21
	s_cbranch_execz .LBB4_4453
; %bb.4446:                             ;   in Loop: Header=BB4_3452 Depth=2
	v_and_b32_e32 v17, 0x7c, v100
	v_and_b32_e32 v20, 3, v100
	s_delay_alu instid0(VALU_DEP_2) | instskip(SKIP_1) | instid1(SALU_CYCLE_1)
	v_cmp_ne_u32_e32 vcc_lo, 0x7c, v17
                                        ; implicit-def: $vgpr17
	s_and_saveexec_b32 s28, vcc_lo
	s_xor_b32 s28, exec_lo, s28
	s_cbranch_execz .LBB4_4450
; %bb.4447:                             ;   in Loop: Header=BB4_3452 Depth=2
	v_bfe_u32 v17, v21, 2, 5
	s_mov_b32 s29, exec_lo
	s_delay_alu instid0(VALU_DEP_1)
	v_cmpx_eq_u32_e32 0, v17
	s_cbranch_execz .LBB4_4449
; %bb.4448:                             ;   in Loop: Header=BB4_3452 Depth=2
	v_clz_i32_u32_e32 v17, v20
	s_delay_alu instid0(VALU_DEP_1) | instskip(SKIP_1) | instid1(VALU_DEP_2)
	v_min_u32_e32 v17, 32, v17
	v_mov_b32_e32 v101, v39
	v_subrev_nc_u32_e32 v20, 29, v17
	v_sub_nc_u32_e32 v17, 30, v17
	s_delay_alu instid0(VALU_DEP_2) | instskip(NEXT) | instid1(VALU_DEP_1)
	v_lshlrev_b64_e32 v[20:21], v20, v[100:101]
	v_and_b32_e32 v20, 3, v20
.LBB4_4449:                             ;   in Loop: Header=BB4_3452 Depth=2
	s_or_b32 exec_lo, exec_lo, s29
	v_lshlrev_b32_e32 v21, 24, v100
                                        ; implicit-def: $vgpr100
	s_delay_alu instid0(VALU_DEP_1) | instskip(NEXT) | instid1(VALU_DEP_1)
	v_and_b32_e32 v21, 0x80000000, v21
	v_lshl_add_u32 v17, v17, 23, v21
	s_delay_alu instid0(VALU_DEP_1) | instskip(NEXT) | instid1(VALU_DEP_1)
	v_lshl_or_b32 v17, v20, 21, v17
                                        ; implicit-def: $vgpr20
	v_add_nc_u32_e32 v17, 0x38000000, v17
.LBB4_4450:                             ;   in Loop: Header=BB4_3452 Depth=2
	s_and_not1_saveexec_b32 s28, s28
; %bb.4451:                             ;   in Loop: Header=BB4_3452 Depth=2
	v_bfe_i32 v17, v100, 0, 8
	s_delay_alu instid0(VALU_DEP_1) | instskip(SKIP_2) | instid1(VALU_DEP_2)
	v_cmp_lt_i16_e32 vcc_lo, -1, v17
	v_cndmask_b32_e32 v17, 0xff800000, v126, vcc_lo
	v_cmp_eq_u32_e32 vcc_lo, 0, v20
	v_cndmask_b32_e32 v17, 0x7f800001, v17, vcc_lo
; %bb.4452:                             ;   in Loop: Header=BB4_3452 Depth=2
	s_or_b32 exec_lo, exec_lo, s28
.LBB4_4453:                             ;   in Loop: Header=BB4_3452 Depth=2
	s_delay_alu instid0(SALU_CYCLE_1)
	s_or_b32 exec_lo, exec_lo, s11
.LBB4_4454:                             ;   in Loop: Header=BB4_3452 Depth=2
	s_delay_alu instid0(SALU_CYCLE_1) | instskip(NEXT) | instid1(SALU_CYCLE_1)
	s_or_b32 exec_lo, exec_lo, s10
	s_mov_b32 s10, exec_lo
	s_wait_loadcnt_dscnt 0x505
	v_cmpx_ne_u16_e32 0, v74
	s_cbranch_execz .LBB4_4464
; %bb.4455:                             ;   in Loop: Header=BB4_3452 Depth=2
	v_bfrev_b32_e32 v2, 1
	s_mov_b32 s11, exec_lo
	v_cmpx_ne_u16_e32 0xff80, v74
	s_cbranch_execz .LBB4_4463
; %bb.4456:                             ;   in Loop: Header=BB4_3452 Depth=2
	v_and_b32_e32 v2, 0x7c, v74
	v_and_b32_e32 v20, 3, v74
	s_delay_alu instid0(VALU_DEP_2) | instskip(SKIP_1) | instid1(SALU_CYCLE_1)
	v_cmp_ne_u32_e32 vcc_lo, 0x7c, v2
                                        ; implicit-def: $vgpr2
	s_and_saveexec_b32 s28, vcc_lo
	s_xor_b32 s28, exec_lo, s28
	s_cbranch_execz .LBB4_4460
; %bb.4457:                             ;   in Loop: Header=BB4_3452 Depth=2
	v_and_b32_e32 v2, 0xff, v74
	s_mov_b32 s29, exec_lo
	s_delay_alu instid0(VALU_DEP_1) | instskip(NEXT) | instid1(VALU_DEP_1)
	v_bfe_u32 v2, v2, 2, 5
	v_cmpx_eq_u32_e32 0, v2
	s_cbranch_execz .LBB4_4459
; %bb.4458:                             ;   in Loop: Header=BB4_3452 Depth=2
	v_clz_i32_u32_e32 v2, v20
	s_delay_alu instid0(VALU_DEP_1) | instskip(SKIP_1) | instid1(VALU_DEP_2)
	v_min_u32_e32 v2, 32, v2
	v_mov_b32_e32 v75, v39
	v_subrev_nc_u32_e32 v20, 29, v2
	v_sub_nc_u32_e32 v2, 30, v2
	s_delay_alu instid0(VALU_DEP_2) | instskip(NEXT) | instid1(VALU_DEP_1)
	v_lshlrev_b64_e32 v[20:21], v20, v[74:75]
	v_and_b32_e32 v20, 3, v20
.LBB4_4459:                             ;   in Loop: Header=BB4_3452 Depth=2
	s_or_b32 exec_lo, exec_lo, s29
	v_bfe_i32 v21, v74, 0, 16
                                        ; implicit-def: $vgpr74
	s_delay_alu instid0(VALU_DEP_1) | instskip(NEXT) | instid1(VALU_DEP_1)
	v_and_b32_e32 v21, 0x80000000, v21
	v_lshl_add_u32 v2, v2, 23, v21
	s_delay_alu instid0(VALU_DEP_1) | instskip(NEXT) | instid1(VALU_DEP_1)
	v_lshl_or_b32 v2, v20, 21, v2
                                        ; implicit-def: $vgpr20
	v_add_nc_u32_e32 v2, 0x38000000, v2
.LBB4_4460:                             ;   in Loop: Header=BB4_3452 Depth=2
	s_and_not1_saveexec_b32 s28, s28
; %bb.4461:                             ;   in Loop: Header=BB4_3452 Depth=2
	v_cmp_lt_i16_e32 vcc_lo, -1, v74
	v_cndmask_b32_e32 v2, 0xff800000, v126, vcc_lo
	v_cmp_eq_u32_e32 vcc_lo, 0, v20
	s_delay_alu instid0(VALU_DEP_2)
	v_cndmask_b32_e32 v2, 0x7f800001, v2, vcc_lo
; %bb.4462:                             ;   in Loop: Header=BB4_3452 Depth=2
	s_or_b32 exec_lo, exec_lo, s28
.LBB4_4463:                             ;   in Loop: Header=BB4_3452 Depth=2
	s_delay_alu instid0(SALU_CYCLE_1)
	s_or_b32 exec_lo, exec_lo, s11
.LBB4_4464:                             ;   in Loop: Header=BB4_3452 Depth=2
	s_delay_alu instid0(SALU_CYCLE_1) | instskip(NEXT) | instid1(VALU_DEP_1)
	s_or_b32 exec_lo, exec_lo, s10
	v_dual_add_f32 v17, v17, v2 :: v_dual_mov_b32 v21, v39
                                        ; implicit-def: $vgpr112
	s_mov_b32 s10, exec_lo
	s_delay_alu instid0(VALU_DEP_1) | instskip(SKIP_1) | instid1(VALU_DEP_2)
	v_and_b32_e32 v20, 0x7f800000, v17
	v_and_b32_e32 v38, 0x7fffff, v17
	v_cmpx_ne_u64_e32 0x7f800000, v[20:21]
	s_xor_b32 s11, exec_lo, s10
	s_cbranch_execz .LBB4_4482
; %bb.4465:                             ;   in Loop: Header=BB4_3452 Depth=2
	v_dual_mov_b32 v21, v39 :: v_dual_lshrrev_b32 v2, 24, v17
	v_and_b32_e32 v20, 0x7fffffff, v17
                                        ; implicit-def: $vgpr112
	s_mov_b32 s10, exec_lo
	s_delay_alu instid0(VALU_DEP_2) | instskip(NEXT) | instid1(VALU_DEP_2)
	v_and_b32_e32 v2, 0x80, v2
	v_cmpx_gt_u64_e32 0x47600001, v[20:21]
	s_xor_b32 s28, exec_lo, s10
	s_cbranch_execz .LBB4_4479
; %bb.4466:                             ;   in Loop: Header=BB4_3452 Depth=2
	v_mov_b32_e32 v112, 0
	s_mov_b32 s29, exec_lo
	v_cmpx_ne_u32_e32 0, v17
	s_cbranch_execz .LBB4_4478
; %bb.4467:                             ;   in Loop: Header=BB4_3452 Depth=2
	v_bfe_u32 v17, v17, 23, 8
	v_or_b32_e32 v31, 0x800000, v38
	s_delay_alu instid0(VALU_DEP_2) | instskip(SKIP_1) | instid1(VALU_DEP_2)
	v_dual_mov_b32 v101, v39 :: v_dual_sub_nc_u32 v20, 0x71, v17
	v_cmp_gt_u32_e32 vcc_lo, 0x72, v17
	v_cndmask_b32_e32 v20, 0, v20, vcc_lo
	v_cmp_eq_u32_e32 vcc_lo, 0, v17
	v_cndmask_b32_e32 v100, v31, v38, vcc_lo
	s_delay_alu instid0(VALU_DEP_3) | instskip(NEXT) | instid1(VALU_DEP_1)
	v_cndmask_b32_e64 v20, v20, 0x70, vcc_lo
	v_add_nc_u32_e32 v21, 21, v20
	s_delay_alu instid0(VALU_DEP_1) | instskip(SKIP_1) | instid1(VALU_DEP_1)
	v_lshlrev_b64_e64 v[24:25], v21, -1
	v_add_nc_u32_e32 v21, 20, v20
	v_lshlrev_b64_e64 v[112:113], v21, 1
	s_delay_alu instid0(VALU_DEP_3) | instskip(SKIP_2) | instid1(VALU_DEP_1)
	v_bfi_b32 v24, v24, 0, v100
	v_lshrrev_b64 v[100:101], v20, v[100:101]
	v_bfi_b32 v25, v25, 0, 0
	v_cmp_eq_u64_e64 s10, v[24:25], v[112:113]
	s_delay_alu instid0(VALU_DEP_3)
	v_mov_b64_e32 v[112:113], v[100:101]
	s_and_saveexec_b32 s40, s10
; %bb.4468:                             ;   in Loop: Header=BB4_3452 Depth=2
	v_bfe_u32 v24, v100, 21, 1
	v_mov_b32_e32 v25, v39
	s_delay_alu instid0(VALU_DEP_1) | instskip(NEXT) | instid1(VALU_DEP_1)
	v_add_nc_u64_e32 v[24:25], v[100:101], v[24:25]
	v_add_nc_u64_e32 v[112:113], -1, v[24:25]
; %bb.4469:                             ;   in Loop: Header=BB4_3452 Depth=2
	s_or_b32 exec_lo, exec_lo, s40
	v_add_nc_u32_e32 v17, 0xffffff81, v17
	s_delay_alu instid0(VALU_DEP_2) | instskip(SKIP_2) | instid1(VALU_DEP_3)
	v_and_b32_e32 v24, 0x1fffff, v112
	v_lshrrev_b32_e32 v21, 23, v100
	s_mov_b32 s10, exec_lo
	v_cndmask_b32_e64 v17, v17, 0xffffff82, vcc_lo
	s_delay_alu instid0(VALU_DEP_3) | instskip(NEXT) | instid1(VALU_DEP_2)
	v_add_nc_u32_e32 v38, v24, v100
                                        ; implicit-def: $vgpr100_vgpr101
	v_add3_u32 v20, v20, v17, v21
                                        ; implicit-def: $vgpr17
	s_delay_alu instid0(VALU_DEP_1) | instskip(NEXT) | instid1(VALU_DEP_1)
	v_add_nc_u32_e32 v21, 14, v20
	v_cmpx_ne_u32_e32 0, v21
	s_xor_b32 s10, exec_lo, s10
; %bb.4470:                             ;   in Loop: Header=BB4_3452 Depth=2
	v_cmp_lt_u64_e32 vcc_lo, 0xffffff, v[38:39]
	v_add_nc_u32_e32 v17, 15, v20
	v_cndmask_b32_e64 v20, 0, 1, vcc_lo
	s_delay_alu instid0(VALU_DEP_2) | instskip(NEXT) | instid1(VALU_DEP_2)
	v_cndmask_b32_e32 v17, v21, v17, vcc_lo
	v_lshrrev_b64 v[100:101], v20, v[38:39]
; %bb.4471:                             ;   in Loop: Header=BB4_3452 Depth=2
	s_and_not1_saveexec_b32 s10, s10
; %bb.4472:                             ;   in Loop: Header=BB4_3452 Depth=2
	v_mov_b64_e32 v[100:101], v[38:39]
	v_bfe_u32 v17, v38, 23, 1
; %bb.4473:                             ;   in Loop: Header=BB4_3452 Depth=2
	s_or_b32 exec_lo, exec_lo, s10
	s_delay_alu instid0(VALU_DEP_2) | instskip(NEXT) | instid1(VALU_DEP_2)
	v_lshrrev_b64 v[20:21], 21, v[100:101]
	v_cmp_gt_i32_e32 vcc_lo, 32, v17
	v_cmp_ne_u32_e64 s10, 0, v17
                                        ; implicit-def: $vgpr112
	s_delay_alu instid0(VALU_DEP_3) | instskip(NEXT) | instid1(VALU_DEP_1)
	v_dual_cndmask_b32 v101, 0, v21 :: v_dual_cndmask_b32 v100, 3, v20
	v_cmp_ne_u64_e32 vcc_lo, 0, v[100:101]
	s_or_b32 s10, s10, vcc_lo
	s_delay_alu instid0(SALU_CYCLE_1) | instskip(NEXT) | instid1(SALU_CYCLE_1)
	s_and_saveexec_b32 s40, s10
	s_xor_b32 s10, exec_lo, s40
; %bb.4474:                             ;   in Loop: Header=BB4_3452 Depth=2
	v_min_i32_e32 v17, 31, v17
	s_delay_alu instid0(VALU_DEP_1) | instskip(NEXT) | instid1(VALU_DEP_1)
	v_lshl_or_b32 v2, v17, 2, v2
	v_and_or_b32 v112, v100, 3, v2
                                        ; implicit-def: $vgpr2
; %bb.4475:                             ;   in Loop: Header=BB4_3452 Depth=2
	s_and_not1_saveexec_b32 s10, s10
; %bb.4476:                             ;   in Loop: Header=BB4_3452 Depth=2
	v_mov_b32_e32 v112, v2
; %bb.4477:                             ;   in Loop: Header=BB4_3452 Depth=2
	s_or_b32 exec_lo, exec_lo, s10
.LBB4_4478:                             ;   in Loop: Header=BB4_3452 Depth=2
	s_delay_alu instid0(SALU_CYCLE_1)
	s_or_b32 exec_lo, exec_lo, s29
                                        ; implicit-def: $vgpr2
.LBB4_4479:                             ;   in Loop: Header=BB4_3452 Depth=2
	s_and_not1_saveexec_b32 s10, s28
; %bb.4480:                             ;   in Loop: Header=BB4_3452 Depth=2
	v_or_b32_e32 v112, 0x7b, v2
; %bb.4481:                             ;   in Loop: Header=BB4_3452 Depth=2
	s_or_b32 exec_lo, exec_lo, s10
                                        ; implicit-def: $vgpr17
.LBB4_4482:                             ;   in Loop: Header=BB4_3452 Depth=2
	s_and_not1_saveexec_b32 s10, s11
	s_cbranch_execz .LBB4_4488
; %bb.4483:                             ;   in Loop: Header=BB4_3452 Depth=2
	s_mov_b32 s11, exec_lo
                                        ; implicit-def: $vgpr112
	v_cmpx_ne_u64_e32 0, v[38:39]
	s_xor_b32 s11, exec_lo, s11
; %bb.4484:                             ;   in Loop: Header=BB4_3452 Depth=2
	v_lshrrev_b32_e32 v2, 24, v17
                                        ; implicit-def: $vgpr17
	s_delay_alu instid0(VALU_DEP_1)
	v_or_b32_e32 v112, 0x7f, v2
; %bb.4485:                             ;   in Loop: Header=BB4_3452 Depth=2
	s_and_not1_saveexec_b32 s11, s11
; %bb.4486:                             ;   in Loop: Header=BB4_3452 Depth=2
	v_cmp_lt_i32_e32 vcc_lo, -1, v17
	v_cndmask_b32_e64 v112, -4, 0x7c, vcc_lo
; %bb.4487:                             ;   in Loop: Header=BB4_3452 Depth=2
	s_or_b32 exec_lo, exec_lo, s11
.LBB4_4488:                             ;   in Loop: Header=BB4_3452 Depth=2
	s_delay_alu instid0(SALU_CYCLE_1) | instskip(SKIP_3) | instid1(VALU_DEP_2)
	s_or_b32 exec_lo, exec_lo, s10
	v_and_b32_e32 v21, 0xff, v98
	v_dual_mov_b32 v2, 0 :: v_dual_mov_b32 v17, 0
	s_mov_b32 s10, exec_lo
	v_cmpx_ne_u16_e32 0, v21
	s_cbranch_execz .LBB4_4498
; %bb.4489:                             ;   in Loop: Header=BB4_3452 Depth=2
	v_bfrev_b32_e32 v17, 1
	s_mov_b32 s11, exec_lo
	v_cmpx_ne_u16_e32 0x80, v21
	s_cbranch_execz .LBB4_4497
; %bb.4490:                             ;   in Loop: Header=BB4_3452 Depth=2
	v_and_b32_e32 v17, 0x7c, v98
	v_and_b32_e32 v20, 3, v98
	s_delay_alu instid0(VALU_DEP_2) | instskip(SKIP_1) | instid1(SALU_CYCLE_1)
	v_cmp_ne_u32_e32 vcc_lo, 0x7c, v17
                                        ; implicit-def: $vgpr17
	s_and_saveexec_b32 s28, vcc_lo
	s_xor_b32 s28, exec_lo, s28
	s_cbranch_execz .LBB4_4494
; %bb.4491:                             ;   in Loop: Header=BB4_3452 Depth=2
	v_bfe_u32 v17, v21, 2, 5
	s_mov_b32 s29, exec_lo
	s_delay_alu instid0(VALU_DEP_1)
	v_cmpx_eq_u32_e32 0, v17
	s_cbranch_execz .LBB4_4493
; %bb.4492:                             ;   in Loop: Header=BB4_3452 Depth=2
	v_clz_i32_u32_e32 v17, v20
	s_delay_alu instid0(VALU_DEP_1) | instskip(SKIP_1) | instid1(VALU_DEP_2)
	v_min_u32_e32 v17, 32, v17
	v_mov_b32_e32 v99, v39
	v_subrev_nc_u32_e32 v20, 29, v17
	v_sub_nc_u32_e32 v17, 30, v17
	s_delay_alu instid0(VALU_DEP_2) | instskip(NEXT) | instid1(VALU_DEP_1)
	v_lshlrev_b64_e32 v[20:21], v20, v[98:99]
	v_and_b32_e32 v20, 3, v20
.LBB4_4493:                             ;   in Loop: Header=BB4_3452 Depth=2
	s_or_b32 exec_lo, exec_lo, s29
	v_lshlrev_b32_e32 v21, 24, v98
                                        ; implicit-def: $vgpr98
	s_delay_alu instid0(VALU_DEP_1) | instskip(NEXT) | instid1(VALU_DEP_1)
	v_and_b32_e32 v21, 0x80000000, v21
	v_lshl_add_u32 v17, v17, 23, v21
	s_delay_alu instid0(VALU_DEP_1) | instskip(NEXT) | instid1(VALU_DEP_1)
	v_lshl_or_b32 v17, v20, 21, v17
                                        ; implicit-def: $vgpr20
	v_add_nc_u32_e32 v17, 0x38000000, v17
.LBB4_4494:                             ;   in Loop: Header=BB4_3452 Depth=2
	s_and_not1_saveexec_b32 s28, s28
; %bb.4495:                             ;   in Loop: Header=BB4_3452 Depth=2
	v_bfe_i32 v17, v98, 0, 8
	s_delay_alu instid0(VALU_DEP_1) | instskip(SKIP_2) | instid1(VALU_DEP_2)
	v_cmp_lt_i16_e32 vcc_lo, -1, v17
	v_cndmask_b32_e32 v17, 0xff800000, v126, vcc_lo
	v_cmp_eq_u32_e32 vcc_lo, 0, v20
	v_cndmask_b32_e32 v17, 0x7f800001, v17, vcc_lo
; %bb.4496:                             ;   in Loop: Header=BB4_3452 Depth=2
	s_or_b32 exec_lo, exec_lo, s28
.LBB4_4497:                             ;   in Loop: Header=BB4_3452 Depth=2
	s_delay_alu instid0(SALU_CYCLE_1)
	s_or_b32 exec_lo, exec_lo, s11
.LBB4_4498:                             ;   in Loop: Header=BB4_3452 Depth=2
	s_delay_alu instid0(SALU_CYCLE_1) | instskip(NEXT) | instid1(SALU_CYCLE_1)
	s_or_b32 exec_lo, exec_lo, s10
	s_mov_b32 s10, exec_lo
	s_wait_loadcnt_dscnt 0x404
	v_cmpx_ne_u16_e32 0, v72
	s_cbranch_execz .LBB4_4508
; %bb.4499:                             ;   in Loop: Header=BB4_3452 Depth=2
	v_bfrev_b32_e32 v2, 1
	s_mov_b32 s11, exec_lo
	v_cmpx_ne_u16_e32 0xff80, v72
	s_cbranch_execz .LBB4_4507
; %bb.4500:                             ;   in Loop: Header=BB4_3452 Depth=2
	v_and_b32_e32 v2, 0x7c, v72
	v_and_b32_e32 v20, 3, v72
	s_delay_alu instid0(VALU_DEP_2) | instskip(SKIP_1) | instid1(SALU_CYCLE_1)
	v_cmp_ne_u32_e32 vcc_lo, 0x7c, v2
                                        ; implicit-def: $vgpr2
	s_and_saveexec_b32 s28, vcc_lo
	s_xor_b32 s28, exec_lo, s28
	s_cbranch_execz .LBB4_4504
; %bb.4501:                             ;   in Loop: Header=BB4_3452 Depth=2
	v_and_b32_e32 v2, 0xff, v72
	s_mov_b32 s29, exec_lo
	s_delay_alu instid0(VALU_DEP_1) | instskip(NEXT) | instid1(VALU_DEP_1)
	v_bfe_u32 v2, v2, 2, 5
	v_cmpx_eq_u32_e32 0, v2
	s_cbranch_execz .LBB4_4503
; %bb.4502:                             ;   in Loop: Header=BB4_3452 Depth=2
	v_clz_i32_u32_e32 v2, v20
	s_delay_alu instid0(VALU_DEP_1) | instskip(SKIP_1) | instid1(VALU_DEP_2)
	v_min_u32_e32 v2, 32, v2
	v_mov_b32_e32 v73, v39
	v_subrev_nc_u32_e32 v20, 29, v2
	v_sub_nc_u32_e32 v2, 30, v2
	s_delay_alu instid0(VALU_DEP_2) | instskip(NEXT) | instid1(VALU_DEP_1)
	v_lshlrev_b64_e32 v[20:21], v20, v[72:73]
	v_and_b32_e32 v20, 3, v20
.LBB4_4503:                             ;   in Loop: Header=BB4_3452 Depth=2
	s_or_b32 exec_lo, exec_lo, s29
	v_bfe_i32 v21, v72, 0, 16
                                        ; implicit-def: $vgpr72
	s_delay_alu instid0(VALU_DEP_1) | instskip(NEXT) | instid1(VALU_DEP_1)
	v_and_b32_e32 v21, 0x80000000, v21
	v_lshl_add_u32 v2, v2, 23, v21
	s_delay_alu instid0(VALU_DEP_1) | instskip(NEXT) | instid1(VALU_DEP_1)
	v_lshl_or_b32 v2, v20, 21, v2
                                        ; implicit-def: $vgpr20
	v_add_nc_u32_e32 v2, 0x38000000, v2
.LBB4_4504:                             ;   in Loop: Header=BB4_3452 Depth=2
	s_and_not1_saveexec_b32 s28, s28
; %bb.4505:                             ;   in Loop: Header=BB4_3452 Depth=2
	v_cmp_lt_i16_e32 vcc_lo, -1, v72
	v_cndmask_b32_e32 v2, 0xff800000, v126, vcc_lo
	v_cmp_eq_u32_e32 vcc_lo, 0, v20
	s_delay_alu instid0(VALU_DEP_2)
	v_cndmask_b32_e32 v2, 0x7f800001, v2, vcc_lo
; %bb.4506:                             ;   in Loop: Header=BB4_3452 Depth=2
	s_or_b32 exec_lo, exec_lo, s28
.LBB4_4507:                             ;   in Loop: Header=BB4_3452 Depth=2
	s_delay_alu instid0(SALU_CYCLE_1)
	s_or_b32 exec_lo, exec_lo, s11
.LBB4_4508:                             ;   in Loop: Header=BB4_3452 Depth=2
	s_delay_alu instid0(SALU_CYCLE_1) | instskip(NEXT) | instid1(VALU_DEP_1)
	s_or_b32 exec_lo, exec_lo, s10
	v_dual_add_f32 v17, v17, v2 :: v_dual_mov_b32 v21, v39
                                        ; implicit-def: $vgpr100
	s_mov_b32 s10, exec_lo
	s_delay_alu instid0(VALU_DEP_1) | instskip(SKIP_1) | instid1(VALU_DEP_2)
	v_and_b32_e32 v20, 0x7f800000, v17
	v_and_b32_e32 v38, 0x7fffff, v17
	v_cmpx_ne_u64_e32 0x7f800000, v[20:21]
	s_xor_b32 s11, exec_lo, s10
	s_cbranch_execz .LBB4_4526
; %bb.4509:                             ;   in Loop: Header=BB4_3452 Depth=2
	v_dual_mov_b32 v21, v39 :: v_dual_lshrrev_b32 v2, 24, v17
	v_and_b32_e32 v20, 0x7fffffff, v17
                                        ; implicit-def: $vgpr100
	s_mov_b32 s10, exec_lo
	s_delay_alu instid0(VALU_DEP_2) | instskip(NEXT) | instid1(VALU_DEP_2)
	v_and_b32_e32 v2, 0x80, v2
	v_cmpx_gt_u64_e32 0x47600001, v[20:21]
	s_xor_b32 s28, exec_lo, s10
	s_cbranch_execz .LBB4_4523
; %bb.4510:                             ;   in Loop: Header=BB4_3452 Depth=2
	v_mov_b32_e32 v100, 0
	s_mov_b32 s29, exec_lo
	v_cmpx_ne_u32_e32 0, v17
	s_cbranch_execz .LBB4_4522
; %bb.4511:                             ;   in Loop: Header=BB4_3452 Depth=2
	v_bfe_u32 v17, v17, 23, 8
	v_or_b32_e32 v31, 0x800000, v38
	s_delay_alu instid0(VALU_DEP_2) | instskip(SKIP_1) | instid1(VALU_DEP_2)
	v_dual_mov_b32 v99, v39 :: v_dual_sub_nc_u32 v20, 0x71, v17
	v_cmp_gt_u32_e32 vcc_lo, 0x72, v17
	v_cndmask_b32_e32 v20, 0, v20, vcc_lo
	v_cmp_eq_u32_e32 vcc_lo, 0, v17
	v_cndmask_b32_e32 v98, v31, v38, vcc_lo
	s_delay_alu instid0(VALU_DEP_3) | instskip(NEXT) | instid1(VALU_DEP_1)
	v_cndmask_b32_e64 v20, v20, 0x70, vcc_lo
	v_add_nc_u32_e32 v21, 21, v20
	s_delay_alu instid0(VALU_DEP_1) | instskip(SKIP_1) | instid1(VALU_DEP_1)
	v_lshlrev_b64_e64 v[24:25], v21, -1
	v_add_nc_u32_e32 v21, 20, v20
	v_lshlrev_b64_e64 v[100:101], v21, 1
	s_delay_alu instid0(VALU_DEP_3) | instskip(SKIP_2) | instid1(VALU_DEP_1)
	v_bfi_b32 v24, v24, 0, v98
	v_lshrrev_b64 v[98:99], v20, v[98:99]
	v_bfi_b32 v25, v25, 0, 0
	v_cmp_eq_u64_e64 s10, v[24:25], v[100:101]
	s_delay_alu instid0(VALU_DEP_3)
	v_mov_b64_e32 v[100:101], v[98:99]
	s_and_saveexec_b32 s40, s10
; %bb.4512:                             ;   in Loop: Header=BB4_3452 Depth=2
	v_bfe_u32 v24, v98, 21, 1
	v_mov_b32_e32 v25, v39
	s_delay_alu instid0(VALU_DEP_1) | instskip(NEXT) | instid1(VALU_DEP_1)
	v_add_nc_u64_e32 v[24:25], v[98:99], v[24:25]
	v_add_nc_u64_e32 v[100:101], -1, v[24:25]
; %bb.4513:                             ;   in Loop: Header=BB4_3452 Depth=2
	s_or_b32 exec_lo, exec_lo, s40
	v_add_nc_u32_e32 v17, 0xffffff81, v17
	s_delay_alu instid0(VALU_DEP_2) | instskip(SKIP_2) | instid1(VALU_DEP_3)
	v_and_b32_e32 v24, 0x1fffff, v100
	v_lshrrev_b32_e32 v21, 23, v98
	s_mov_b32 s10, exec_lo
	v_cndmask_b32_e64 v17, v17, 0xffffff82, vcc_lo
	s_delay_alu instid0(VALU_DEP_3) | instskip(NEXT) | instid1(VALU_DEP_2)
	v_add_nc_u32_e32 v38, v24, v98
                                        ; implicit-def: $vgpr98_vgpr99
	v_add3_u32 v20, v20, v17, v21
                                        ; implicit-def: $vgpr17
	s_delay_alu instid0(VALU_DEP_1) | instskip(NEXT) | instid1(VALU_DEP_1)
	v_add_nc_u32_e32 v21, 14, v20
	v_cmpx_ne_u32_e32 0, v21
	s_xor_b32 s10, exec_lo, s10
; %bb.4514:                             ;   in Loop: Header=BB4_3452 Depth=2
	v_cmp_lt_u64_e32 vcc_lo, 0xffffff, v[38:39]
	v_add_nc_u32_e32 v17, 15, v20
	v_cndmask_b32_e64 v20, 0, 1, vcc_lo
	s_delay_alu instid0(VALU_DEP_2) | instskip(NEXT) | instid1(VALU_DEP_2)
	v_cndmask_b32_e32 v17, v21, v17, vcc_lo
	v_lshrrev_b64 v[98:99], v20, v[38:39]
; %bb.4515:                             ;   in Loop: Header=BB4_3452 Depth=2
	s_and_not1_saveexec_b32 s10, s10
; %bb.4516:                             ;   in Loop: Header=BB4_3452 Depth=2
	v_mov_b64_e32 v[98:99], v[38:39]
	v_bfe_u32 v17, v38, 23, 1
; %bb.4517:                             ;   in Loop: Header=BB4_3452 Depth=2
	s_or_b32 exec_lo, exec_lo, s10
	s_delay_alu instid0(VALU_DEP_2) | instskip(NEXT) | instid1(VALU_DEP_2)
	v_lshrrev_b64 v[20:21], 21, v[98:99]
	v_cmp_gt_i32_e32 vcc_lo, 32, v17
	v_cmp_ne_u32_e64 s10, 0, v17
                                        ; implicit-def: $vgpr100
	s_delay_alu instid0(VALU_DEP_3) | instskip(NEXT) | instid1(VALU_DEP_1)
	v_dual_cndmask_b32 v99, 0, v21 :: v_dual_cndmask_b32 v98, 3, v20
	v_cmp_ne_u64_e32 vcc_lo, 0, v[98:99]
	s_or_b32 s10, s10, vcc_lo
	s_delay_alu instid0(SALU_CYCLE_1) | instskip(NEXT) | instid1(SALU_CYCLE_1)
	s_and_saveexec_b32 s40, s10
	s_xor_b32 s10, exec_lo, s40
; %bb.4518:                             ;   in Loop: Header=BB4_3452 Depth=2
	v_min_i32_e32 v17, 31, v17
	s_delay_alu instid0(VALU_DEP_1) | instskip(NEXT) | instid1(VALU_DEP_1)
	v_lshl_or_b32 v2, v17, 2, v2
	v_and_or_b32 v100, v98, 3, v2
                                        ; implicit-def: $vgpr2
; %bb.4519:                             ;   in Loop: Header=BB4_3452 Depth=2
	s_and_not1_saveexec_b32 s10, s10
; %bb.4520:                             ;   in Loop: Header=BB4_3452 Depth=2
	v_mov_b32_e32 v100, v2
; %bb.4521:                             ;   in Loop: Header=BB4_3452 Depth=2
	s_or_b32 exec_lo, exec_lo, s10
.LBB4_4522:                             ;   in Loop: Header=BB4_3452 Depth=2
	s_delay_alu instid0(SALU_CYCLE_1)
	s_or_b32 exec_lo, exec_lo, s29
                                        ; implicit-def: $vgpr2
.LBB4_4523:                             ;   in Loop: Header=BB4_3452 Depth=2
	s_and_not1_saveexec_b32 s10, s28
; %bb.4524:                             ;   in Loop: Header=BB4_3452 Depth=2
	v_or_b32_e32 v100, 0x7b, v2
; %bb.4525:                             ;   in Loop: Header=BB4_3452 Depth=2
	s_or_b32 exec_lo, exec_lo, s10
                                        ; implicit-def: $vgpr17
.LBB4_4526:                             ;   in Loop: Header=BB4_3452 Depth=2
	s_and_not1_saveexec_b32 s10, s11
	s_cbranch_execz .LBB4_4532
; %bb.4527:                             ;   in Loop: Header=BB4_3452 Depth=2
	s_mov_b32 s11, exec_lo
                                        ; implicit-def: $vgpr100
	v_cmpx_ne_u64_e32 0, v[38:39]
	s_xor_b32 s11, exec_lo, s11
; %bb.4528:                             ;   in Loop: Header=BB4_3452 Depth=2
	v_lshrrev_b32_e32 v2, 24, v17
                                        ; implicit-def: $vgpr17
	s_delay_alu instid0(VALU_DEP_1)
	v_or_b32_e32 v100, 0x7f, v2
; %bb.4529:                             ;   in Loop: Header=BB4_3452 Depth=2
	s_and_not1_saveexec_b32 s11, s11
; %bb.4530:                             ;   in Loop: Header=BB4_3452 Depth=2
	v_cmp_lt_i32_e32 vcc_lo, -1, v17
	v_cndmask_b32_e64 v100, -4, 0x7c, vcc_lo
; %bb.4531:                             ;   in Loop: Header=BB4_3452 Depth=2
	s_or_b32 exec_lo, exec_lo, s11
.LBB4_4532:                             ;   in Loop: Header=BB4_3452 Depth=2
	s_delay_alu instid0(SALU_CYCLE_1) | instskip(SKIP_3) | instid1(VALU_DEP_2)
	s_or_b32 exec_lo, exec_lo, s10
	v_and_b32_e32 v21, 0xff, v96
	v_dual_mov_b32 v2, 0 :: v_dual_mov_b32 v17, 0
	s_mov_b32 s10, exec_lo
	v_cmpx_ne_u16_e32 0, v21
	s_cbranch_execz .LBB4_4542
; %bb.4533:                             ;   in Loop: Header=BB4_3452 Depth=2
	v_bfrev_b32_e32 v17, 1
	s_mov_b32 s11, exec_lo
	v_cmpx_ne_u16_e32 0x80, v21
	s_cbranch_execz .LBB4_4541
; %bb.4534:                             ;   in Loop: Header=BB4_3452 Depth=2
	v_and_b32_e32 v17, 0x7c, v96
	v_and_b32_e32 v20, 3, v96
	s_delay_alu instid0(VALU_DEP_2) | instskip(SKIP_1) | instid1(SALU_CYCLE_1)
	v_cmp_ne_u32_e32 vcc_lo, 0x7c, v17
                                        ; implicit-def: $vgpr17
	s_and_saveexec_b32 s28, vcc_lo
	s_xor_b32 s28, exec_lo, s28
	s_cbranch_execz .LBB4_4538
; %bb.4535:                             ;   in Loop: Header=BB4_3452 Depth=2
	v_bfe_u32 v17, v21, 2, 5
	s_mov_b32 s29, exec_lo
	s_delay_alu instid0(VALU_DEP_1)
	v_cmpx_eq_u32_e32 0, v17
	s_cbranch_execz .LBB4_4537
; %bb.4536:                             ;   in Loop: Header=BB4_3452 Depth=2
	v_clz_i32_u32_e32 v17, v20
	s_delay_alu instid0(VALU_DEP_1) | instskip(SKIP_1) | instid1(VALU_DEP_2)
	v_min_u32_e32 v17, 32, v17
	v_mov_b32_e32 v97, v39
	v_subrev_nc_u32_e32 v20, 29, v17
	v_sub_nc_u32_e32 v17, 30, v17
	s_delay_alu instid0(VALU_DEP_2) | instskip(NEXT) | instid1(VALU_DEP_1)
	v_lshlrev_b64_e32 v[20:21], v20, v[96:97]
	v_and_b32_e32 v20, 3, v20
.LBB4_4537:                             ;   in Loop: Header=BB4_3452 Depth=2
	s_or_b32 exec_lo, exec_lo, s29
	v_lshlrev_b32_e32 v21, 24, v96
                                        ; implicit-def: $vgpr96
	s_delay_alu instid0(VALU_DEP_1) | instskip(NEXT) | instid1(VALU_DEP_1)
	v_and_b32_e32 v21, 0x80000000, v21
	v_lshl_add_u32 v17, v17, 23, v21
	s_delay_alu instid0(VALU_DEP_1) | instskip(NEXT) | instid1(VALU_DEP_1)
	v_lshl_or_b32 v17, v20, 21, v17
                                        ; implicit-def: $vgpr20
	v_add_nc_u32_e32 v17, 0x38000000, v17
.LBB4_4538:                             ;   in Loop: Header=BB4_3452 Depth=2
	s_and_not1_saveexec_b32 s28, s28
; %bb.4539:                             ;   in Loop: Header=BB4_3452 Depth=2
	v_bfe_i32 v17, v96, 0, 8
	s_delay_alu instid0(VALU_DEP_1) | instskip(SKIP_2) | instid1(VALU_DEP_2)
	v_cmp_lt_i16_e32 vcc_lo, -1, v17
	v_cndmask_b32_e32 v17, 0xff800000, v126, vcc_lo
	v_cmp_eq_u32_e32 vcc_lo, 0, v20
	v_cndmask_b32_e32 v17, 0x7f800001, v17, vcc_lo
; %bb.4540:                             ;   in Loop: Header=BB4_3452 Depth=2
	s_or_b32 exec_lo, exec_lo, s28
.LBB4_4541:                             ;   in Loop: Header=BB4_3452 Depth=2
	s_delay_alu instid0(SALU_CYCLE_1)
	s_or_b32 exec_lo, exec_lo, s11
.LBB4_4542:                             ;   in Loop: Header=BB4_3452 Depth=2
	s_delay_alu instid0(SALU_CYCLE_1) | instskip(NEXT) | instid1(SALU_CYCLE_1)
	s_or_b32 exec_lo, exec_lo, s10
	s_mov_b32 s10, exec_lo
	s_wait_loadcnt_dscnt 0x303
	v_cmpx_ne_u16_e32 0, v60
	s_cbranch_execz .LBB4_4552
; %bb.4543:                             ;   in Loop: Header=BB4_3452 Depth=2
	v_bfrev_b32_e32 v2, 1
	s_mov_b32 s11, exec_lo
	v_cmpx_ne_u16_e32 0xff80, v60
	s_cbranch_execz .LBB4_4551
; %bb.4544:                             ;   in Loop: Header=BB4_3452 Depth=2
	v_and_b32_e32 v2, 0x7c, v60
	v_and_b32_e32 v20, 3, v60
	s_delay_alu instid0(VALU_DEP_2) | instskip(SKIP_1) | instid1(SALU_CYCLE_1)
	v_cmp_ne_u32_e32 vcc_lo, 0x7c, v2
                                        ; implicit-def: $vgpr2
	s_and_saveexec_b32 s28, vcc_lo
	s_xor_b32 s28, exec_lo, s28
	s_cbranch_execz .LBB4_4548
; %bb.4545:                             ;   in Loop: Header=BB4_3452 Depth=2
	v_and_b32_e32 v2, 0xff, v60
	s_mov_b32 s29, exec_lo
	s_delay_alu instid0(VALU_DEP_1) | instskip(NEXT) | instid1(VALU_DEP_1)
	v_bfe_u32 v2, v2, 2, 5
	v_cmpx_eq_u32_e32 0, v2
	s_cbranch_execz .LBB4_4547
; %bb.4546:                             ;   in Loop: Header=BB4_3452 Depth=2
	v_clz_i32_u32_e32 v2, v20
	s_delay_alu instid0(VALU_DEP_1) | instskip(SKIP_1) | instid1(VALU_DEP_2)
	v_min_u32_e32 v2, 32, v2
	v_mov_b32_e32 v61, v39
	v_subrev_nc_u32_e32 v20, 29, v2
	v_sub_nc_u32_e32 v2, 30, v2
	s_delay_alu instid0(VALU_DEP_2) | instskip(NEXT) | instid1(VALU_DEP_1)
	v_lshlrev_b64_e32 v[20:21], v20, v[60:61]
	v_and_b32_e32 v20, 3, v20
.LBB4_4547:                             ;   in Loop: Header=BB4_3452 Depth=2
	s_or_b32 exec_lo, exec_lo, s29
	v_bfe_i32 v21, v60, 0, 16
                                        ; implicit-def: $vgpr60
	s_delay_alu instid0(VALU_DEP_1) | instskip(NEXT) | instid1(VALU_DEP_1)
	v_and_b32_e32 v21, 0x80000000, v21
	v_lshl_add_u32 v2, v2, 23, v21
	s_delay_alu instid0(VALU_DEP_1) | instskip(NEXT) | instid1(VALU_DEP_1)
	v_lshl_or_b32 v2, v20, 21, v2
                                        ; implicit-def: $vgpr20
	v_add_nc_u32_e32 v2, 0x38000000, v2
.LBB4_4548:                             ;   in Loop: Header=BB4_3452 Depth=2
	s_and_not1_saveexec_b32 s28, s28
; %bb.4549:                             ;   in Loop: Header=BB4_3452 Depth=2
	v_cmp_lt_i16_e32 vcc_lo, -1, v60
	v_cndmask_b32_e32 v2, 0xff800000, v126, vcc_lo
	v_cmp_eq_u32_e32 vcc_lo, 0, v20
	s_delay_alu instid0(VALU_DEP_2)
	v_cndmask_b32_e32 v2, 0x7f800001, v2, vcc_lo
; %bb.4550:                             ;   in Loop: Header=BB4_3452 Depth=2
	s_or_b32 exec_lo, exec_lo, s28
.LBB4_4551:                             ;   in Loop: Header=BB4_3452 Depth=2
	s_delay_alu instid0(SALU_CYCLE_1)
	s_or_b32 exec_lo, exec_lo, s11
.LBB4_4552:                             ;   in Loop: Header=BB4_3452 Depth=2
	s_delay_alu instid0(SALU_CYCLE_1) | instskip(NEXT) | instid1(VALU_DEP_1)
	s_or_b32 exec_lo, exec_lo, s10
	v_dual_add_f32 v17, v17, v2 :: v_dual_mov_b32 v21, v39
                                        ; implicit-def: $vgpr98
	s_mov_b32 s10, exec_lo
	s_delay_alu instid0(VALU_DEP_1) | instskip(SKIP_1) | instid1(VALU_DEP_2)
	v_and_b32_e32 v20, 0x7f800000, v17
	v_and_b32_e32 v38, 0x7fffff, v17
	v_cmpx_ne_u64_e32 0x7f800000, v[20:21]
	s_xor_b32 s11, exec_lo, s10
	s_cbranch_execz .LBB4_4570
; %bb.4553:                             ;   in Loop: Header=BB4_3452 Depth=2
	v_dual_mov_b32 v21, v39 :: v_dual_lshrrev_b32 v2, 24, v17
	v_and_b32_e32 v20, 0x7fffffff, v17
                                        ; implicit-def: $vgpr98
	s_mov_b32 s10, exec_lo
	s_delay_alu instid0(VALU_DEP_2) | instskip(NEXT) | instid1(VALU_DEP_2)
	v_and_b32_e32 v2, 0x80, v2
	v_cmpx_gt_u64_e32 0x47600001, v[20:21]
	s_xor_b32 s28, exec_lo, s10
	s_cbranch_execz .LBB4_4567
; %bb.4554:                             ;   in Loop: Header=BB4_3452 Depth=2
	v_mov_b32_e32 v98, 0
	s_mov_b32 s29, exec_lo
	v_cmpx_ne_u32_e32 0, v17
	s_cbranch_execz .LBB4_4566
; %bb.4555:                             ;   in Loop: Header=BB4_3452 Depth=2
	v_bfe_u32 v17, v17, 23, 8
	v_or_b32_e32 v31, 0x800000, v38
	s_delay_alu instid0(VALU_DEP_2) | instskip(SKIP_1) | instid1(VALU_DEP_2)
	v_dual_mov_b32 v97, v39 :: v_dual_sub_nc_u32 v20, 0x71, v17
	v_cmp_gt_u32_e32 vcc_lo, 0x72, v17
	v_cndmask_b32_e32 v20, 0, v20, vcc_lo
	v_cmp_eq_u32_e32 vcc_lo, 0, v17
	v_cndmask_b32_e32 v96, v31, v38, vcc_lo
	s_delay_alu instid0(VALU_DEP_3) | instskip(NEXT) | instid1(VALU_DEP_1)
	v_cndmask_b32_e64 v20, v20, 0x70, vcc_lo
	v_add_nc_u32_e32 v21, 21, v20
	s_delay_alu instid0(VALU_DEP_1) | instskip(SKIP_1) | instid1(VALU_DEP_1)
	v_lshlrev_b64_e64 v[24:25], v21, -1
	v_add_nc_u32_e32 v21, 20, v20
	v_lshlrev_b64_e64 v[98:99], v21, 1
	s_delay_alu instid0(VALU_DEP_3) | instskip(SKIP_2) | instid1(VALU_DEP_1)
	v_bfi_b32 v24, v24, 0, v96
	v_lshrrev_b64 v[96:97], v20, v[96:97]
	v_bfi_b32 v25, v25, 0, 0
	v_cmp_eq_u64_e64 s10, v[24:25], v[98:99]
	s_delay_alu instid0(VALU_DEP_3)
	v_mov_b64_e32 v[98:99], v[96:97]
	s_and_saveexec_b32 s40, s10
; %bb.4556:                             ;   in Loop: Header=BB4_3452 Depth=2
	v_bfe_u32 v24, v96, 21, 1
	v_mov_b32_e32 v25, v39
	s_delay_alu instid0(VALU_DEP_1) | instskip(NEXT) | instid1(VALU_DEP_1)
	v_add_nc_u64_e32 v[24:25], v[96:97], v[24:25]
	v_add_nc_u64_e32 v[98:99], -1, v[24:25]
; %bb.4557:                             ;   in Loop: Header=BB4_3452 Depth=2
	s_or_b32 exec_lo, exec_lo, s40
	v_add_nc_u32_e32 v17, 0xffffff81, v17
	s_delay_alu instid0(VALU_DEP_2) | instskip(SKIP_2) | instid1(VALU_DEP_3)
	v_and_b32_e32 v24, 0x1fffff, v98
	v_lshrrev_b32_e32 v21, 23, v96
	s_mov_b32 s10, exec_lo
	v_cndmask_b32_e64 v17, v17, 0xffffff82, vcc_lo
	s_delay_alu instid0(VALU_DEP_3) | instskip(NEXT) | instid1(VALU_DEP_2)
	v_add_nc_u32_e32 v38, v24, v96
                                        ; implicit-def: $vgpr96_vgpr97
	v_add3_u32 v20, v20, v17, v21
                                        ; implicit-def: $vgpr17
	s_delay_alu instid0(VALU_DEP_1) | instskip(NEXT) | instid1(VALU_DEP_1)
	v_add_nc_u32_e32 v21, 14, v20
	v_cmpx_ne_u32_e32 0, v21
	s_xor_b32 s10, exec_lo, s10
; %bb.4558:                             ;   in Loop: Header=BB4_3452 Depth=2
	v_cmp_lt_u64_e32 vcc_lo, 0xffffff, v[38:39]
	v_add_nc_u32_e32 v17, 15, v20
	v_cndmask_b32_e64 v20, 0, 1, vcc_lo
	s_delay_alu instid0(VALU_DEP_2) | instskip(NEXT) | instid1(VALU_DEP_2)
	v_cndmask_b32_e32 v17, v21, v17, vcc_lo
	v_lshrrev_b64 v[96:97], v20, v[38:39]
; %bb.4559:                             ;   in Loop: Header=BB4_3452 Depth=2
	s_and_not1_saveexec_b32 s10, s10
; %bb.4560:                             ;   in Loop: Header=BB4_3452 Depth=2
	v_mov_b64_e32 v[96:97], v[38:39]
	v_bfe_u32 v17, v38, 23, 1
; %bb.4561:                             ;   in Loop: Header=BB4_3452 Depth=2
	s_or_b32 exec_lo, exec_lo, s10
	s_delay_alu instid0(VALU_DEP_2) | instskip(NEXT) | instid1(VALU_DEP_2)
	v_lshrrev_b64 v[20:21], 21, v[96:97]
	v_cmp_gt_i32_e32 vcc_lo, 32, v17
	v_cmp_ne_u32_e64 s10, 0, v17
                                        ; implicit-def: $vgpr98
	s_delay_alu instid0(VALU_DEP_3) | instskip(NEXT) | instid1(VALU_DEP_1)
	v_dual_cndmask_b32 v97, 0, v21 :: v_dual_cndmask_b32 v96, 3, v20
	v_cmp_ne_u64_e32 vcc_lo, 0, v[96:97]
	s_or_b32 s10, s10, vcc_lo
	s_delay_alu instid0(SALU_CYCLE_1) | instskip(NEXT) | instid1(SALU_CYCLE_1)
	s_and_saveexec_b32 s40, s10
	s_xor_b32 s10, exec_lo, s40
; %bb.4562:                             ;   in Loop: Header=BB4_3452 Depth=2
	v_min_i32_e32 v17, 31, v17
	s_delay_alu instid0(VALU_DEP_1) | instskip(NEXT) | instid1(VALU_DEP_1)
	v_lshl_or_b32 v2, v17, 2, v2
	v_and_or_b32 v98, v96, 3, v2
                                        ; implicit-def: $vgpr2
; %bb.4563:                             ;   in Loop: Header=BB4_3452 Depth=2
	s_and_not1_saveexec_b32 s10, s10
; %bb.4564:                             ;   in Loop: Header=BB4_3452 Depth=2
	v_mov_b32_e32 v98, v2
; %bb.4565:                             ;   in Loop: Header=BB4_3452 Depth=2
	s_or_b32 exec_lo, exec_lo, s10
.LBB4_4566:                             ;   in Loop: Header=BB4_3452 Depth=2
	s_delay_alu instid0(SALU_CYCLE_1)
	s_or_b32 exec_lo, exec_lo, s29
                                        ; implicit-def: $vgpr2
.LBB4_4567:                             ;   in Loop: Header=BB4_3452 Depth=2
	s_and_not1_saveexec_b32 s10, s28
; %bb.4568:                             ;   in Loop: Header=BB4_3452 Depth=2
	v_or_b32_e32 v98, 0x7b, v2
; %bb.4569:                             ;   in Loop: Header=BB4_3452 Depth=2
	s_or_b32 exec_lo, exec_lo, s10
                                        ; implicit-def: $vgpr17
.LBB4_4570:                             ;   in Loop: Header=BB4_3452 Depth=2
	s_and_not1_saveexec_b32 s10, s11
	s_cbranch_execz .LBB4_4576
; %bb.4571:                             ;   in Loop: Header=BB4_3452 Depth=2
	s_mov_b32 s11, exec_lo
                                        ; implicit-def: $vgpr98
	v_cmpx_ne_u64_e32 0, v[38:39]
	s_xor_b32 s11, exec_lo, s11
; %bb.4572:                             ;   in Loop: Header=BB4_3452 Depth=2
	v_lshrrev_b32_e32 v2, 24, v17
                                        ; implicit-def: $vgpr17
	s_delay_alu instid0(VALU_DEP_1)
	v_or_b32_e32 v98, 0x7f, v2
; %bb.4573:                             ;   in Loop: Header=BB4_3452 Depth=2
	s_and_not1_saveexec_b32 s11, s11
; %bb.4574:                             ;   in Loop: Header=BB4_3452 Depth=2
	v_cmp_lt_i32_e32 vcc_lo, -1, v17
	v_cndmask_b32_e64 v98, -4, 0x7c, vcc_lo
; %bb.4575:                             ;   in Loop: Header=BB4_3452 Depth=2
	s_or_b32 exec_lo, exec_lo, s11
.LBB4_4576:                             ;   in Loop: Header=BB4_3452 Depth=2
	s_delay_alu instid0(SALU_CYCLE_1) | instskip(SKIP_3) | instid1(VALU_DEP_2)
	s_or_b32 exec_lo, exec_lo, s10
	v_and_b32_e32 v21, 0xff, v86
	v_dual_mov_b32 v2, 0 :: v_dual_mov_b32 v17, 0
	s_mov_b32 s10, exec_lo
	v_cmpx_ne_u16_e32 0, v21
	s_cbranch_execz .LBB4_4586
; %bb.4577:                             ;   in Loop: Header=BB4_3452 Depth=2
	v_bfrev_b32_e32 v17, 1
	s_mov_b32 s11, exec_lo
	v_cmpx_ne_u16_e32 0x80, v21
	s_cbranch_execz .LBB4_4585
; %bb.4578:                             ;   in Loop: Header=BB4_3452 Depth=2
	v_and_b32_e32 v17, 0x7c, v86
	v_and_b32_e32 v20, 3, v86
	s_delay_alu instid0(VALU_DEP_2) | instskip(SKIP_1) | instid1(SALU_CYCLE_1)
	v_cmp_ne_u32_e32 vcc_lo, 0x7c, v17
                                        ; implicit-def: $vgpr17
	s_and_saveexec_b32 s28, vcc_lo
	s_xor_b32 s28, exec_lo, s28
	s_cbranch_execz .LBB4_4582
; %bb.4579:                             ;   in Loop: Header=BB4_3452 Depth=2
	v_bfe_u32 v17, v21, 2, 5
	s_mov_b32 s29, exec_lo
	s_delay_alu instid0(VALU_DEP_1)
	v_cmpx_eq_u32_e32 0, v17
	s_cbranch_execz .LBB4_4581
; %bb.4580:                             ;   in Loop: Header=BB4_3452 Depth=2
	v_clz_i32_u32_e32 v17, v20
	s_delay_alu instid0(VALU_DEP_1) | instskip(SKIP_1) | instid1(VALU_DEP_2)
	v_min_u32_e32 v17, 32, v17
	v_mov_b32_e32 v87, v39
	v_subrev_nc_u32_e32 v20, 29, v17
	v_sub_nc_u32_e32 v17, 30, v17
	s_delay_alu instid0(VALU_DEP_2) | instskip(NEXT) | instid1(VALU_DEP_1)
	v_lshlrev_b64_e32 v[20:21], v20, v[86:87]
	v_and_b32_e32 v20, 3, v20
.LBB4_4581:                             ;   in Loop: Header=BB4_3452 Depth=2
	s_or_b32 exec_lo, exec_lo, s29
	v_lshlrev_b32_e32 v21, 24, v86
                                        ; implicit-def: $vgpr86
	s_delay_alu instid0(VALU_DEP_1) | instskip(NEXT) | instid1(VALU_DEP_1)
	v_and_b32_e32 v21, 0x80000000, v21
	v_lshl_add_u32 v17, v17, 23, v21
	s_delay_alu instid0(VALU_DEP_1) | instskip(NEXT) | instid1(VALU_DEP_1)
	v_lshl_or_b32 v17, v20, 21, v17
                                        ; implicit-def: $vgpr20
	v_add_nc_u32_e32 v17, 0x38000000, v17
.LBB4_4582:                             ;   in Loop: Header=BB4_3452 Depth=2
	s_and_not1_saveexec_b32 s28, s28
; %bb.4583:                             ;   in Loop: Header=BB4_3452 Depth=2
	v_bfe_i32 v17, v86, 0, 8
	s_delay_alu instid0(VALU_DEP_1) | instskip(SKIP_2) | instid1(VALU_DEP_2)
	v_cmp_lt_i16_e32 vcc_lo, -1, v17
	v_cndmask_b32_e32 v17, 0xff800000, v126, vcc_lo
	v_cmp_eq_u32_e32 vcc_lo, 0, v20
	v_cndmask_b32_e32 v17, 0x7f800001, v17, vcc_lo
; %bb.4584:                             ;   in Loop: Header=BB4_3452 Depth=2
	s_or_b32 exec_lo, exec_lo, s28
.LBB4_4585:                             ;   in Loop: Header=BB4_3452 Depth=2
	s_delay_alu instid0(SALU_CYCLE_1)
	s_or_b32 exec_lo, exec_lo, s11
.LBB4_4586:                             ;   in Loop: Header=BB4_3452 Depth=2
	s_delay_alu instid0(SALU_CYCLE_1) | instskip(NEXT) | instid1(SALU_CYCLE_1)
	s_or_b32 exec_lo, exec_lo, s10
	s_mov_b32 s10, exec_lo
	s_wait_loadcnt_dscnt 0x202
	v_cmpx_ne_u16_e32 0, v40
	s_cbranch_execz .LBB4_4596
; %bb.4587:                             ;   in Loop: Header=BB4_3452 Depth=2
	v_bfrev_b32_e32 v2, 1
	s_mov_b32 s11, exec_lo
	v_cmpx_ne_u16_e32 0xff80, v40
	s_cbranch_execz .LBB4_4595
; %bb.4588:                             ;   in Loop: Header=BB4_3452 Depth=2
	v_and_b32_e32 v2, 0x7c, v40
	v_and_b32_e32 v20, 3, v40
	s_delay_alu instid0(VALU_DEP_2) | instskip(SKIP_1) | instid1(SALU_CYCLE_1)
	v_cmp_ne_u32_e32 vcc_lo, 0x7c, v2
                                        ; implicit-def: $vgpr2
	s_and_saveexec_b32 s28, vcc_lo
	s_xor_b32 s28, exec_lo, s28
	s_cbranch_execz .LBB4_4592
; %bb.4589:                             ;   in Loop: Header=BB4_3452 Depth=2
	v_and_b32_e32 v2, 0xff, v40
	s_mov_b32 s29, exec_lo
	s_delay_alu instid0(VALU_DEP_1) | instskip(NEXT) | instid1(VALU_DEP_1)
	v_bfe_u32 v2, v2, 2, 5
	v_cmpx_eq_u32_e32 0, v2
	s_cbranch_execz .LBB4_4591
; %bb.4590:                             ;   in Loop: Header=BB4_3452 Depth=2
	v_clz_i32_u32_e32 v2, v20
	s_delay_alu instid0(VALU_DEP_1) | instskip(SKIP_1) | instid1(VALU_DEP_2)
	v_min_u32_e32 v2, 32, v2
	v_mov_b32_e32 v41, v39
	v_subrev_nc_u32_e32 v20, 29, v2
	v_sub_nc_u32_e32 v2, 30, v2
	s_delay_alu instid0(VALU_DEP_2) | instskip(NEXT) | instid1(VALU_DEP_1)
	v_lshlrev_b64_e32 v[20:21], v20, v[40:41]
	v_and_b32_e32 v20, 3, v20
.LBB4_4591:                             ;   in Loop: Header=BB4_3452 Depth=2
	s_or_b32 exec_lo, exec_lo, s29
	v_bfe_i32 v21, v40, 0, 16
                                        ; implicit-def: $vgpr40
	s_delay_alu instid0(VALU_DEP_1) | instskip(NEXT) | instid1(VALU_DEP_1)
	v_and_b32_e32 v21, 0x80000000, v21
	v_lshl_add_u32 v2, v2, 23, v21
	s_delay_alu instid0(VALU_DEP_1) | instskip(NEXT) | instid1(VALU_DEP_1)
	v_lshl_or_b32 v2, v20, 21, v2
                                        ; implicit-def: $vgpr20
	v_add_nc_u32_e32 v2, 0x38000000, v2
.LBB4_4592:                             ;   in Loop: Header=BB4_3452 Depth=2
	s_and_not1_saveexec_b32 s28, s28
; %bb.4593:                             ;   in Loop: Header=BB4_3452 Depth=2
	v_cmp_lt_i16_e32 vcc_lo, -1, v40
	v_cndmask_b32_e32 v2, 0xff800000, v126, vcc_lo
	v_cmp_eq_u32_e32 vcc_lo, 0, v20
	s_delay_alu instid0(VALU_DEP_2)
	v_cndmask_b32_e32 v2, 0x7f800001, v2, vcc_lo
; %bb.4594:                             ;   in Loop: Header=BB4_3452 Depth=2
	s_or_b32 exec_lo, exec_lo, s28
.LBB4_4595:                             ;   in Loop: Header=BB4_3452 Depth=2
	s_delay_alu instid0(SALU_CYCLE_1)
	s_or_b32 exec_lo, exec_lo, s11
.LBB4_4596:                             ;   in Loop: Header=BB4_3452 Depth=2
	s_delay_alu instid0(SALU_CYCLE_1) | instskip(NEXT) | instid1(VALU_DEP_1)
	s_or_b32 exec_lo, exec_lo, s10
	v_dual_add_f32 v17, v17, v2 :: v_dual_mov_b32 v21, v39
                                        ; implicit-def: $vgpr96
	s_mov_b32 s10, exec_lo
	s_delay_alu instid0(VALU_DEP_1) | instskip(SKIP_1) | instid1(VALU_DEP_2)
	v_and_b32_e32 v20, 0x7f800000, v17
	v_and_b32_e32 v38, 0x7fffff, v17
	v_cmpx_ne_u64_e32 0x7f800000, v[20:21]
	s_xor_b32 s11, exec_lo, s10
	s_cbranch_execz .LBB4_4614
; %bb.4597:                             ;   in Loop: Header=BB4_3452 Depth=2
	v_dual_mov_b32 v21, v39 :: v_dual_lshrrev_b32 v2, 24, v17
	v_and_b32_e32 v20, 0x7fffffff, v17
                                        ; implicit-def: $vgpr96
	s_mov_b32 s10, exec_lo
	s_delay_alu instid0(VALU_DEP_2) | instskip(NEXT) | instid1(VALU_DEP_2)
	v_and_b32_e32 v2, 0x80, v2
	v_cmpx_gt_u64_e32 0x47600001, v[20:21]
	s_xor_b32 s28, exec_lo, s10
	s_cbranch_execz .LBB4_4611
; %bb.4598:                             ;   in Loop: Header=BB4_3452 Depth=2
	v_mov_b32_e32 v96, 0
	s_mov_b32 s29, exec_lo
	v_cmpx_ne_u32_e32 0, v17
	s_cbranch_execz .LBB4_4610
; %bb.4599:                             ;   in Loop: Header=BB4_3452 Depth=2
	v_bfe_u32 v17, v17, 23, 8
	v_or_b32_e32 v31, 0x800000, v38
	s_delay_alu instid0(VALU_DEP_2) | instskip(SKIP_1) | instid1(VALU_DEP_2)
	v_dual_mov_b32 v87, v39 :: v_dual_sub_nc_u32 v20, 0x71, v17
	v_cmp_gt_u32_e32 vcc_lo, 0x72, v17
	v_cndmask_b32_e32 v20, 0, v20, vcc_lo
	v_cmp_eq_u32_e32 vcc_lo, 0, v17
	v_cndmask_b32_e32 v86, v31, v38, vcc_lo
	s_delay_alu instid0(VALU_DEP_3) | instskip(NEXT) | instid1(VALU_DEP_1)
	v_cndmask_b32_e64 v20, v20, 0x70, vcc_lo
	v_add_nc_u32_e32 v21, 21, v20
	s_delay_alu instid0(VALU_DEP_1) | instskip(SKIP_1) | instid1(VALU_DEP_1)
	v_lshlrev_b64_e64 v[24:25], v21, -1
	v_add_nc_u32_e32 v21, 20, v20
	v_lshlrev_b64_e64 v[96:97], v21, 1
	s_delay_alu instid0(VALU_DEP_3) | instskip(SKIP_2) | instid1(VALU_DEP_1)
	v_bfi_b32 v24, v24, 0, v86
	v_lshrrev_b64 v[86:87], v20, v[86:87]
	v_bfi_b32 v25, v25, 0, 0
	v_cmp_eq_u64_e64 s10, v[24:25], v[96:97]
	s_delay_alu instid0(VALU_DEP_3)
	v_mov_b64_e32 v[96:97], v[86:87]
	s_and_saveexec_b32 s40, s10
; %bb.4600:                             ;   in Loop: Header=BB4_3452 Depth=2
	v_bfe_u32 v24, v86, 21, 1
	v_mov_b32_e32 v25, v39
	s_delay_alu instid0(VALU_DEP_1) | instskip(NEXT) | instid1(VALU_DEP_1)
	v_add_nc_u64_e32 v[24:25], v[86:87], v[24:25]
	v_add_nc_u64_e32 v[96:97], -1, v[24:25]
; %bb.4601:                             ;   in Loop: Header=BB4_3452 Depth=2
	s_or_b32 exec_lo, exec_lo, s40
	v_add_nc_u32_e32 v17, 0xffffff81, v17
	s_delay_alu instid0(VALU_DEP_2) | instskip(SKIP_2) | instid1(VALU_DEP_3)
	v_and_b32_e32 v24, 0x1fffff, v96
	v_lshrrev_b32_e32 v21, 23, v86
	s_mov_b32 s10, exec_lo
	v_cndmask_b32_e64 v17, v17, 0xffffff82, vcc_lo
	s_delay_alu instid0(VALU_DEP_3) | instskip(NEXT) | instid1(VALU_DEP_2)
	v_add_nc_u32_e32 v38, v24, v86
                                        ; implicit-def: $vgpr86_vgpr87
	v_add3_u32 v20, v20, v17, v21
                                        ; implicit-def: $vgpr17
	s_delay_alu instid0(VALU_DEP_1) | instskip(NEXT) | instid1(VALU_DEP_1)
	v_add_nc_u32_e32 v21, 14, v20
	v_cmpx_ne_u32_e32 0, v21
	s_xor_b32 s10, exec_lo, s10
; %bb.4602:                             ;   in Loop: Header=BB4_3452 Depth=2
	v_cmp_lt_u64_e32 vcc_lo, 0xffffff, v[38:39]
	v_add_nc_u32_e32 v17, 15, v20
	v_cndmask_b32_e64 v20, 0, 1, vcc_lo
	s_delay_alu instid0(VALU_DEP_2) | instskip(NEXT) | instid1(VALU_DEP_2)
	v_cndmask_b32_e32 v17, v21, v17, vcc_lo
	v_lshrrev_b64 v[86:87], v20, v[38:39]
; %bb.4603:                             ;   in Loop: Header=BB4_3452 Depth=2
	s_and_not1_saveexec_b32 s10, s10
; %bb.4604:                             ;   in Loop: Header=BB4_3452 Depth=2
	v_mov_b64_e32 v[86:87], v[38:39]
	v_bfe_u32 v17, v38, 23, 1
; %bb.4605:                             ;   in Loop: Header=BB4_3452 Depth=2
	s_or_b32 exec_lo, exec_lo, s10
	s_delay_alu instid0(VALU_DEP_2) | instskip(NEXT) | instid1(VALU_DEP_2)
	v_lshrrev_b64 v[20:21], 21, v[86:87]
	v_cmp_gt_i32_e32 vcc_lo, 32, v17
	v_cmp_ne_u32_e64 s10, 0, v17
                                        ; implicit-def: $vgpr96
	s_delay_alu instid0(VALU_DEP_3) | instskip(NEXT) | instid1(VALU_DEP_1)
	v_dual_cndmask_b32 v87, 0, v21 :: v_dual_cndmask_b32 v86, 3, v20
	v_cmp_ne_u64_e32 vcc_lo, 0, v[86:87]
	s_or_b32 s10, s10, vcc_lo
	s_delay_alu instid0(SALU_CYCLE_1) | instskip(NEXT) | instid1(SALU_CYCLE_1)
	s_and_saveexec_b32 s40, s10
	s_xor_b32 s10, exec_lo, s40
; %bb.4606:                             ;   in Loop: Header=BB4_3452 Depth=2
	v_min_i32_e32 v17, 31, v17
	s_delay_alu instid0(VALU_DEP_1) | instskip(NEXT) | instid1(VALU_DEP_1)
	v_lshl_or_b32 v2, v17, 2, v2
	v_and_or_b32 v96, v86, 3, v2
                                        ; implicit-def: $vgpr2
; %bb.4607:                             ;   in Loop: Header=BB4_3452 Depth=2
	s_and_not1_saveexec_b32 s10, s10
; %bb.4608:                             ;   in Loop: Header=BB4_3452 Depth=2
	v_mov_b32_e32 v96, v2
; %bb.4609:                             ;   in Loop: Header=BB4_3452 Depth=2
	s_or_b32 exec_lo, exec_lo, s10
.LBB4_4610:                             ;   in Loop: Header=BB4_3452 Depth=2
	s_delay_alu instid0(SALU_CYCLE_1)
	s_or_b32 exec_lo, exec_lo, s29
                                        ; implicit-def: $vgpr2
.LBB4_4611:                             ;   in Loop: Header=BB4_3452 Depth=2
	s_and_not1_saveexec_b32 s10, s28
; %bb.4612:                             ;   in Loop: Header=BB4_3452 Depth=2
	v_or_b32_e32 v96, 0x7b, v2
; %bb.4613:                             ;   in Loop: Header=BB4_3452 Depth=2
	s_or_b32 exec_lo, exec_lo, s10
                                        ; implicit-def: $vgpr17
.LBB4_4614:                             ;   in Loop: Header=BB4_3452 Depth=2
	s_and_not1_saveexec_b32 s10, s11
	s_cbranch_execz .LBB4_4620
; %bb.4615:                             ;   in Loop: Header=BB4_3452 Depth=2
	s_mov_b32 s11, exec_lo
                                        ; implicit-def: $vgpr96
	v_cmpx_ne_u64_e32 0, v[38:39]
	s_xor_b32 s11, exec_lo, s11
; %bb.4616:                             ;   in Loop: Header=BB4_3452 Depth=2
	v_lshrrev_b32_e32 v2, 24, v17
                                        ; implicit-def: $vgpr17
	s_delay_alu instid0(VALU_DEP_1)
	v_or_b32_e32 v96, 0x7f, v2
; %bb.4617:                             ;   in Loop: Header=BB4_3452 Depth=2
	s_and_not1_saveexec_b32 s11, s11
; %bb.4618:                             ;   in Loop: Header=BB4_3452 Depth=2
	v_cmp_lt_i32_e32 vcc_lo, -1, v17
	v_cndmask_b32_e64 v96, -4, 0x7c, vcc_lo
; %bb.4619:                             ;   in Loop: Header=BB4_3452 Depth=2
	s_or_b32 exec_lo, exec_lo, s11
.LBB4_4620:                             ;   in Loop: Header=BB4_3452 Depth=2
	s_delay_alu instid0(SALU_CYCLE_1) | instskip(SKIP_3) | instid1(VALU_DEP_2)
	s_or_b32 exec_lo, exec_lo, s10
	v_and_b32_e32 v21, 0xff, v84
	v_dual_mov_b32 v2, 0 :: v_dual_mov_b32 v17, 0
	s_mov_b32 s10, exec_lo
	v_cmpx_ne_u16_e32 0, v21
	s_cbranch_execz .LBB4_4630
; %bb.4621:                             ;   in Loop: Header=BB4_3452 Depth=2
	v_bfrev_b32_e32 v17, 1
	s_mov_b32 s11, exec_lo
	v_cmpx_ne_u16_e32 0x80, v21
	s_cbranch_execz .LBB4_4629
; %bb.4622:                             ;   in Loop: Header=BB4_3452 Depth=2
	v_and_b32_e32 v17, 0x7c, v84
	v_and_b32_e32 v20, 3, v84
	s_delay_alu instid0(VALU_DEP_2) | instskip(SKIP_1) | instid1(SALU_CYCLE_1)
	v_cmp_ne_u32_e32 vcc_lo, 0x7c, v17
                                        ; implicit-def: $vgpr17
	s_and_saveexec_b32 s28, vcc_lo
	s_xor_b32 s28, exec_lo, s28
	s_cbranch_execz .LBB4_4626
; %bb.4623:                             ;   in Loop: Header=BB4_3452 Depth=2
	v_bfe_u32 v17, v21, 2, 5
	s_mov_b32 s29, exec_lo
	s_delay_alu instid0(VALU_DEP_1)
	v_cmpx_eq_u32_e32 0, v17
	s_cbranch_execz .LBB4_4625
; %bb.4624:                             ;   in Loop: Header=BB4_3452 Depth=2
	v_clz_i32_u32_e32 v17, v20
	s_delay_alu instid0(VALU_DEP_1) | instskip(SKIP_1) | instid1(VALU_DEP_2)
	v_min_u32_e32 v17, 32, v17
	v_mov_b32_e32 v85, v39
	v_subrev_nc_u32_e32 v20, 29, v17
	v_sub_nc_u32_e32 v17, 30, v17
	s_delay_alu instid0(VALU_DEP_2) | instskip(NEXT) | instid1(VALU_DEP_1)
	v_lshlrev_b64_e32 v[20:21], v20, v[84:85]
	v_and_b32_e32 v20, 3, v20
.LBB4_4625:                             ;   in Loop: Header=BB4_3452 Depth=2
	s_or_b32 exec_lo, exec_lo, s29
	v_lshlrev_b32_e32 v21, 24, v84
                                        ; implicit-def: $vgpr84
	s_delay_alu instid0(VALU_DEP_1) | instskip(NEXT) | instid1(VALU_DEP_1)
	v_and_b32_e32 v21, 0x80000000, v21
	v_lshl_add_u32 v17, v17, 23, v21
	s_delay_alu instid0(VALU_DEP_1) | instskip(NEXT) | instid1(VALU_DEP_1)
	v_lshl_or_b32 v17, v20, 21, v17
                                        ; implicit-def: $vgpr20
	v_add_nc_u32_e32 v17, 0x38000000, v17
.LBB4_4626:                             ;   in Loop: Header=BB4_3452 Depth=2
	s_and_not1_saveexec_b32 s28, s28
; %bb.4627:                             ;   in Loop: Header=BB4_3452 Depth=2
	v_bfe_i32 v17, v84, 0, 8
	s_delay_alu instid0(VALU_DEP_1) | instskip(SKIP_2) | instid1(VALU_DEP_2)
	v_cmp_lt_i16_e32 vcc_lo, -1, v17
	v_cndmask_b32_e32 v17, 0xff800000, v126, vcc_lo
	v_cmp_eq_u32_e32 vcc_lo, 0, v20
	v_cndmask_b32_e32 v17, 0x7f800001, v17, vcc_lo
; %bb.4628:                             ;   in Loop: Header=BB4_3452 Depth=2
	s_or_b32 exec_lo, exec_lo, s28
.LBB4_4629:                             ;   in Loop: Header=BB4_3452 Depth=2
	s_delay_alu instid0(SALU_CYCLE_1)
	s_or_b32 exec_lo, exec_lo, s11
.LBB4_4630:                             ;   in Loop: Header=BB4_3452 Depth=2
	s_delay_alu instid0(SALU_CYCLE_1) | instskip(NEXT) | instid1(SALU_CYCLE_1)
	s_or_b32 exec_lo, exec_lo, s10
	s_mov_b32 s10, exec_lo
	s_wait_loadcnt_dscnt 0x101
	v_cmpx_ne_u16_e32 0, v102
	s_cbranch_execz .LBB4_4640
; %bb.4631:                             ;   in Loop: Header=BB4_3452 Depth=2
	v_bfrev_b32_e32 v2, 1
	s_mov_b32 s11, exec_lo
	v_cmpx_ne_u16_e32 0xff80, v102
	s_cbranch_execz .LBB4_4639
; %bb.4632:                             ;   in Loop: Header=BB4_3452 Depth=2
	v_and_b32_e32 v2, 0x7c, v102
	v_and_b32_e32 v20, 3, v102
	s_delay_alu instid0(VALU_DEP_2) | instskip(SKIP_1) | instid1(SALU_CYCLE_1)
	v_cmp_ne_u32_e32 vcc_lo, 0x7c, v2
                                        ; implicit-def: $vgpr2
	s_and_saveexec_b32 s28, vcc_lo
	s_xor_b32 s28, exec_lo, s28
	s_cbranch_execz .LBB4_4636
; %bb.4633:                             ;   in Loop: Header=BB4_3452 Depth=2
	v_and_b32_e32 v2, 0xff, v102
	s_mov_b32 s29, exec_lo
	s_delay_alu instid0(VALU_DEP_1) | instskip(NEXT) | instid1(VALU_DEP_1)
	v_bfe_u32 v2, v2, 2, 5
	v_cmpx_eq_u32_e32 0, v2
	s_cbranch_execz .LBB4_4635
; %bb.4634:                             ;   in Loop: Header=BB4_3452 Depth=2
	v_clz_i32_u32_e32 v2, v20
	s_delay_alu instid0(VALU_DEP_1) | instskip(SKIP_1) | instid1(VALU_DEP_2)
	v_min_u32_e32 v2, 32, v2
	v_mov_b32_e32 v103, v39
	v_subrev_nc_u32_e32 v20, 29, v2
	v_sub_nc_u32_e32 v2, 30, v2
	s_delay_alu instid0(VALU_DEP_2) | instskip(NEXT) | instid1(VALU_DEP_1)
	v_lshlrev_b64_e32 v[20:21], v20, v[102:103]
	v_and_b32_e32 v20, 3, v20
.LBB4_4635:                             ;   in Loop: Header=BB4_3452 Depth=2
	s_or_b32 exec_lo, exec_lo, s29
	v_bfe_i32 v21, v102, 0, 16
                                        ; implicit-def: $vgpr102
	s_delay_alu instid0(VALU_DEP_1) | instskip(NEXT) | instid1(VALU_DEP_1)
	v_and_b32_e32 v21, 0x80000000, v21
	v_lshl_add_u32 v2, v2, 23, v21
	s_delay_alu instid0(VALU_DEP_1) | instskip(NEXT) | instid1(VALU_DEP_1)
	v_lshl_or_b32 v2, v20, 21, v2
                                        ; implicit-def: $vgpr20
	v_add_nc_u32_e32 v2, 0x38000000, v2
.LBB4_4636:                             ;   in Loop: Header=BB4_3452 Depth=2
	s_and_not1_saveexec_b32 s28, s28
; %bb.4637:                             ;   in Loop: Header=BB4_3452 Depth=2
	v_cmp_lt_i16_e32 vcc_lo, -1, v102
	v_cndmask_b32_e32 v2, 0xff800000, v126, vcc_lo
	v_cmp_eq_u32_e32 vcc_lo, 0, v20
	s_delay_alu instid0(VALU_DEP_2)
	v_cndmask_b32_e32 v2, 0x7f800001, v2, vcc_lo
; %bb.4638:                             ;   in Loop: Header=BB4_3452 Depth=2
	s_or_b32 exec_lo, exec_lo, s28
.LBB4_4639:                             ;   in Loop: Header=BB4_3452 Depth=2
	s_delay_alu instid0(SALU_CYCLE_1)
	s_or_b32 exec_lo, exec_lo, s11
.LBB4_4640:                             ;   in Loop: Header=BB4_3452 Depth=2
	s_delay_alu instid0(SALU_CYCLE_1) | instskip(NEXT) | instid1(VALU_DEP_1)
	s_or_b32 exec_lo, exec_lo, s10
	v_dual_add_f32 v83, v17, v2 :: v_dual_mov_b32 v21, v39
                                        ; implicit-def: $vgpr2
	s_mov_b32 s10, exec_lo
	s_delay_alu instid0(VALU_DEP_1) | instskip(SKIP_1) | instid1(VALU_DEP_2)
	v_and_b32_e32 v20, 0x7f800000, v83
	v_and_b32_e32 v38, 0x7fffff, v83
	v_cmpx_ne_u64_e32 0x7f800000, v[20:21]
	s_xor_b32 s11, exec_lo, s10
	s_cbranch_execz .LBB4_4658
; %bb.4641:                             ;   in Loop: Header=BB4_3452 Depth=2
	v_dual_mov_b32 v21, v39 :: v_dual_lshrrev_b32 v2, 24, v83
	v_and_b32_e32 v20, 0x7fffffff, v83
	s_mov_b32 s10, exec_lo
	s_delay_alu instid0(VALU_DEP_2) | instskip(NEXT) | instid1(VALU_DEP_2)
	v_and_b32_e32 v17, 0x80, v2
                                        ; implicit-def: $vgpr2
	v_cmpx_gt_u64_e32 0x47600001, v[20:21]
	s_xor_b32 s28, exec_lo, s10
	s_cbranch_execz .LBB4_4655
; %bb.4642:                             ;   in Loop: Header=BB4_3452 Depth=2
	v_mov_b32_e32 v2, 0
	s_mov_b32 s29, exec_lo
	v_cmpx_ne_u32_e32 0, v83
	s_cbranch_execz .LBB4_4654
; %bb.4643:                             ;   in Loop: Header=BB4_3452 Depth=2
	v_bfe_u32 v2, v83, 23, 8
	v_or_b32_e32 v31, 0x800000, v38
	s_delay_alu instid0(VALU_DEP_2) | instskip(SKIP_1) | instid1(VALU_DEP_2)
	v_dual_mov_b32 v85, v39 :: v_dual_sub_nc_u32 v20, 0x71, v2
	v_cmp_gt_u32_e32 vcc_lo, 0x72, v2
	v_cndmask_b32_e32 v20, 0, v20, vcc_lo
	v_cmp_eq_u32_e32 vcc_lo, 0, v2
	v_cndmask_b32_e32 v84, v31, v38, vcc_lo
	s_delay_alu instid0(VALU_DEP_3) | instskip(NEXT) | instid1(VALU_DEP_1)
	v_cndmask_b32_e64 v20, v20, 0x70, vcc_lo
	v_add_nc_u32_e32 v21, 21, v20
	s_delay_alu instid0(VALU_DEP_1) | instskip(SKIP_1) | instid1(VALU_DEP_1)
	v_lshlrev_b64_e64 v[24:25], v21, -1
	v_add_nc_u32_e32 v21, 20, v20
	v_lshlrev_b64_e64 v[86:87], v21, 1
	s_delay_alu instid0(VALU_DEP_3) | instskip(SKIP_2) | instid1(VALU_DEP_1)
	v_bfi_b32 v24, v24, 0, v84
	v_lshrrev_b64 v[84:85], v20, v[84:85]
	v_bfi_b32 v25, v25, 0, 0
	v_cmp_eq_u64_e64 s10, v[24:25], v[86:87]
	s_delay_alu instid0(VALU_DEP_3)
	v_mov_b64_e32 v[86:87], v[84:85]
	s_and_saveexec_b32 s40, s10
; %bb.4644:                             ;   in Loop: Header=BB4_3452 Depth=2
	v_bfe_u32 v24, v84, 21, 1
	v_mov_b32_e32 v25, v39
	s_delay_alu instid0(VALU_DEP_1) | instskip(NEXT) | instid1(VALU_DEP_1)
	v_add_nc_u64_e32 v[24:25], v[84:85], v[24:25]
	v_add_nc_u64_e32 v[86:87], -1, v[24:25]
; %bb.4645:                             ;   in Loop: Header=BB4_3452 Depth=2
	s_or_b32 exec_lo, exec_lo, s40
	v_add_nc_u32_e32 v2, 0xffffff81, v2
	s_delay_alu instid0(VALU_DEP_2) | instskip(SKIP_2) | instid1(VALU_DEP_3)
	v_and_b32_e32 v24, 0x1fffff, v86
	v_lshrrev_b32_e32 v21, 23, v84
	s_mov_b32 s10, exec_lo
	v_cndmask_b32_e64 v2, v2, 0xffffff82, vcc_lo
	s_delay_alu instid0(VALU_DEP_3) | instskip(NEXT) | instid1(VALU_DEP_2)
	v_add_nc_u32_e32 v38, v24, v84
                                        ; implicit-def: $vgpr84_vgpr85
	v_add3_u32 v2, v20, v2, v21
                                        ; implicit-def: $vgpr20
	s_delay_alu instid0(VALU_DEP_1) | instskip(NEXT) | instid1(VALU_DEP_1)
	v_add_nc_u32_e32 v21, 14, v2
	v_cmpx_ne_u32_e32 0, v21
	s_xor_b32 s10, exec_lo, s10
; %bb.4646:                             ;   in Loop: Header=BB4_3452 Depth=2
	v_cmp_lt_u64_e32 vcc_lo, 0xffffff, v[38:39]
	v_add_nc_u32_e32 v2, 15, v2
	s_delay_alu instid0(VALU_DEP_1) | instskip(SKIP_1) | instid1(VALU_DEP_1)
	v_cndmask_b32_e32 v20, v21, v2, vcc_lo
	v_cndmask_b32_e64 v2, 0, 1, vcc_lo
	v_lshrrev_b64 v[84:85], v2, v[38:39]
; %bb.4647:                             ;   in Loop: Header=BB4_3452 Depth=2
	s_and_not1_saveexec_b32 s10, s10
; %bb.4648:                             ;   in Loop: Header=BB4_3452 Depth=2
	v_mov_b64_e32 v[84:85], v[38:39]
	v_bfe_u32 v20, v38, 23, 1
; %bb.4649:                             ;   in Loop: Header=BB4_3452 Depth=2
	s_or_b32 exec_lo, exec_lo, s10
	s_delay_alu instid0(VALU_DEP_2) | instskip(NEXT) | instid1(VALU_DEP_2)
	v_lshrrev_b64 v[24:25], 21, v[84:85]
	v_cmp_gt_i32_e32 vcc_lo, 32, v20
	v_cmp_ne_u32_e64 s10, 0, v20
                                        ; implicit-def: $vgpr2
	s_delay_alu instid0(VALU_DEP_3) | instskip(NEXT) | instid1(VALU_DEP_1)
	v_dual_cndmask_b32 v85, 0, v25 :: v_dual_cndmask_b32 v84, 3, v24
	v_cmp_ne_u64_e32 vcc_lo, 0, v[84:85]
	s_or_b32 s10, s10, vcc_lo
	s_delay_alu instid0(SALU_CYCLE_1) | instskip(NEXT) | instid1(SALU_CYCLE_1)
	s_and_saveexec_b32 s40, s10
	s_xor_b32 s10, exec_lo, s40
; %bb.4650:                             ;   in Loop: Header=BB4_3452 Depth=2
	v_min_i32_e32 v2, 31, v20
	s_delay_alu instid0(VALU_DEP_1) | instskip(NEXT) | instid1(VALU_DEP_1)
	v_lshl_or_b32 v2, v2, 2, v17
                                        ; implicit-def: $vgpr17
	v_and_or_b32 v2, v84, 3, v2
; %bb.4651:                             ;   in Loop: Header=BB4_3452 Depth=2
	s_and_not1_saveexec_b32 s10, s10
; %bb.4652:                             ;   in Loop: Header=BB4_3452 Depth=2
	v_mov_b32_e32 v2, v17
; %bb.4653:                             ;   in Loop: Header=BB4_3452 Depth=2
	s_or_b32 exec_lo, exec_lo, s10
.LBB4_4654:                             ;   in Loop: Header=BB4_3452 Depth=2
	s_delay_alu instid0(SALU_CYCLE_1)
	s_or_b32 exec_lo, exec_lo, s29
                                        ; implicit-def: $vgpr17
.LBB4_4655:                             ;   in Loop: Header=BB4_3452 Depth=2
	s_and_not1_saveexec_b32 s10, s28
; %bb.4656:                             ;   in Loop: Header=BB4_3452 Depth=2
	v_or_b32_e32 v2, 0x7b, v17
; %bb.4657:                             ;   in Loop: Header=BB4_3452 Depth=2
	s_or_b32 exec_lo, exec_lo, s10
                                        ; implicit-def: $vgpr83
.LBB4_4658:                             ;   in Loop: Header=BB4_3452 Depth=2
	s_and_not1_saveexec_b32 s10, s11
	s_cbranch_execz .LBB4_4664
; %bb.4659:                             ;   in Loop: Header=BB4_3452 Depth=2
	s_mov_b32 s11, exec_lo
                                        ; implicit-def: $vgpr2
	v_cmpx_ne_u64_e32 0, v[38:39]
	s_xor_b32 s11, exec_lo, s11
; %bb.4660:                             ;   in Loop: Header=BB4_3452 Depth=2
	v_lshrrev_b32_e32 v2, 24, v83
                                        ; implicit-def: $vgpr83
	s_delay_alu instid0(VALU_DEP_1)
	v_or_b32_e32 v2, 0x7f, v2
; %bb.4661:                             ;   in Loop: Header=BB4_3452 Depth=2
	s_and_not1_saveexec_b32 s11, s11
; %bb.4662:                             ;   in Loop: Header=BB4_3452 Depth=2
	v_cmp_lt_i32_e32 vcc_lo, -1, v83
	v_cndmask_b32_e64 v2, -4, 0x7c, vcc_lo
; %bb.4663:                             ;   in Loop: Header=BB4_3452 Depth=2
	s_or_b32 exec_lo, exec_lo, s11
.LBB4_4664:                             ;   in Loop: Header=BB4_3452 Depth=2
	s_delay_alu instid0(SALU_CYCLE_1) | instskip(SKIP_3) | instid1(VALU_DEP_2)
	s_or_b32 exec_lo, exec_lo, s10
	v_and_b32_e32 v21, 0xff, v16
	v_dual_mov_b32 v38, 0 :: v_dual_mov_b32 v17, 0
	s_mov_b32 s10, exec_lo
	v_cmpx_ne_u16_e32 0, v21
	s_cbranch_execz .LBB4_4674
; %bb.4665:                             ;   in Loop: Header=BB4_3452 Depth=2
	v_bfrev_b32_e32 v17, 1
	s_mov_b32 s11, exec_lo
	v_cmpx_ne_u16_e32 0x80, v21
	s_cbranch_execz .LBB4_4673
; %bb.4666:                             ;   in Loop: Header=BB4_3452 Depth=2
	v_and_b32_e32 v17, 0x7c, v16
	v_and_b32_e32 v20, 3, v16
	s_delay_alu instid0(VALU_DEP_2) | instskip(SKIP_1) | instid1(SALU_CYCLE_1)
	v_cmp_ne_u32_e32 vcc_lo, 0x7c, v17
                                        ; implicit-def: $vgpr17
	s_and_saveexec_b32 s28, vcc_lo
	s_xor_b32 s28, exec_lo, s28
	s_cbranch_execz .LBB4_4670
; %bb.4667:                             ;   in Loop: Header=BB4_3452 Depth=2
	v_bfe_u32 v17, v21, 2, 5
	s_mov_b32 s29, exec_lo
	s_delay_alu instid0(VALU_DEP_1)
	v_cmpx_eq_u32_e32 0, v17
	s_cbranch_execz .LBB4_4669
; %bb.4668:                             ;   in Loop: Header=BB4_3452 Depth=2
	v_clz_i32_u32_e32 v17, v20
	s_delay_alu instid0(VALU_DEP_1) | instskip(SKIP_1) | instid1(VALU_DEP_2)
	v_min_u32_e32 v24, 32, v17
	v_mov_b32_e32 v17, v39
	v_subrev_nc_u32_e32 v20, 29, v24
	s_delay_alu instid0(VALU_DEP_1) | instskip(SKIP_1) | instid1(VALU_DEP_2)
	v_lshlrev_b64_e32 v[20:21], v20, v[16:17]
	v_sub_nc_u32_e32 v17, 30, v24
	v_and_b32_e32 v20, 3, v20
.LBB4_4669:                             ;   in Loop: Header=BB4_3452 Depth=2
	s_or_b32 exec_lo, exec_lo, s29
	v_lshlrev_b32_e32 v16, 24, v16
	s_delay_alu instid0(VALU_DEP_1) | instskip(NEXT) | instid1(VALU_DEP_1)
	v_and_b32_e32 v16, 0x80000000, v16
	v_lshl_add_u32 v16, v17, 23, v16
	s_delay_alu instid0(VALU_DEP_1) | instskip(NEXT) | instid1(VALU_DEP_1)
	v_lshl_or_b32 v16, v20, 21, v16
                                        ; implicit-def: $vgpr20
	v_add_nc_u32_e32 v17, 0x38000000, v16
                                        ; implicit-def: $vgpr16
.LBB4_4670:                             ;   in Loop: Header=BB4_3452 Depth=2
	s_and_not1_saveexec_b32 s28, s28
; %bb.4671:                             ;   in Loop: Header=BB4_3452 Depth=2
	v_bfe_i32 v16, v16, 0, 8
	s_delay_alu instid0(VALU_DEP_1) | instskip(SKIP_2) | instid1(VALU_DEP_2)
	v_cmp_lt_i16_e32 vcc_lo, -1, v16
	v_cndmask_b32_e32 v16, 0xff800000, v126, vcc_lo
	v_cmp_eq_u32_e32 vcc_lo, 0, v20
	v_cndmask_b32_e32 v17, 0x7f800001, v16, vcc_lo
; %bb.4672:                             ;   in Loop: Header=BB4_3452 Depth=2
	s_or_b32 exec_lo, exec_lo, s28
.LBB4_4673:                             ;   in Loop: Header=BB4_3452 Depth=2
	s_delay_alu instid0(SALU_CYCLE_1)
	s_or_b32 exec_lo, exec_lo, s11
.LBB4_4674:                             ;   in Loop: Header=BB4_3452 Depth=2
	s_delay_alu instid0(SALU_CYCLE_1) | instskip(NEXT) | instid1(SALU_CYCLE_1)
	s_or_b32 exec_lo, exec_lo, s10
	s_mov_b32 s10, exec_lo
	s_wait_loadcnt_dscnt 0x0
	v_cmpx_ne_u16_e32 0, v82
	s_cbranch_execz .LBB4_4684
; %bb.4675:                             ;   in Loop: Header=BB4_3452 Depth=2
	v_bfrev_b32_e32 v38, 1
	s_mov_b32 s11, exec_lo
	v_cmpx_ne_u16_e32 0xff80, v82
	s_cbranch_execz .LBB4_4683
; %bb.4676:                             ;   in Loop: Header=BB4_3452 Depth=2
	v_and_b32_e32 v20, 0x7c, v82
	v_and_b32_e32 v16, 3, v82
	s_mov_b32 s28, exec_lo
                                        ; implicit-def: $vgpr38
	s_delay_alu instid0(VALU_DEP_2)
	v_cmpx_ne_u32_e32 0x7c, v20
	s_xor_b32 s28, exec_lo, s28
	s_cbranch_execz .LBB4_4680
; %bb.4677:                             ;   in Loop: Header=BB4_3452 Depth=2
	v_and_b32_e32 v20, 0xff, v82
	s_mov_b32 s29, exec_lo
	s_delay_alu instid0(VALU_DEP_1) | instskip(NEXT) | instid1(VALU_DEP_1)
	v_bfe_u32 v20, v20, 2, 5
	v_cmpx_eq_u32_e32 0, v20
	s_cbranch_execz .LBB4_4679
; %bb.4678:                             ;   in Loop: Header=BB4_3452 Depth=2
	v_clz_i32_u32_e32 v16, v16
	s_delay_alu instid0(VALU_DEP_1) | instskip(SKIP_1) | instid1(VALU_DEP_2)
	v_min_u32_e32 v16, 32, v16
	v_mov_b32_e32 v83, v39
	v_subrev_nc_u32_e32 v20, 29, v16
	s_delay_alu instid0(VALU_DEP_1) | instskip(SKIP_1) | instid1(VALU_DEP_2)
	v_lshlrev_b64_e32 v[24:25], v20, v[82:83]
	v_sub_nc_u32_e32 v20, 30, v16
	v_and_b32_e32 v16, 3, v24
.LBB4_4679:                             ;   in Loop: Header=BB4_3452 Depth=2
	s_or_b32 exec_lo, exec_lo, s29
	v_bfe_i32 v21, v82, 0, 16
                                        ; implicit-def: $vgpr82
	s_delay_alu instid0(VALU_DEP_1) | instskip(NEXT) | instid1(VALU_DEP_1)
	v_and_b32_e32 v21, 0x80000000, v21
	v_lshl_add_u32 v20, v20, 23, v21
	s_delay_alu instid0(VALU_DEP_1) | instskip(NEXT) | instid1(VALU_DEP_1)
	v_lshl_or_b32 v16, v16, 21, v20
	v_add_nc_u32_e32 v38, 0x38000000, v16
                                        ; implicit-def: $vgpr16
.LBB4_4680:                             ;   in Loop: Header=BB4_3452 Depth=2
	s_and_not1_saveexec_b32 s28, s28
; %bb.4681:                             ;   in Loop: Header=BB4_3452 Depth=2
	v_cmp_lt_i16_e32 vcc_lo, -1, v82
	v_cndmask_b32_e32 v20, 0xff800000, v126, vcc_lo
	v_cmp_eq_u32_e32 vcc_lo, 0, v16
	s_delay_alu instid0(VALU_DEP_2)
	v_cndmask_b32_e32 v38, 0x7f800001, v20, vcc_lo
; %bb.4682:                             ;   in Loop: Header=BB4_3452 Depth=2
	s_or_b32 exec_lo, exec_lo, s28
.LBB4_4683:                             ;   in Loop: Header=BB4_3452 Depth=2
	s_delay_alu instid0(SALU_CYCLE_1)
	s_or_b32 exec_lo, exec_lo, s11
.LBB4_4684:                             ;   in Loop: Header=BB4_3452 Depth=2
	s_delay_alu instid0(SALU_CYCLE_1) | instskip(NEXT) | instid1(VALU_DEP_1)
	s_or_b32 exec_lo, exec_lo, s10
	v_dual_add_f32 v16, v17, v38 :: v_dual_mov_b32 v21, v39
                                        ; implicit-def: $vgpr17
	s_mov_b32 s10, exec_lo
	s_delay_alu instid0(VALU_DEP_1) | instskip(SKIP_1) | instid1(VALU_DEP_2)
	v_and_b32_e32 v20, 0x7f800000, v16
	v_and_b32_e32 v38, 0x7fffff, v16
	v_cmpx_ne_u64_e32 0x7f800000, v[20:21]
	s_xor_b32 s11, exec_lo, s10
	s_cbranch_execz .LBB4_4702
; %bb.4685:                             ;   in Loop: Header=BB4_3452 Depth=2
	v_dual_mov_b32 v21, v39 :: v_dual_lshrrev_b32 v17, 24, v16
	v_and_b32_e32 v20, 0x7fffffff, v16
	s_mov_b32 s10, exec_lo
	s_delay_alu instid0(VALU_DEP_2) | instskip(NEXT) | instid1(VALU_DEP_2)
	v_and_b32_e32 v84, 0x80, v17
                                        ; implicit-def: $vgpr17
	v_cmpx_gt_u64_e32 0x47600001, v[20:21]
	s_xor_b32 s28, exec_lo, s10
	s_cbranch_execz .LBB4_4699
; %bb.4686:                             ;   in Loop: Header=BB4_3452 Depth=2
	v_mov_b32_e32 v17, 0
	s_mov_b32 s29, exec_lo
	v_cmpx_ne_u32_e32 0, v16
	s_cbranch_execz .LBB4_4698
; %bb.4687:                             ;   in Loop: Header=BB4_3452 Depth=2
	v_bfe_u32 v20, v16, 23, 8
	v_or_b32_e32 v24, 0x800000, v38
	s_delay_alu instid0(VALU_DEP_2) | instskip(SKIP_1) | instid1(VALU_DEP_2)
	v_dual_mov_b32 v25, v39 :: v_dual_sub_nc_u32 v16, 0x71, v20
	v_cmp_gt_u32_e32 vcc_lo, 0x72, v20
	v_cndmask_b32_e32 v16, 0, v16, vcc_lo
	v_cmp_eq_u32_e32 vcc_lo, 0, v20
	s_delay_alu instid0(VALU_DEP_2) | instskip(NEXT) | instid1(VALU_DEP_1)
	v_cndmask_b32_e64 v21, v16, 0x70, vcc_lo
	v_dual_cndmask_b32 v24, v24, v38, vcc_lo :: v_dual_add_nc_u32 v16, 21, v21
	v_add_nc_u32_e32 v31, 20, v21
	s_delay_alu instid0(VALU_DEP_2) | instskip(NEXT) | instid1(VALU_DEP_2)
	v_lshlrev_b64_e64 v[16:17], v16, -1
	v_lshlrev_b64_e64 v[82:83], v31, 1
	s_delay_alu instid0(VALU_DEP_2) | instskip(NEXT) | instid1(VALU_DEP_3)
	v_bfi_b32 v87, v17, 0, 0
	v_bfi_b32 v86, v16, 0, v24
	v_lshrrev_b64 v[16:17], v21, v[24:25]
	s_delay_alu instid0(VALU_DEP_2) | instskip(NEXT) | instid1(VALU_DEP_2)
	v_cmp_eq_u64_e64 s10, v[86:87], v[82:83]
	v_mov_b64_e32 v[82:83], v[16:17]
	s_and_saveexec_b32 s40, s10
; %bb.4688:                             ;   in Loop: Header=BB4_3452 Depth=2
	v_bfe_u32 v24, v16, 21, 1
	v_mov_b32_e32 v25, v39
	s_delay_alu instid0(VALU_DEP_1) | instskip(NEXT) | instid1(VALU_DEP_1)
	v_add_nc_u64_e32 v[24:25], v[16:17], v[24:25]
	v_add_nc_u64_e32 v[82:83], -1, v[24:25]
; %bb.4689:                             ;   in Loop: Header=BB4_3452 Depth=2
	s_or_b32 exec_lo, exec_lo, s40
	v_add_nc_u32_e32 v17, 0xffffff81, v20
	s_delay_alu instid0(VALU_DEP_2) | instskip(SKIP_2) | instid1(VALU_DEP_3)
	v_and_b32_e32 v24, 0x1fffff, v82
	v_lshrrev_b32_e32 v20, 23, v16
	s_mov_b32 s10, exec_lo
	v_cndmask_b32_e64 v17, v17, 0xffffff82, vcc_lo
	s_delay_alu instid0(VALU_DEP_3) | instskip(NEXT) | instid1(VALU_DEP_2)
	v_add_nc_u32_e32 v38, v24, v16
	v_add3_u32 v21, v21, v17, v20
                                        ; implicit-def: $vgpr16_vgpr17
                                        ; implicit-def: $vgpr20
	s_delay_alu instid0(VALU_DEP_1) | instskip(NEXT) | instid1(VALU_DEP_1)
	v_add_nc_u32_e32 v82, 14, v21
	v_cmpx_ne_u32_e32 0, v82
	s_xor_b32 s10, exec_lo, s10
; %bb.4690:                             ;   in Loop: Header=BB4_3452 Depth=2
	v_cmp_lt_u64_e32 vcc_lo, 0xffffff, v[38:39]
	v_add_nc_u32_e32 v16, 15, v21
	s_delay_alu instid0(VALU_DEP_1) | instskip(SKIP_1) | instid1(VALU_DEP_1)
	v_cndmask_b32_e32 v20, v82, v16, vcc_lo
	v_cndmask_b32_e64 v16, 0, 1, vcc_lo
	v_lshrrev_b64 v[16:17], v16, v[38:39]
; %bb.4691:                             ;   in Loop: Header=BB4_3452 Depth=2
	s_and_not1_saveexec_b32 s10, s10
; %bb.4692:                             ;   in Loop: Header=BB4_3452 Depth=2
	v_mov_b64_e32 v[16:17], v[38:39]
	v_bfe_u32 v20, v38, 23, 1
; %bb.4693:                             ;   in Loop: Header=BB4_3452 Depth=2
	s_or_b32 exec_lo, exec_lo, s10
	s_delay_alu instid0(VALU_DEP_2) | instskip(NEXT) | instid1(VALU_DEP_2)
	v_lshrrev_b64 v[16:17], 21, v[16:17]
	v_cmp_gt_i32_e32 vcc_lo, 32, v20
	v_cmp_ne_u32_e64 s10, 0, v20
	s_delay_alu instid0(VALU_DEP_3) | instskip(NEXT) | instid1(VALU_DEP_1)
	v_dual_cndmask_b32 v17, 0, v17 :: v_dual_cndmask_b32 v16, 3, v16
	v_cmp_ne_u64_e32 vcc_lo, 0, v[16:17]
                                        ; implicit-def: $vgpr17
	s_or_b32 s10, s10, vcc_lo
	s_delay_alu instid0(SALU_CYCLE_1) | instskip(NEXT) | instid1(SALU_CYCLE_1)
	s_and_saveexec_b32 s40, s10
	s_xor_b32 s10, exec_lo, s40
; %bb.4694:                             ;   in Loop: Header=BB4_3452 Depth=2
	v_min_i32_e32 v17, 31, v20
	s_delay_alu instid0(VALU_DEP_1) | instskip(NEXT) | instid1(VALU_DEP_1)
	v_lshl_or_b32 v17, v17, 2, v84
                                        ; implicit-def: $vgpr84
	v_and_or_b32 v17, v16, 3, v17
; %bb.4695:                             ;   in Loop: Header=BB4_3452 Depth=2
	s_and_not1_saveexec_b32 s10, s10
; %bb.4696:                             ;   in Loop: Header=BB4_3452 Depth=2
	v_mov_b32_e32 v17, v84
; %bb.4697:                             ;   in Loop: Header=BB4_3452 Depth=2
	s_or_b32 exec_lo, exec_lo, s10
.LBB4_4698:                             ;   in Loop: Header=BB4_3452 Depth=2
	s_delay_alu instid0(SALU_CYCLE_1)
	s_or_b32 exec_lo, exec_lo, s29
                                        ; implicit-def: $vgpr84
.LBB4_4699:                             ;   in Loop: Header=BB4_3452 Depth=2
	s_and_not1_saveexec_b32 s10, s28
; %bb.4700:                             ;   in Loop: Header=BB4_3452 Depth=2
	v_or_b32_e32 v17, 0x7b, v84
; %bb.4701:                             ;   in Loop: Header=BB4_3452 Depth=2
	s_or_b32 exec_lo, exec_lo, s10
                                        ; implicit-def: $vgpr16
.LBB4_4702:                             ;   in Loop: Header=BB4_3452 Depth=2
	s_and_not1_saveexec_b32 s10, s11
	s_cbranch_execz .LBB4_3451
; %bb.4703:                             ;   in Loop: Header=BB4_3452 Depth=2
	s_mov_b32 s11, exec_lo
                                        ; implicit-def: $vgpr17
	v_cmpx_ne_u64_e32 0, v[38:39]
	s_xor_b32 s11, exec_lo, s11
; %bb.4704:                             ;   in Loop: Header=BB4_3452 Depth=2
	v_lshrrev_b32_e32 v16, 24, v16
	s_delay_alu instid0(VALU_DEP_1)
	v_or_b32_e32 v17, 0x7f, v16
                                        ; implicit-def: $vgpr16
; %bb.4705:                             ;   in Loop: Header=BB4_3452 Depth=2
	s_and_not1_saveexec_b32 s11, s11
	s_cbranch_execz .LBB4_3450
; %bb.4706:                             ;   in Loop: Header=BB4_3452 Depth=2
	v_cmp_lt_i32_e32 vcc_lo, -1, v16
	v_cndmask_b32_e64 v17, -4, 0x7c, vcc_lo
	s_branch .LBB4_3450
.LBB4_4707:                             ;   in Loop: Header=BB4_49 Depth=1
	s_or_b32 exec_lo, exec_lo, s27
.LBB4_4708:                             ;   in Loop: Header=BB4_49 Depth=1
	s_delay_alu instid0(SALU_CYCLE_1) | instskip(SKIP_1) | instid1(VALU_DEP_1)
	s_or_b32 exec_lo, exec_lo, s26
	v_and_b32_e32 v2, 0xfffffe00, v71
	v_cmp_ne_u32_e32 vcc_lo, v71, v2
	s_and_b32 exec_lo, exec_lo, vcc_lo
	s_cbranch_execz .LBB4_4798
; %bb.4709:                             ;   in Loop: Header=BB4_49 Depth=1
	v_dual_lshlrev_b32 v3, 5, v3 :: v_dual_lshlrev_b32 v10, 5, v81
	s_delay_alu instid0(VALU_DEP_1) | instskip(NEXT) | instid1(VALU_DEP_1)
	v_sub_nc_u32_e32 v0, v0, v3
	v_sub_nc_u32_e32 v3, v0, v10
	v_and_b32_e32 v0, 0x1ff, v71
	s_delay_alu instid0(VALU_DEP_1) | instskip(NEXT) | instid1(VALU_DEP_1)
	v_sub_nc_u32_e32 v0, v0, v3
	v_cmp_lt_i32_e32 vcc_lo, 0, v0
	s_and_b32 exec_lo, exec_lo, vcc_lo
	s_cbranch_execz .LBB4_4798
; %bb.4710:                             ;   in Loop: Header=BB4_49 Depth=1
	s_trap 2
	ds_load_b128 v[10:13], v0
	ds_load_b64 v[14:15], v0
	v_add3_u32 v2, v2, v30, v3
	s_mov_b32 s26, 0
	s_delay_alu instid0(VALU_DEP_1) | instskip(SKIP_1) | instid1(VALU_DEP_1)
	v_ashrrev_i32_e32 v3, 31, v2
	s_wait_dscnt 0x1
	v_add_nc_u64_e32 v[10:11], v[10:11], v[2:3]
	v_add_nc_u64_e32 v[12:13], v[12:13], v[2:3]
	s_wait_dscnt 0x0
	v_add_nc_u64_e32 v[14:15], v[14:15], v[2:3]
	s_branch .LBB4_4713
.LBB4_4711:                             ;   in Loop: Header=BB4_4713 Depth=2
	s_or_b32 exec_lo, exec_lo, s11
.LBB4_4712:                             ;   in Loop: Header=BB4_4713 Depth=2
	s_delay_alu instid0(SALU_CYCLE_1)
	s_or_b32 exec_lo, exec_lo, s10
	v_sub_nc_u32_e32 v0, v0, v64
	flat_store_b8 v[14:15], v3 th:TH_STORE_NT
	v_add_nc_u64_e32 v[10:11], v[10:11], v[64:65]
	v_add_nc_u64_e32 v[12:13], v[12:13], v[64:65]
	s_wait_xcnt 0x0
	v_add_nc_u64_e32 v[14:15], v[14:15], v[64:65]
	v_cmp_gt_i32_e32 vcc_lo, 1, v0
	s_or_b32 s26, vcc_lo, s26
	s_delay_alu instid0(SALU_CYCLE_1)
	s_and_not1_b32 exec_lo, exec_lo, s26
	s_cbranch_execz .LBB4_4798
.LBB4_4713:                             ;   Parent Loop BB4_49 Depth=1
                                        ; =>  This Inner Loop Header: Depth=2
	s_trap 2
	ds_load_b64 v[2:3], v0
	s_mov_b32 s27, 0
	s_wait_dscnt 0x0
	v_and_b32_e32 v16, 0xff, v2
	v_readfirstlane_b32 s10, v2
	v_readfirstlane_b32 s11, v3
	s_delay_alu instid0(VALU_DEP_3)
	v_cmp_eq_u32_e32 vcc_lo, 0, v16
	s_cbranch_vccnz .LBB4_4721
; %bb.4714:                             ;   in Loop: Header=BB4_4713 Depth=2
	s_bfe_i32 s29, s10, 0x80000
	s_delay_alu instid0(SALU_CYCLE_1) | instskip(NEXT) | instid1(SALU_CYCLE_1)
	s_and_b32 s27, 0xffff, s29
	s_cmp_eq_u32 s27, 0xff80
	s_brev_b32 s27, 1
	s_cbranch_scc1 .LBB4_4721
; %bb.4715:                             ;   in Loop: Header=BB4_4713 Depth=2
	s_and_b32 s27, s10, 0x7c
	s_and_b32 s28, s10, 3
	s_mov_b32 s40, -1
	s_cmp_lg_u32 s27, 0x7c
	s_sext_i32_i16 s29, s29
                                        ; implicit-def: $sgpr27
	s_cbranch_scc0 .LBB4_4719
; %bb.4716:                             ;   in Loop: Header=BB4_4713 Depth=2
	s_bfe_u32 s27, s10, 0x50002
	s_mov_b32 s40, s28
	s_cmp_lg_u32 s27, 0
	s_cbranch_scc1 .LBB4_4718
; %bb.4717:                             ;   in Loop: Header=BB4_4713 Depth=2
	s_clz_i32_u32 s27, s28
	s_delay_alu instid0(SALU_CYCLE_1) | instskip(NEXT) | instid1(SALU_CYCLE_1)
	s_min_u32 s27, s27, 32
	s_sub_co_i32 s40, s27, 29
	s_sub_co_i32 s27, 30, s27
	s_lshl_b64 s[10:11], s[10:11], s40
	s_delay_alu instid0(SALU_CYCLE_1)
	s_and_b32 s40, s10, 3
.LBB4_4718:                             ;   in Loop: Header=BB4_4713 Depth=2
	s_and_b32 s10, s29, 0x80000000
	s_lshl_b32 s11, s27, 23
	s_lshl_b32 s27, s40, 21
	s_add_co_i32 s11, s11, s10
	s_mov_b32 s40, 0
	s_or_b32 s10, s11, s27
	s_delay_alu instid0(SALU_CYCLE_1)
	s_add_co_i32 s27, s10, 0x38000000
.LBB4_4719:                             ;   in Loop: Header=BB4_4713 Depth=2
	s_and_b32 vcc_lo, exec_lo, s40
	s_cbranch_vccz .LBB4_4721
; %bb.4720:                             ;   in Loop: Header=BB4_4713 Depth=2
	s_cmp_gt_i32 s29, -1
	s_cselect_b32 s10, s22, 0xff800000
	s_cmp_eq_u32 s28, 0
	s_cselect_b32 s27, s10, 0x7f800001
.LBB4_4721:                             ;   in Loop: Header=BB4_4713 Depth=2
	flat_load_i8 v16, v[10:11] th:TH_LOAD_NT
	v_mov_b32_e32 v3, 0
	s_mov_b32 s10, exec_lo
	s_wait_loadcnt_dscnt 0x0
	v_cmpx_ne_u16_e32 0, v16
	s_cbranch_execz .LBB4_4731
; %bb.4722:                             ;   in Loop: Header=BB4_4713 Depth=2
	v_bfrev_b32_e32 v3, 1
	s_mov_b32 s11, exec_lo
	v_cmpx_ne_u16_e32 0xff80, v16
	s_cbranch_execz .LBB4_4730
; %bb.4723:                             ;   in Loop: Header=BB4_4713 Depth=2
	v_and_b32_e32 v3, 0x7c, v16
	v_and_b32_e32 v2, 3, v16
	s_delay_alu instid0(VALU_DEP_2) | instskip(SKIP_1) | instid1(SALU_CYCLE_1)
	v_cmp_ne_u32_e32 vcc_lo, 0x7c, v3
                                        ; implicit-def: $vgpr3
	s_and_saveexec_b32 s28, vcc_lo
	s_xor_b32 s28, exec_lo, s28
	s_cbranch_execz .LBB4_4727
; %bb.4724:                             ;   in Loop: Header=BB4_4713 Depth=2
	v_and_b32_e32 v3, 0xff, v16
	s_mov_b32 s29, exec_lo
	s_delay_alu instid0(VALU_DEP_1) | instskip(NEXT) | instid1(VALU_DEP_1)
	v_bfe_u32 v3, v3, 2, 5
	v_cmpx_eq_u32_e32 0, v3
; %bb.4725:                             ;   in Loop: Header=BB4_4713 Depth=2
	v_clz_i32_u32_e32 v2, v2
	s_delay_alu instid0(VALU_DEP_1) | instskip(SKIP_1) | instid1(VALU_DEP_2)
	v_min_u32_e32 v20, 32, v2
	v_mov_b32_e32 v17, v39
	v_subrev_nc_u32_e32 v2, 29, v20
	s_delay_alu instid0(VALU_DEP_1) | instskip(NEXT) | instid1(VALU_DEP_1)
	v_lshlrev_b64_e32 v[2:3], v2, v[16:17]
	v_dual_sub_nc_u32 v3, 30, v20 :: v_dual_bitop2_b32 v2, 3, v2 bitop3:0x40
; %bb.4726:                             ;   in Loop: Header=BB4_4713 Depth=2
	s_or_b32 exec_lo, exec_lo, s29
	v_bfe_i32 v16, v16, 0, 16
	s_delay_alu instid0(VALU_DEP_1) | instskip(NEXT) | instid1(VALU_DEP_1)
	v_and_b32_e32 v16, 0x80000000, v16
	v_lshl_add_u32 v3, v3, 23, v16
                                        ; implicit-def: $vgpr16
	s_delay_alu instid0(VALU_DEP_1) | instskip(NEXT) | instid1(VALU_DEP_1)
	v_lshl_or_b32 v2, v2, 21, v3
	v_add_nc_u32_e32 v3, 0x38000000, v2
                                        ; implicit-def: $vgpr2
.LBB4_4727:                             ;   in Loop: Header=BB4_4713 Depth=2
	s_and_not1_saveexec_b32 s28, s28
; %bb.4728:                             ;   in Loop: Header=BB4_4713 Depth=2
	v_cmp_lt_i16_e32 vcc_lo, -1, v16
	v_cndmask_b32_e32 v3, 0xff800000, v126, vcc_lo
	v_cmp_eq_u32_e32 vcc_lo, 0, v2
	s_delay_alu instid0(VALU_DEP_2)
	v_cndmask_b32_e32 v3, 0x7f800001, v3, vcc_lo
; %bb.4729:                             ;   in Loop: Header=BB4_4713 Depth=2
	s_or_b32 exec_lo, exec_lo, s28
.LBB4_4730:                             ;   in Loop: Header=BB4_4713 Depth=2
	s_delay_alu instid0(SALU_CYCLE_1)
	s_or_b32 exec_lo, exec_lo, s11
.LBB4_4731:                             ;   in Loop: Header=BB4_4713 Depth=2
	s_delay_alu instid0(SALU_CYCLE_1) | instskip(NEXT) | instid1(VALU_DEP_1)
	s_or_b32 exec_lo, exec_lo, s10
	v_dual_mul_f32 v3, s27, v3 :: v_dual_mov_b32 v17, v39
	s_delay_alu instid0(VALU_DEP_1) | instskip(SKIP_1) | instid1(VALU_DEP_2)
	v_and_b32_e32 v16, 0x7f800000, v3
	v_and_b32_e32 v38, 0x7fffff, v3
	v_cmp_ne_u64_e32 vcc_lo, 0x7f800000, v[16:17]
                                        ; implicit-def: $vgpr16
	s_and_saveexec_b32 s10, vcc_lo
	s_delay_alu instid0(SALU_CYCLE_1)
	s_xor_b32 s11, exec_lo, s10
	s_cbranch_execz .LBB4_4749
; %bb.4732:                             ;   in Loop: Header=BB4_4713 Depth=2
	v_and_b32_e32 v16, 0x7fffffff, v3
	v_dual_mov_b32 v17, v39 :: v_dual_lshrrev_b32 v2, 24, v3
	s_delay_alu instid0(VALU_DEP_1) | instskip(NEXT) | instid1(VALU_DEP_2)
	v_cmp_gt_u64_e32 vcc_lo, 0x47600001, v[16:17]
	v_and_b32_e32 v2, 0x80, v2
                                        ; implicit-def: $vgpr16
	s_and_saveexec_b32 s10, vcc_lo
	s_delay_alu instid0(SALU_CYCLE_1)
	s_xor_b32 s27, exec_lo, s10
	s_cbranch_execz .LBB4_4746
; %bb.4733:                             ;   in Loop: Header=BB4_4713 Depth=2
	v_mov_b32_e32 v16, 0
	s_mov_b32 s28, exec_lo
	v_cmpx_ne_u32_e32 0, v3
	s_cbranch_execz .LBB4_4745
; %bb.4734:                             ;   in Loop: Header=BB4_4713 Depth=2
	v_bfe_u32 v3, v3, 23, 8
	v_or_b32_e32 v21, 0x800000, v38
	s_delay_alu instid0(VALU_DEP_2) | instskip(SKIP_1) | instid1(VALU_DEP_2)
	v_dual_mov_b32 v25, v39 :: v_dual_sub_nc_u32 v16, 0x71, v3
	v_cmp_gt_u32_e32 vcc_lo, 0x72, v3
	v_cndmask_b32_e32 v16, 0, v16, vcc_lo
	v_cmp_eq_u32_e32 vcc_lo, 0, v3
	v_cndmask_b32_e32 v24, v21, v38, vcc_lo
	s_delay_alu instid0(VALU_DEP_3) | instskip(NEXT) | instid1(VALU_DEP_1)
	v_cndmask_b32_e64 v20, v16, 0x70, vcc_lo
	v_dual_add_nc_u32 v16, 21, v20 :: v_dual_add_nc_u32 v30, 20, v20
	s_delay_alu instid0(VALU_DEP_1) | instskip(NEXT) | instid1(VALU_DEP_2)
	v_lshlrev_b64_e64 v[16:17], v16, -1
	v_lshlrev_b64_e64 v[30:31], v30, 1
	s_delay_alu instid0(VALU_DEP_2) | instskip(NEXT) | instid1(VALU_DEP_3)
	v_bfi_b32 v83, v17, 0, 0
	v_bfi_b32 v82, v16, 0, v24
	v_lshrrev_b64 v[16:17], v20, v[24:25]
	s_delay_alu instid0(VALU_DEP_2) | instskip(NEXT) | instid1(VALU_DEP_2)
	v_cmp_eq_u64_e64 s10, v[82:83], v[30:31]
	v_mov_b64_e32 v[82:83], v[16:17]
	s_and_saveexec_b32 s29, s10
; %bb.4735:                             ;   in Loop: Header=BB4_4713 Depth=2
	v_bfe_u32 v24, v16, 21, 1
	v_mov_b32_e32 v25, v39
	s_delay_alu instid0(VALU_DEP_1) | instskip(NEXT) | instid1(VALU_DEP_1)
	v_add_nc_u64_e32 v[24:25], v[16:17], v[24:25]
	v_add_nc_u64_e32 v[82:83], -1, v[24:25]
; %bb.4736:                             ;   in Loop: Header=BB4_4713 Depth=2
	s_or_b32 exec_lo, exec_lo, s29
	v_add_nc_u32_e32 v3, 0xffffff81, v3
	s_delay_alu instid0(VALU_DEP_2) | instskip(SKIP_2) | instid1(VALU_DEP_3)
	v_and_b32_e32 v21, 0x1fffff, v82
	v_lshrrev_b32_e32 v17, 23, v16
	s_mov_b32 s10, exec_lo
	v_cndmask_b32_e64 v3, v3, 0xffffff82, vcc_lo
	s_delay_alu instid0(VALU_DEP_3) | instskip(NEXT) | instid1(VALU_DEP_2)
	v_add_nc_u32_e32 v38, v21, v16
	v_add3_u32 v20, v20, v3, v17
                                        ; implicit-def: $vgpr16_vgpr17
                                        ; implicit-def: $vgpr3
	s_delay_alu instid0(VALU_DEP_1) | instskip(NEXT) | instid1(VALU_DEP_1)
	v_add_nc_u32_e32 v21, 14, v20
	v_cmpx_ne_u32_e32 0, v21
	s_xor_b32 s10, exec_lo, s10
; %bb.4737:                             ;   in Loop: Header=BB4_4713 Depth=2
	v_cmp_lt_u64_e32 vcc_lo, 0xffffff, v[38:39]
	v_add_nc_u32_e32 v3, 15, v20
	v_cndmask_b32_e64 v16, 0, 1, vcc_lo
	s_delay_alu instid0(VALU_DEP_2) | instskip(NEXT) | instid1(VALU_DEP_2)
	v_cndmask_b32_e32 v3, v21, v3, vcc_lo
	v_lshrrev_b64 v[16:17], v16, v[38:39]
; %bb.4738:                             ;   in Loop: Header=BB4_4713 Depth=2
	s_and_not1_saveexec_b32 s10, s10
; %bb.4739:                             ;   in Loop: Header=BB4_4713 Depth=2
	v_mov_b64_e32 v[16:17], v[38:39]
	v_bfe_u32 v3, v38, 23, 1
; %bb.4740:                             ;   in Loop: Header=BB4_4713 Depth=2
	s_or_b32 exec_lo, exec_lo, s10
	s_delay_alu instid0(VALU_DEP_2) | instskip(NEXT) | instid1(VALU_DEP_2)
	v_lshrrev_b64 v[16:17], 21, v[16:17]
	v_cmp_gt_i32_e32 vcc_lo, 32, v3
	v_cmp_ne_u32_e64 s10, 0, v3
	s_delay_alu instid0(VALU_DEP_3) | instskip(NEXT) | instid1(VALU_DEP_1)
	v_dual_cndmask_b32 v83, 0, v17 :: v_dual_cndmask_b32 v82, 3, v16
                                        ; implicit-def: $vgpr16
	v_cmp_ne_u64_e32 vcc_lo, 0, v[82:83]
	s_or_b32 s10, s10, vcc_lo
	s_delay_alu instid0(SALU_CYCLE_1) | instskip(NEXT) | instid1(SALU_CYCLE_1)
	s_and_saveexec_b32 s29, s10
	s_xor_b32 s10, exec_lo, s29
; %bb.4741:                             ;   in Loop: Header=BB4_4713 Depth=2
	v_min_i32_e32 v3, 31, v3
	s_delay_alu instid0(VALU_DEP_1) | instskip(NEXT) | instid1(VALU_DEP_1)
	v_lshl_or_b32 v2, v3, 2, v2
	v_and_or_b32 v16, v82, 3, v2
                                        ; implicit-def: $vgpr2
; %bb.4742:                             ;   in Loop: Header=BB4_4713 Depth=2
	s_and_not1_saveexec_b32 s10, s10
; %bb.4743:                             ;   in Loop: Header=BB4_4713 Depth=2
	v_mov_b32_e32 v16, v2
; %bb.4744:                             ;   in Loop: Header=BB4_4713 Depth=2
	s_or_b32 exec_lo, exec_lo, s10
.LBB4_4745:                             ;   in Loop: Header=BB4_4713 Depth=2
	s_delay_alu instid0(SALU_CYCLE_1)
	s_or_b32 exec_lo, exec_lo, s28
                                        ; implicit-def: $vgpr2
.LBB4_4746:                             ;   in Loop: Header=BB4_4713 Depth=2
	s_and_not1_saveexec_b32 s10, s27
; %bb.4747:                             ;   in Loop: Header=BB4_4713 Depth=2
	v_or_b32_e32 v16, 0x7b, v2
; %bb.4748:                             ;   in Loop: Header=BB4_4713 Depth=2
	s_or_b32 exec_lo, exec_lo, s10
                                        ; implicit-def: $vgpr3
.LBB4_4749:                             ;   in Loop: Header=BB4_4713 Depth=2
	s_and_not1_saveexec_b32 s10, s11
	s_cbranch_execz .LBB4_4755
; %bb.4750:                             ;   in Loop: Header=BB4_4713 Depth=2
	s_mov_b32 s11, exec_lo
                                        ; implicit-def: $vgpr16
	v_cmpx_ne_u64_e32 0, v[38:39]
	s_xor_b32 s11, exec_lo, s11
; %bb.4751:                             ;   in Loop: Header=BB4_4713 Depth=2
	v_lshrrev_b32_e32 v2, 24, v3
                                        ; implicit-def: $vgpr3
	s_delay_alu instid0(VALU_DEP_1)
	v_or_b32_e32 v16, 0x7f, v2
; %bb.4752:                             ;   in Loop: Header=BB4_4713 Depth=2
	s_and_not1_saveexec_b32 s11, s11
; %bb.4753:                             ;   in Loop: Header=BB4_4713 Depth=2
	v_cmp_lt_i32_e32 vcc_lo, -1, v3
	v_cndmask_b32_e64 v16, -4, 0x7c, vcc_lo
; %bb.4754:                             ;   in Loop: Header=BB4_4713 Depth=2
	s_or_b32 exec_lo, exec_lo, s11
.LBB4_4755:                             ;   in Loop: Header=BB4_4713 Depth=2
	s_delay_alu instid0(SALU_CYCLE_1)
	s_or_b32 exec_lo, exec_lo, s10
	flat_load_i8 v82, v[12:13] th:TH_LOAD_NT
	v_and_b32_e32 v20, 0xff, v16
	v_dual_mov_b32 v2, 0 :: v_dual_mov_b32 v3, 0
	s_mov_b32 s10, exec_lo
	s_wait_xcnt 0x0
	s_delay_alu instid0(VALU_DEP_2)
	v_cmpx_ne_u16_e32 0, v20
	s_cbranch_execz .LBB4_4765
; %bb.4756:                             ;   in Loop: Header=BB4_4713 Depth=2
	v_bfrev_b32_e32 v3, 1
	s_mov_b32 s11, exec_lo
	v_cmpx_ne_u16_e32 0x80, v20
	s_cbranch_execz .LBB4_4764
; %bb.4757:                             ;   in Loop: Header=BB4_4713 Depth=2
	v_and_b32_e32 v3, 0x7c, v16
	v_and_b32_e32 v17, 3, v16
	s_delay_alu instid0(VALU_DEP_2) | instskip(SKIP_1) | instid1(SALU_CYCLE_1)
	v_cmp_ne_u32_e32 vcc_lo, 0x7c, v3
                                        ; implicit-def: $vgpr3
	s_and_saveexec_b32 s27, vcc_lo
	s_xor_b32 s27, exec_lo, s27
	s_cbranch_execz .LBB4_4761
; %bb.4758:                             ;   in Loop: Header=BB4_4713 Depth=2
	v_bfe_u32 v3, v20, 2, 5
	s_mov_b32 s28, exec_lo
	s_delay_alu instid0(VALU_DEP_1)
	v_cmpx_eq_u32_e32 0, v3
	s_cbranch_execz .LBB4_4760
; %bb.4759:                             ;   in Loop: Header=BB4_4713 Depth=2
	v_clz_i32_u32_e32 v3, v17
	s_delay_alu instid0(VALU_DEP_1) | instskip(SKIP_1) | instid1(VALU_DEP_2)
	v_min_u32_e32 v3, 32, v3
	v_mov_b32_e32 v17, v39
	v_subrev_nc_u32_e32 v20, 29, v3
	v_sub_nc_u32_e32 v3, 30, v3
	s_delay_alu instid0(VALU_DEP_2) | instskip(NEXT) | instid1(VALU_DEP_1)
	v_lshlrev_b64_e32 v[20:21], v20, v[16:17]
	v_and_b32_e32 v17, 3, v20
.LBB4_4760:                             ;   in Loop: Header=BB4_4713 Depth=2
	s_or_b32 exec_lo, exec_lo, s28
	v_lshlrev_b32_e32 v16, 24, v16
	s_delay_alu instid0(VALU_DEP_1) | instskip(NEXT) | instid1(VALU_DEP_1)
	v_and_b32_e32 v16, 0x80000000, v16
	v_lshl_add_u32 v3, v3, 23, v16
                                        ; implicit-def: $vgpr16
	s_delay_alu instid0(VALU_DEP_1) | instskip(NEXT) | instid1(VALU_DEP_1)
	v_lshl_or_b32 v3, v17, 21, v3
                                        ; implicit-def: $vgpr17
	v_add_nc_u32_e32 v3, 0x38000000, v3
.LBB4_4761:                             ;   in Loop: Header=BB4_4713 Depth=2
	s_and_not1_saveexec_b32 s27, s27
; %bb.4762:                             ;   in Loop: Header=BB4_4713 Depth=2
	v_bfe_i32 v3, v16, 0, 8
	s_delay_alu instid0(VALU_DEP_1) | instskip(SKIP_2) | instid1(VALU_DEP_2)
	v_cmp_lt_i16_e32 vcc_lo, -1, v3
	v_cndmask_b32_e32 v3, 0xff800000, v126, vcc_lo
	v_cmp_eq_u32_e32 vcc_lo, 0, v17
	v_cndmask_b32_e32 v3, 0x7f800001, v3, vcc_lo
; %bb.4763:                             ;   in Loop: Header=BB4_4713 Depth=2
	s_or_b32 exec_lo, exec_lo, s27
.LBB4_4764:                             ;   in Loop: Header=BB4_4713 Depth=2
	s_delay_alu instid0(SALU_CYCLE_1)
	s_or_b32 exec_lo, exec_lo, s11
.LBB4_4765:                             ;   in Loop: Header=BB4_4713 Depth=2
	s_delay_alu instid0(SALU_CYCLE_1) | instskip(NEXT) | instid1(SALU_CYCLE_1)
	s_or_b32 exec_lo, exec_lo, s10
	s_mov_b32 s10, exec_lo
	s_wait_loadcnt_dscnt 0x0
	v_cmpx_ne_u16_e32 0, v82
	s_cbranch_execz .LBB4_4775
; %bb.4766:                             ;   in Loop: Header=BB4_4713 Depth=2
	v_bfrev_b32_e32 v2, 1
	s_mov_b32 s11, exec_lo
	v_cmpx_ne_u16_e32 0xff80, v82
	s_cbranch_execz .LBB4_4774
; %bb.4767:                             ;   in Loop: Header=BB4_4713 Depth=2
	v_and_b32_e32 v2, 0x7c, v82
	v_and_b32_e32 v16, 3, v82
	s_delay_alu instid0(VALU_DEP_2) | instskip(SKIP_1) | instid1(SALU_CYCLE_1)
	v_cmp_ne_u32_e32 vcc_lo, 0x7c, v2
                                        ; implicit-def: $vgpr2
	s_and_saveexec_b32 s27, vcc_lo
	s_xor_b32 s27, exec_lo, s27
	s_cbranch_execz .LBB4_4771
; %bb.4768:                             ;   in Loop: Header=BB4_4713 Depth=2
	v_and_b32_e32 v2, 0xff, v82
	s_mov_b32 s28, exec_lo
	s_delay_alu instid0(VALU_DEP_1) | instskip(NEXT) | instid1(VALU_DEP_1)
	v_bfe_u32 v2, v2, 2, 5
	v_cmpx_eq_u32_e32 0, v2
	s_cbranch_execz .LBB4_4770
; %bb.4769:                             ;   in Loop: Header=BB4_4713 Depth=2
	v_clz_i32_u32_e32 v2, v16
	s_delay_alu instid0(VALU_DEP_1) | instskip(SKIP_1) | instid1(VALU_DEP_2)
	v_min_u32_e32 v2, 32, v2
	v_mov_b32_e32 v83, v39
	v_subrev_nc_u32_e32 v16, 29, v2
	v_sub_nc_u32_e32 v2, 30, v2
	s_delay_alu instid0(VALU_DEP_2) | instskip(NEXT) | instid1(VALU_DEP_1)
	v_lshlrev_b64_e32 v[16:17], v16, v[82:83]
	v_and_b32_e32 v16, 3, v16
.LBB4_4770:                             ;   in Loop: Header=BB4_4713 Depth=2
	s_or_b32 exec_lo, exec_lo, s28
	v_bfe_i32 v17, v82, 0, 16
                                        ; implicit-def: $vgpr82
	s_delay_alu instid0(VALU_DEP_1) | instskip(NEXT) | instid1(VALU_DEP_1)
	v_and_b32_e32 v17, 0x80000000, v17
	v_lshl_add_u32 v2, v2, 23, v17
	s_delay_alu instid0(VALU_DEP_1) | instskip(NEXT) | instid1(VALU_DEP_1)
	v_lshl_or_b32 v2, v16, 21, v2
                                        ; implicit-def: $vgpr16
	v_add_nc_u32_e32 v2, 0x38000000, v2
.LBB4_4771:                             ;   in Loop: Header=BB4_4713 Depth=2
	s_and_not1_saveexec_b32 s27, s27
; %bb.4772:                             ;   in Loop: Header=BB4_4713 Depth=2
	v_cmp_lt_i16_e32 vcc_lo, -1, v82
	v_cndmask_b32_e32 v2, 0xff800000, v126, vcc_lo
	v_cmp_eq_u32_e32 vcc_lo, 0, v16
	s_delay_alu instid0(VALU_DEP_2)
	v_cndmask_b32_e32 v2, 0x7f800001, v2, vcc_lo
; %bb.4773:                             ;   in Loop: Header=BB4_4713 Depth=2
	s_or_b32 exec_lo, exec_lo, s27
.LBB4_4774:                             ;   in Loop: Header=BB4_4713 Depth=2
	s_delay_alu instid0(SALU_CYCLE_1)
	s_or_b32 exec_lo, exec_lo, s11
.LBB4_4775:                             ;   in Loop: Header=BB4_4713 Depth=2
	s_delay_alu instid0(SALU_CYCLE_1) | instskip(NEXT) | instid1(VALU_DEP_1)
	s_or_b32 exec_lo, exec_lo, s10
	v_add_f32_e32 v16, v3, v2
	v_mov_b32_e32 v3, v39
	s_delay_alu instid0(VALU_DEP_2) | instskip(SKIP_1) | instid1(VALU_DEP_2)
	v_and_b32_e32 v2, 0x7f800000, v16
	v_and_b32_e32 v38, 0x7fffff, v16
	v_cmp_ne_u64_e32 vcc_lo, 0x7f800000, v[2:3]
                                        ; implicit-def: $vgpr3
	s_and_saveexec_b32 s10, vcc_lo
	s_delay_alu instid0(SALU_CYCLE_1)
	s_xor_b32 s11, exec_lo, s10
	s_cbranch_execz .LBB4_4793
; %bb.4776:                             ;   in Loop: Header=BB4_4713 Depth=2
	v_and_b32_e32 v2, 0x7fffffff, v16
	v_dual_mov_b32 v3, v39 :: v_dual_lshrrev_b32 v17, 24, v16
	s_delay_alu instid0(VALU_DEP_1) | instskip(NEXT) | instid1(VALU_DEP_2)
	v_cmp_gt_u64_e32 vcc_lo, 0x47600001, v[2:3]
	v_and_b32_e32 v2, 0x80, v17
                                        ; implicit-def: $vgpr3
	s_and_saveexec_b32 s10, vcc_lo
	s_delay_alu instid0(SALU_CYCLE_1)
	s_xor_b32 s27, exec_lo, s10
	s_cbranch_execz .LBB4_4790
; %bb.4777:                             ;   in Loop: Header=BB4_4713 Depth=2
	v_mov_b32_e32 v3, 0
	s_mov_b32 s28, exec_lo
	v_cmpx_ne_u32_e32 0, v16
	s_cbranch_execz .LBB4_4789
; %bb.4778:                             ;   in Loop: Header=BB4_4713 Depth=2
	v_bfe_u32 v3, v16, 23, 8
	v_or_b32_e32 v21, 0x800000, v38
	s_delay_alu instid0(VALU_DEP_2) | instskip(SKIP_1) | instid1(VALU_DEP_2)
	v_dual_mov_b32 v25, v39 :: v_dual_sub_nc_u32 v16, 0x71, v3
	v_cmp_gt_u32_e32 vcc_lo, 0x72, v3
	v_cndmask_b32_e32 v16, 0, v16, vcc_lo
	v_cmp_eq_u32_e32 vcc_lo, 0, v3
	v_cndmask_b32_e32 v24, v21, v38, vcc_lo
	s_delay_alu instid0(VALU_DEP_3) | instskip(NEXT) | instid1(VALU_DEP_1)
	v_cndmask_b32_e64 v20, v16, 0x70, vcc_lo
	v_dual_add_nc_u32 v16, 21, v20 :: v_dual_add_nc_u32 v30, 20, v20
	s_delay_alu instid0(VALU_DEP_1) | instskip(NEXT) | instid1(VALU_DEP_2)
	v_lshlrev_b64_e64 v[16:17], v16, -1
	v_lshlrev_b64_e64 v[30:31], v30, 1
	s_delay_alu instid0(VALU_DEP_2) | instskip(NEXT) | instid1(VALU_DEP_3)
	v_bfi_b32 v83, v17, 0, 0
	v_bfi_b32 v82, v16, 0, v24
	v_lshrrev_b64 v[16:17], v20, v[24:25]
	s_delay_alu instid0(VALU_DEP_2) | instskip(NEXT) | instid1(VALU_DEP_2)
	v_cmp_eq_u64_e64 s10, v[82:83], v[30:31]
	v_mov_b64_e32 v[82:83], v[16:17]
	s_and_saveexec_b32 s29, s10
; %bb.4779:                             ;   in Loop: Header=BB4_4713 Depth=2
	v_bfe_u32 v24, v16, 21, 1
	v_mov_b32_e32 v25, v39
	s_delay_alu instid0(VALU_DEP_1) | instskip(NEXT) | instid1(VALU_DEP_1)
	v_add_nc_u64_e32 v[24:25], v[16:17], v[24:25]
	v_add_nc_u64_e32 v[82:83], -1, v[24:25]
; %bb.4780:                             ;   in Loop: Header=BB4_4713 Depth=2
	s_or_b32 exec_lo, exec_lo, s29
	v_add_nc_u32_e32 v3, 0xffffff81, v3
	s_delay_alu instid0(VALU_DEP_2) | instskip(SKIP_2) | instid1(VALU_DEP_3)
	v_and_b32_e32 v21, 0x1fffff, v82
	v_lshrrev_b32_e32 v17, 23, v16
	s_mov_b32 s10, exec_lo
	v_cndmask_b32_e64 v3, v3, 0xffffff82, vcc_lo
	s_delay_alu instid0(VALU_DEP_3) | instskip(NEXT) | instid1(VALU_DEP_2)
	v_add_nc_u32_e32 v38, v21, v16
	v_add3_u32 v3, v20, v3, v17
                                        ; implicit-def: $vgpr16_vgpr17
                                        ; implicit-def: $vgpr20
	s_delay_alu instid0(VALU_DEP_1) | instskip(NEXT) | instid1(VALU_DEP_1)
	v_add_nc_u32_e32 v21, 14, v3
	v_cmpx_ne_u32_e32 0, v21
	s_xor_b32 s10, exec_lo, s10
; %bb.4781:                             ;   in Loop: Header=BB4_4713 Depth=2
	v_cmp_lt_u64_e32 vcc_lo, 0xffffff, v[38:39]
	v_add_nc_u32_e32 v3, 15, v3
	s_delay_alu instid0(VALU_DEP_1) | instskip(SKIP_1) | instid1(VALU_DEP_1)
	v_cndmask_b32_e32 v20, v21, v3, vcc_lo
	v_cndmask_b32_e64 v3, 0, 1, vcc_lo
	v_lshrrev_b64 v[16:17], v3, v[38:39]
; %bb.4782:                             ;   in Loop: Header=BB4_4713 Depth=2
	s_and_not1_saveexec_b32 s10, s10
; %bb.4783:                             ;   in Loop: Header=BB4_4713 Depth=2
	v_mov_b64_e32 v[16:17], v[38:39]
	v_bfe_u32 v20, v38, 23, 1
; %bb.4784:                             ;   in Loop: Header=BB4_4713 Depth=2
	s_or_b32 exec_lo, exec_lo, s10
	s_delay_alu instid0(VALU_DEP_2) | instskip(NEXT) | instid1(VALU_DEP_2)
	v_lshrrev_b64 v[16:17], 21, v[16:17]
	v_cmp_gt_i32_e32 vcc_lo, 32, v20
	v_cmp_ne_u32_e64 s10, 0, v20
                                        ; implicit-def: $vgpr3
	s_delay_alu instid0(VALU_DEP_3) | instskip(NEXT) | instid1(VALU_DEP_1)
	v_dual_cndmask_b32 v17, 0, v17 :: v_dual_cndmask_b32 v16, 3, v16
	v_cmp_ne_u64_e32 vcc_lo, 0, v[16:17]
	s_or_b32 s10, s10, vcc_lo
	s_delay_alu instid0(SALU_CYCLE_1) | instskip(NEXT) | instid1(SALU_CYCLE_1)
	s_and_saveexec_b32 s29, s10
	s_xor_b32 s10, exec_lo, s29
; %bb.4785:                             ;   in Loop: Header=BB4_4713 Depth=2
	v_min_i32_e32 v3, 31, v20
	s_delay_alu instid0(VALU_DEP_1) | instskip(NEXT) | instid1(VALU_DEP_1)
	v_lshl_or_b32 v2, v3, 2, v2
	v_and_or_b32 v3, v16, 3, v2
                                        ; implicit-def: $vgpr2
; %bb.4786:                             ;   in Loop: Header=BB4_4713 Depth=2
	s_and_not1_saveexec_b32 s10, s10
; %bb.4787:                             ;   in Loop: Header=BB4_4713 Depth=2
	v_mov_b32_e32 v3, v2
; %bb.4788:                             ;   in Loop: Header=BB4_4713 Depth=2
	s_or_b32 exec_lo, exec_lo, s10
.LBB4_4789:                             ;   in Loop: Header=BB4_4713 Depth=2
	s_delay_alu instid0(SALU_CYCLE_1)
	s_or_b32 exec_lo, exec_lo, s28
                                        ; implicit-def: $vgpr2
.LBB4_4790:                             ;   in Loop: Header=BB4_4713 Depth=2
	s_and_not1_saveexec_b32 s10, s27
; %bb.4791:                             ;   in Loop: Header=BB4_4713 Depth=2
	v_or_b32_e32 v3, 0x7b, v2
; %bb.4792:                             ;   in Loop: Header=BB4_4713 Depth=2
	s_or_b32 exec_lo, exec_lo, s10
                                        ; implicit-def: $vgpr16
.LBB4_4793:                             ;   in Loop: Header=BB4_4713 Depth=2
	s_and_not1_saveexec_b32 s10, s11
	s_cbranch_execz .LBB4_4712
; %bb.4794:                             ;   in Loop: Header=BB4_4713 Depth=2
	s_mov_b32 s11, exec_lo
                                        ; implicit-def: $vgpr3
	v_cmpx_ne_u64_e32 0, v[38:39]
	s_xor_b32 s11, exec_lo, s11
; %bb.4795:                             ;   in Loop: Header=BB4_4713 Depth=2
	v_lshrrev_b32_e32 v2, 24, v16
                                        ; implicit-def: $vgpr16
	s_delay_alu instid0(VALU_DEP_1)
	v_or_b32_e32 v3, 0x7f, v2
; %bb.4796:                             ;   in Loop: Header=BB4_4713 Depth=2
	s_and_not1_saveexec_b32 s11, s11
	s_cbranch_execz .LBB4_4711
; %bb.4797:                             ;   in Loop: Header=BB4_4713 Depth=2
	v_cmp_lt_i32_e32 vcc_lo, -1, v16
	v_cndmask_b32_e64 v3, -4, 0x7c, vcc_lo
	s_branch .LBB4_4711
.LBB4_4798:                             ;   in Loop: Header=BB4_49 Depth=1
	s_or_b32 exec_lo, exec_lo, s25
	v_cmp_ne_u32_e64 s10, 0, v123
	s_and_saveexec_b32 s11, s2
	s_cbranch_execz .LBB4_4817
.LBB4_4799:                             ;   in Loop: Header=BB4_49 Depth=1
	s_and_saveexec_b32 s25, s3
	s_delay_alu instid0(SALU_CYCLE_1)
	s_xor_b32 s25, exec_lo, s25
	s_cbranch_execz .LBB4_4814
; %bb.4800:                             ;   in Loop: Header=BB4_49 Depth=1
	s_and_saveexec_b32 s26, s4
	s_cbranch_execz .LBB4_4813
; %bb.4801:                             ;   in Loop: Header=BB4_49 Depth=1
	s_mov_b32 s28, exec_lo
	s_mov_b32 s27, exec_lo
	v_mbcnt_lo_u32_b32 v0, s28, 0
	global_wb scope:SCOPE_DEV
	s_wait_storecnt 0x0
	s_wait_loadcnt_dscnt 0x0
	global_inv scope:SCOPE_DEV
	v_cmpx_eq_u32_e32 0, v0
	s_cbranch_execz .LBB4_4803
; %bb.4802:                             ;   in Loop: Header=BB4_49 Depth=1
	s_bcnt1_i32_b32 s28, s28
	s_delay_alu instid0(SALU_CYCLE_1)
	v_dual_mov_b32 v3, v39 :: v_dual_mov_b32 v2, s28
	s_wait_loadcnt 0x0
	ds_add_u64 v0, v[2:3]
	s_trap 2
.LBB4_4803:                             ;   in Loop: Header=BB4_49 Depth=1
	s_or_b32 exec_lo, exec_lo, s27
	s_trap 2
	ds_load_b64 v[2:3], v0
	s_wait_dscnt 0x0
	v_add_nc_u64_e32 v[28:29], v[28:29], v[48:49]
	s_mov_b32 s27, exec_lo
	s_delay_alu instid0(VALU_DEP_1)
	v_cmpx_lt_u64_e64 v[2:3], v[28:29]
	s_cbranch_execz .LBB4_4812
; %bb.4804:                             ;   in Loop: Header=BB4_49 Depth=1
	s_mov_b32 s28, 0
	s_mov_b32 s41, 0
                                        ; implicit-def: $sgpr29
                                        ; implicit-def: $sgpr40
	s_branch .LBB4_4806
.LBB4_4805:                             ;   in Loop: Header=BB4_4806 Depth=2
	s_or_b32 exec_lo, exec_lo, s43
	s_delay_alu instid0(SALU_CYCLE_1) | instskip(NEXT) | instid1(SALU_CYCLE_1)
	s_and_b32 s42, exec_lo, s44
	s_or_b32 s28, s42, s28
	s_and_not1_b32 s29, s29, exec_lo
	s_and_b32 s42, s40, exec_lo
	s_delay_alu instid0(SALU_CYCLE_1)
	s_or_b32 s29, s29, s42
	s_and_not1_b32 exec_lo, exec_lo, s28
	s_cbranch_execz .LBB4_4810
.LBB4_4806:                             ;   Parent Loop BB4_49 Depth=1
                                        ; =>  This Inner Loop Header: Depth=2
	s_add_co_i32 s41, s41, 1
	s_delay_alu instid0(SALU_CYCLE_1) | instskip(SKIP_1) | instid1(SALU_CYCLE_1)
	s_cmp_lg_u32 s41, 0x2710
	s_cselect_b32 s42, -1, 0
	s_and_b32 vcc_lo, exec_lo, s42
	s_cbranch_vccz .LBB4_4808
; %bb.4807:                             ;   in Loop: Header=BB4_4806 Depth=2
	s_mov_b32 s44, -1
	s_or_b32 s40, s40, exec_lo
	s_and_saveexec_b32 s43, s42
	s_cbranch_execz .LBB4_4805
	s_branch .LBB4_4809
.LBB4_4808:                             ;   in Loop: Header=BB4_4806 Depth=2
	s_trap 2
	ds_load_b64 v[2:3], v0
	s_and_not1_b32 s42, s42, exec_lo
	s_mov_b32 s41, 0
	s_wait_loadcnt_dscnt 0x0
	flat_load_b32 v0, v[2:3] scope:SCOPE_SYS
	s_wait_loadcnt_dscnt 0x0
	global_inv scope:SCOPE_SYS
	v_cmp_eq_u32_e32 vcc_lo, 0, v0
	s_and_b32 s43, vcc_lo, exec_lo
	s_delay_alu instid0(SALU_CYCLE_1)
	s_or_b32 s42, s42, s43
	s_mov_b32 s44, -1
	s_or_b32 s40, s40, exec_lo
	s_and_saveexec_b32 s43, s42
	s_cbranch_execz .LBB4_4805
.LBB4_4809:                             ;   in Loop: Header=BB4_4806 Depth=2
	s_sleep 1
	s_trap 2
	ds_load_b64 v[2:3], v0
	s_wait_dscnt 0x0
	s_and_not1_b32 s40, s40, exec_lo
	v_cmp_ge_u64_e32 vcc_lo, v[2:3], v[28:29]
	s_or_not1_b32 s44, vcc_lo, exec_lo
	s_branch .LBB4_4805
.LBB4_4810:                             ;   in Loop: Header=BB4_49 Depth=1
	s_or_b32 exec_lo, exec_lo, s28
	s_and_saveexec_b32 s28, s29
	s_delay_alu instid0(SALU_CYCLE_1)
	s_xor_b32 s28, exec_lo, s28
	s_cbranch_execz .LBB4_4812
; %bb.4811:                             ;   in Loop: Header=BB4_49 Depth=1
	ds_store_b32 v0, v124
	s_trap 2
.LBB4_4812:                             ;   in Loop: Header=BB4_49 Depth=1
	s_or_b32 exec_lo, exec_lo, s27
	;;#ASMSTART
	s_wakeup
	;;#ASMEND
.LBB4_4813:                             ;   in Loop: Header=BB4_49 Depth=1
	s_or_b32 exec_lo, exec_lo, s26
.LBB4_4814:                             ;   in Loop: Header=BB4_49 Depth=1
	s_and_not1_saveexec_b32 s25, s25
	s_cbranch_execz .LBB4_4816
; %bb.4815:                             ;   in Loop: Header=BB4_49 Depth=1
	global_wb scope:SCOPE_DEV
	s_wait_storecnt 0x0
	s_wait_loadcnt_dscnt 0x0
	global_inv scope:SCOPE_DEV
	s_barrier_signal -1
	s_barrier_wait -1
.LBB4_4816:                             ;   in Loop: Header=BB4_49 Depth=1
	s_or_b32 exec_lo, exec_lo, s25
.LBB4_4817:                             ;   in Loop: Header=BB4_49 Depth=1
	s_delay_alu instid0(SALU_CYCLE_1) | instskip(SKIP_1) | instid1(VALU_DEP_1)
	s_or_b32 exec_lo, exec_lo, s11
	v_and_b32_e32 v0, 16, v120
	v_cmp_ne_u32_e32 vcc_lo, 0, v0
	s_and_b32 s11, vcc_lo, s10
	s_delay_alu instid0(SALU_CYCLE_1)
	s_and_saveexec_b32 s10, s11
	s_cbranch_execz .LBB4_4819
; %bb.4818:                             ;   in Loop: Header=BB4_49 Depth=1
	global_wb scope:SCOPE_SYS
	s_wait_storecnt 0x0
	s_wait_loadcnt_dscnt 0x0
	global_inv scope:SCOPE_SYS
.LBB4_4819:                             ;   in Loop: Header=BB4_49 Depth=1
	s_or_b32 exec_lo, exec_lo, s10
	v_cmp_ne_u32_e32 vcc_lo, 0, v0
	s_xor_b32 s10, s7, -1
	s_delay_alu instid0(SALU_CYCLE_1) | instskip(NEXT) | instid1(SALU_CYCLE_1)
	s_and_b32 s11, vcc_lo, s10
	s_and_saveexec_b32 s10, s11
	s_cbranch_execz .LBB4_4821
; %bb.4820:                             ;   in Loop: Header=BB4_49 Depth=1
	global_wb scope:SCOPE_SYS
	s_wait_storecnt 0x0
	s_wait_loadcnt_dscnt 0x0
	flat_store_b32 v[36:37], v124 scope:SCOPE_SYS
.LBB4_4821:                             ;   in Loop: Header=BB4_49 Depth=1
	s_wait_xcnt 0x0
	s_or_b32 exec_lo, exec_lo, s10
	v_and_b32_e32 v0, 48, v120
	s_mov_b32 s10, exec_lo
	s_delay_alu instid0(VALU_DEP_1)
	v_cmpx_ne_u32_e32 0, v0
	s_cbranch_execz .LBB4_4823
; %bb.4822:                             ;   in Loop: Header=BB4_49 Depth=1
	v_add_nc_u64_e32 v[8:9], 1, v[8:9]
	global_wb scope:SCOPE_SYS
	s_wait_storecnt 0x0
	s_wait_loadcnt_dscnt 0x0
	flat_store_b64 v[22:23], v[8:9] scope:SCOPE_SYS
.LBB4_4823:                             ;   in Loop: Header=BB4_49 Depth=1
	s_wait_xcnt 0x0
	s_or_b32 exec_lo, exec_lo, s10
	v_mov_b32_e32 v0, v80
.LBB4_4824:                             ;   in Loop: Header=BB4_49 Depth=1
	s_or_b32 exec_lo, exec_lo, s24
	s_and_saveexec_b32 s11, s23
	s_cbranch_execnz .LBB4_4825
; %bb.12936:                            ;   in Loop: Header=BB4_49 Depth=1
	s_add_pc_i64 .LBB4_48-.Lpost_addpc10
.Lpost_addpc10:
.LBB4_4825:                             ;   in Loop: Header=BB4_49 Depth=1
	s_delay_alu instid0(VALU_DEP_1) | instskip(SKIP_2) | instid1(VALU_DEP_2)
	v_sub_nc_u32_e32 v0, v70, v0
	v_and_b32_e32 v2, 12, v120
	s_mov_b32 s23, exec_lo
	v_min_i32_e32 v10, v80, v0
	s_delay_alu instid0(VALU_DEP_2)
	v_cmpx_ne_u32_e32 0, v2
	s_cbranch_execz .LBB4_4851
; %bb.4826:                             ;   in Loop: Header=BB4_49 Depth=1
	v_dual_mov_b32 v15, v39 :: v_dual_bitop2_b32 v14, 8, v120 bitop3:0x40
	v_add_nc_u64_e32 v[12:13], 1, v[8:9]
	s_mov_b32 s24, exec_lo
	s_wait_loadcnt 0x0
	s_delay_alu instid0(VALU_DEP_2) | instskip(NEXT) | instid1(VALU_DEP_1)
	v_add_nc_u64_e32 v[2:3], v[32:33], v[14:15]
	v_cmpx_lt_u64_e64 v[2:3], v[12:13]
	s_cbranch_execz .LBB4_4838
; %bb.4827:                             ;   in Loop: Header=BB4_49 Depth=1
	v_and_b32_e32 v0, 64, v120
	s_mov_b32 s25, 0
	s_mov_b32 s29, 0
                                        ; implicit-def: $sgpr26
                                        ; implicit-def: $sgpr27
                                        ; implicit-def: $sgpr28
	s_delay_alu instid0(VALU_DEP_1)
	v_cmp_eq_u32_e32 vcc_lo, 0, v0
	s_branch .LBB4_4830
.LBB4_4828:                             ;   in Loop: Header=BB4_4830 Depth=2
	s_or_b32 exec_lo, exec_lo, s44
	s_delay_alu instid0(SALU_CYCLE_1)
	s_and_not1_b32 s10, s28, exec_lo
	s_and_b32 s28, s42, exec_lo
	s_and_not1_b32 s27, s27, exec_lo
	s_and_b32 s41, s41, exec_lo
	s_or_b32 s28, s10, s28
	s_or_b32 s27, s27, s41
.LBB4_4829:                             ;   in Loop: Header=BB4_4830 Depth=2
	s_or_b32 exec_lo, exec_lo, s40
	s_delay_alu instid0(SALU_CYCLE_1) | instskip(NEXT) | instid1(SALU_CYCLE_1)
	s_and_b32 s10, exec_lo, s27
	s_or_b32 s25, s10, s25
	s_and_not1_b32 s10, s26, exec_lo
	s_and_b32 s26, s28, exec_lo
	s_delay_alu instid0(SALU_CYCLE_1)
	s_or_b32 s26, s10, s26
	s_and_not1_b32 exec_lo, exec_lo, s25
	s_cbranch_execz .LBB4_4835
.LBB4_4830:                             ;   Parent Loop BB4_49 Depth=1
                                        ; =>  This Inner Loop Header: Depth=2
	s_sleep 1
	s_wait_loadcnt_dscnt 0x0
	flat_load_b64 v[32:33], v[22:23] scope:SCOPE_SYS
	s_or_b32 s28, s28, exec_lo
	s_or_b32 s27, s27, exec_lo
                                        ; implicit-def: $vgpr0
	s_wait_xcnt 0x0
	s_and_saveexec_b32 s40, vcc_lo
	s_cbranch_execz .LBB4_4829
; %bb.4831:                             ;   in Loop: Header=BB4_4830 Depth=2
	s_cmp_lt_i32 s29, 0x270f
	s_mov_b32 s41, -1
	s_cselect_b32 s43, -1, 0
	s_cmp_gt_i32 s29, 0x270e
	s_cbranch_scc0 .LBB4_4833
; %bb.4832:                             ;   in Loop: Header=BB4_4830 Depth=2
	s_trap 2
	ds_load_b64 v[2:3], v0
	s_and_not1_b32 s29, s43, exec_lo
	s_mov_b32 s42, 0
	s_wait_storecnt 0x0
	s_wait_loadcnt_dscnt 0x0
	flat_load_b32 v0, v[2:3] scope:SCOPE_SYS
	s_wait_loadcnt_dscnt 0x0
	global_inv scope:SCOPE_SYS
	v_cmp_eq_u32_e64 s10, 0, v0
	s_and_b32 s10, s10, exec_lo
	s_delay_alu instid0(SALU_CYCLE_1)
	s_or_b32 s43, s29, s10
	s_mov_b32 s29, 0
	s_and_saveexec_b32 s44, s43
	s_cbranch_execz .LBB4_4828
	s_branch .LBB4_4834
.LBB4_4833:                             ;   in Loop: Header=BB4_4830 Depth=2
	s_add_co_i32 s29, s29, 1
	s_mov_b32 s42, -1
                                        ; implicit-def: $vgpr0
	s_and_saveexec_b32 s44, s43
	s_cbranch_execz .LBB4_4828
.LBB4_4834:                             ;   in Loop: Header=BB4_4830 Depth=2
	s_wait_loadcnt_dscnt 0x0
	v_add_nc_u64_e32 v[2:3], v[32:33], v[14:15]
	s_or_b32 s42, s42, exec_lo
	s_delay_alu instid0(VALU_DEP_1)
	v_cmp_ge_u64_e64 s10, v[2:3], v[12:13]
	s_or_not1_b32 s41, s10, exec_lo
	s_branch .LBB4_4828
.LBB4_4835:                             ;   in Loop: Header=BB4_49 Depth=1
	s_or_b32 exec_lo, exec_lo, s25
	s_xor_b32 s10, s26, -1
	s_delay_alu instid0(SALU_CYCLE_1) | instskip(NEXT) | instid1(SALU_CYCLE_1)
	s_and_saveexec_b32 s25, s10
	s_xor_b32 s10, exec_lo, s25
	s_cbranch_execz .LBB4_4837
; %bb.4836:                             ;   in Loop: Header=BB4_49 Depth=1
	v_or_b32_e32 v120, 64, v120
	s_wait_storecnt 0x0
	s_wait_loadcnt_dscnt 0x0
	ds_store_b32 v0, v0
	s_trap 2
.LBB4_4837:                             ;   in Loop: Header=BB4_49 Depth=1
	s_or_b32 exec_lo, exec_lo, s10
.LBB4_4838:                             ;   in Loop: Header=BB4_49 Depth=1
	s_delay_alu instid0(SALU_CYCLE_1) | instskip(SKIP_4) | instid1(VALU_DEP_2)
	s_or_b32 exec_lo, exec_lo, s24
	v_and_b32_e32 v0, 0x108, v120
	v_and_b32_e32 v8, 7, v8
	s_mov_b32 s10, exec_lo
	;;#ASMSTART
	s_wakeup
	;;#ASMEND
	v_cmpx_ne_u32_e32 0x108, v0
	s_xor_b32 s10, exec_lo, s10
; %bb.4839:                             ;   in Loop: Header=BB4_49 Depth=1
	v_mov_b32_e32 v9, v39
; %bb.4840:                             ;   in Loop: Header=BB4_49 Depth=1
	s_and_not1_saveexec_b32 s10, s10
	s_cbranch_execz .LBB4_4842
; %bb.4841:                             ;   in Loop: Header=BB4_49 Depth=1
	v_mad_nc_u64_u32 v[2:3], v8, 24, v[6:7]
	v_dual_ashrrev_i32 v11, 31, v10 :: v_dual_mov_b32 v9, v39
	flat_store_b64 v[2:3], v[10:11] offset:8
.LBB4_4842:                             ;   in Loop: Header=BB4_49 Depth=1
	s_wait_xcnt 0x0
	s_or_b32 exec_lo, exec_lo, s10
	v_and_b32_e32 v0, 0x100, v120
	s_mov_b32 s10, -1
	s_mov_b32 s24, exec_lo
                                        ; implicit-def: $vgpr16_vgpr17
	s_delay_alu instid0(VALU_DEP_1)
	v_cmpx_ne_u32_e32 0, v0
	s_cbranch_execz .LBB4_4846
; %bb.4843:                             ;   in Loop: Header=BB4_49 Depth=1
	v_mad_nc_u64_u32 v[70:71], v8, 24, v[6:7]
	s_mov_b32 s25, exec_lo
                                        ; implicit-def: $vgpr16_vgpr17
	s_delay_alu instid0(VALU_DEP_1)
	v_mad_u32 v71, v9, 24, v71
	flat_load_b32 v0, v[70:71]
	s_wait_loadcnt_dscnt 0x0
	v_cmp_ne_u32_e32 vcc_lo, 1, v0
	s_wait_xcnt 0x0
	v_cmpx_eq_u32_e32 1, v0
	s_cbranch_execz .LBB4_4845
; %bb.4844:                             ;   in Loop: Header=BB4_49 Depth=1
	flat_load_b32 v16, v[70:71] offset:4 scope:SCOPE_SYS
	s_wait_loadcnt_dscnt 0x0
	v_ashrrev_i32_e32 v17, 31, v16
.LBB4_4845:                             ;   in Loop: Header=BB4_49 Depth=1
	s_wait_xcnt 0x0
	s_or_b32 exec_lo, exec_lo, s25
	s_delay_alu instid0(SALU_CYCLE_1)
	s_or_not1_b32 s10, vcc_lo, exec_lo
.LBB4_4846:                             ;   in Loop: Header=BB4_49 Depth=1
	s_or_b32 exec_lo, exec_lo, s24
	s_and_saveexec_b32 s24, s10
	s_cbranch_execz .LBB4_4848
; %bb.4847:                             ;   in Loop: Header=BB4_49 Depth=1
	scratch_load_b64 v[2:3], off, s33 offset:188 ; 8-byte Folded Reload
	s_wait_loadcnt 0x0
	v_mul_u64_e32 v[16:17], v[8:9], v[2:3]
.LBB4_4848:                             ;   in Loop: Header=BB4_49 Depth=1
	s_wait_xcnt 0x0
	s_or_b32 exec_lo, exec_lo, s24
	v_cmp_eq_u32_e32 vcc_lo, 0, v14
	s_delay_alu instid0(VALU_DEP_2) | instskip(SKIP_3) | instid1(VALU_DEP_1)
	v_add_nc_u64_e32 v[2:3], v[26:27], v[16:17]
	v_and_b32_e32 v8, 0x2000, v120
	s_mov_b32 s10, exec_lo
	v_cndmask_b32_e32 v0, 0xc8, v125, vcc_lo
	v_add_nc_u32_e32 v0, v0, v0
	ds_store_b64 v0, v[2:3] offset:584
	v_cmpx_ne_u32_e32 0, v8
	s_cbranch_execz .LBB4_4850
; %bb.4849:                             ;   in Loop: Header=BB4_49 Depth=1
	ds_load_b64 v[2:3], v0 offset:872
	s_wait_dscnt 0x0
	v_add_nc_u64_e32 v[2:3], 1, v[2:3]
	ds_store_b64 v0, v[2:3] offset:872
.LBB4_4850:                             ;   in Loop: Header=BB4_49 Depth=1
	s_or_b32 exec_lo, exec_lo, s10
	v_mov_b64_e32 v[8:9], v[12:13]
.LBB4_4851:                             ;   in Loop: Header=BB4_49 Depth=1
	s_or_b32 exec_lo, exec_lo, s23
	s_and_saveexec_b32 s10, s2
	s_cbranch_execz .LBB4_4870
; %bb.4852:                             ;   in Loop: Header=BB4_49 Depth=1
	s_and_saveexec_b32 s23, s3
	s_delay_alu instid0(SALU_CYCLE_1)
	s_xor_b32 s23, exec_lo, s23
	s_cbranch_execz .LBB4_4867
; %bb.4853:                             ;   in Loop: Header=BB4_49 Depth=1
	s_and_saveexec_b32 s24, s4
	s_cbranch_execz .LBB4_4866
; %bb.4854:                             ;   in Loop: Header=BB4_49 Depth=1
	s_mov_b32 s26, exec_lo
	s_mov_b32 s25, exec_lo
	v_mbcnt_lo_u32_b32 v0, s26, 0
	global_wb scope:SCOPE_DEV
	s_wait_storecnt 0x0
	s_wait_loadcnt_dscnt 0x0
	global_inv scope:SCOPE_DEV
	v_cmpx_eq_u32_e32 0, v0
	s_cbranch_execz .LBB4_4856
; %bb.4855:                             ;   in Loop: Header=BB4_49 Depth=1
	s_bcnt1_i32_b32 s26, s26
	s_delay_alu instid0(SALU_CYCLE_1)
	v_dual_mov_b32 v3, v39 :: v_dual_mov_b32 v2, s26
	s_wait_loadcnt 0x0
	ds_add_u64 v0, v[2:3]
	s_trap 2
.LBB4_4856:                             ;   in Loop: Header=BB4_49 Depth=1
	s_or_b32 exec_lo, exec_lo, s25
	s_trap 2
	ds_load_b64 v[2:3], v0
	s_wait_dscnt 0x0
	v_add_nc_u64_e32 v[28:29], v[28:29], v[48:49]
	s_mov_b32 s25, exec_lo
	s_delay_alu instid0(VALU_DEP_1)
	v_cmpx_lt_u64_e64 v[2:3], v[28:29]
	s_cbranch_execz .LBB4_4865
; %bb.4857:                             ;   in Loop: Header=BB4_49 Depth=1
	s_mov_b32 s26, 0
	s_mov_b32 s29, 0
                                        ; implicit-def: $sgpr27
                                        ; implicit-def: $sgpr28
	s_branch .LBB4_4859
.LBB4_4858:                             ;   in Loop: Header=BB4_4859 Depth=2
	s_or_b32 exec_lo, exec_lo, s41
	s_delay_alu instid0(SALU_CYCLE_1) | instskip(NEXT) | instid1(SALU_CYCLE_1)
	s_and_b32 s40, exec_lo, s42
	s_or_b32 s26, s40, s26
	s_and_not1_b32 s27, s27, exec_lo
	s_and_b32 s40, s28, exec_lo
	s_delay_alu instid0(SALU_CYCLE_1)
	s_or_b32 s27, s27, s40
	s_and_not1_b32 exec_lo, exec_lo, s26
	s_cbranch_execz .LBB4_4863
.LBB4_4859:                             ;   Parent Loop BB4_49 Depth=1
                                        ; =>  This Inner Loop Header: Depth=2
	s_add_co_i32 s29, s29, 1
	s_delay_alu instid0(SALU_CYCLE_1) | instskip(SKIP_1) | instid1(SALU_CYCLE_1)
	s_cmp_lg_u32 s29, 0x2710
	s_cselect_b32 s40, -1, 0
	s_and_b32 vcc_lo, exec_lo, s40
	s_cbranch_vccz .LBB4_4861
; %bb.4860:                             ;   in Loop: Header=BB4_4859 Depth=2
	s_mov_b32 s42, -1
	s_or_b32 s28, s28, exec_lo
	s_and_saveexec_b32 s41, s40
	s_cbranch_execz .LBB4_4858
	s_branch .LBB4_4862
.LBB4_4861:                             ;   in Loop: Header=BB4_4859 Depth=2
	s_trap 2
	ds_load_b64 v[2:3], v0
	s_and_not1_b32 s40, s40, exec_lo
	s_mov_b32 s29, 0
	s_wait_loadcnt_dscnt 0x0
	flat_load_b32 v0, v[2:3] scope:SCOPE_SYS
	s_wait_loadcnt_dscnt 0x0
	global_inv scope:SCOPE_SYS
	v_cmp_eq_u32_e32 vcc_lo, 0, v0
	s_and_b32 s41, vcc_lo, exec_lo
	s_delay_alu instid0(SALU_CYCLE_1)
	s_or_b32 s40, s40, s41
	s_mov_b32 s42, -1
	s_or_b32 s28, s28, exec_lo
	s_and_saveexec_b32 s41, s40
	s_cbranch_execz .LBB4_4858
.LBB4_4862:                             ;   in Loop: Header=BB4_4859 Depth=2
	s_sleep 1
	s_trap 2
	ds_load_b64 v[2:3], v0
	s_wait_dscnt 0x0
	s_and_not1_b32 s28, s28, exec_lo
	v_cmp_ge_u64_e32 vcc_lo, v[2:3], v[28:29]
	s_or_not1_b32 s42, vcc_lo, exec_lo
	s_branch .LBB4_4858
.LBB4_4863:                             ;   in Loop: Header=BB4_49 Depth=1
	s_or_b32 exec_lo, exec_lo, s26
	s_and_saveexec_b32 s26, s27
	s_delay_alu instid0(SALU_CYCLE_1)
	s_xor_b32 s26, exec_lo, s26
	s_cbranch_execz .LBB4_4865
; %bb.4864:                             ;   in Loop: Header=BB4_49 Depth=1
	ds_store_b32 v0, v124
	s_trap 2
.LBB4_4865:                             ;   in Loop: Header=BB4_49 Depth=1
	s_or_b32 exec_lo, exec_lo, s25
	;;#ASMSTART
	s_wakeup
	;;#ASMEND
.LBB4_4866:                             ;   in Loop: Header=BB4_49 Depth=1
	s_or_b32 exec_lo, exec_lo, s24
.LBB4_4867:                             ;   in Loop: Header=BB4_49 Depth=1
	s_and_not1_saveexec_b32 s23, s23
	s_cbranch_execz .LBB4_4869
; %bb.4868:                             ;   in Loop: Header=BB4_49 Depth=1
	global_wb scope:SCOPE_DEV
	s_wait_storecnt 0x0
	s_wait_loadcnt_dscnt 0x0
	global_inv scope:SCOPE_DEV
	s_barrier_signal -1
	s_barrier_wait -1
.LBB4_4869:                             ;   in Loop: Header=BB4_49 Depth=1
	s_or_b32 exec_lo, exec_lo, s23
.LBB4_4870:                             ;   in Loop: Header=BB4_49 Depth=1
	s_delay_alu instid0(SALU_CYCLE_1)
	s_or_b32 exec_lo, exec_lo, s10
	s_trap 2
	ds_load_b32 v0, v0
	v_cmp_lt_i32_e32 vcc_lo, 0, v10
	s_wait_dscnt 0x0
	v_readfirstlane_b32 s10, v0
	v_and_b32_e32 v0, 16, v120
	s_cmp_eq_u32 s10, 0
	s_delay_alu instid0(VALU_DEP_1) | instskip(SKIP_1) | instid1(SALU_CYCLE_1)
	v_cmp_ne_u32_e64 s10, 0, v0
	s_cselect_b32 s23, -1, 0
	s_and_b32 s23, vcc_lo, s23
	s_delay_alu instid0(SALU_CYCLE_1) | instskip(NEXT) | instid1(SALU_CYCLE_1)
	s_and_b32 s23, s10, s23
	s_and_saveexec_b32 s10, s23
	s_cbranch_execz .LBB4_4872
; %bb.4871:                             ;   in Loop: Header=BB4_49 Depth=1
	global_wb scope:SCOPE_SYS
	s_wait_loadcnt 0x0
	s_wait_storecnt 0x0
	global_inv scope:SCOPE_SYS
.LBB4_4872:                             ;   in Loop: Header=BB4_49 Depth=1
	s_or_b32 exec_lo, exec_lo, s10
	v_cmp_ne_u32_e32 vcc_lo, 0, v0
	s_xor_b32 s10, s7, -1
	s_delay_alu instid0(SALU_CYCLE_1) | instskip(NEXT) | instid1(SALU_CYCLE_1)
	s_and_b32 s23, vcc_lo, s10
	s_and_saveexec_b32 s10, s23
	s_cbranch_execz .LBB4_4874
; %bb.4873:                             ;   in Loop: Header=BB4_49 Depth=1
	global_wb scope:SCOPE_SYS
	s_wait_loadcnt 0x0
	s_wait_storecnt 0x0
	flat_store_b32 v[36:37], v124 scope:SCOPE_SYS
.LBB4_4874:                             ;   in Loop: Header=BB4_49 Depth=1
	s_wait_xcnt 0x0
	s_or_b32 exec_lo, exec_lo, s10
	v_and_b32_e32 v0, 48, v120
	s_mov_b32 s10, exec_lo
	s_delay_alu instid0(VALU_DEP_1)
	v_cmpx_ne_u32_e32 0, v0
	s_cbranch_execnz .LBB4_4875
; %bb.12938:                            ;   in Loop: Header=BB4_49 Depth=1
	s_add_pc_i64 .LBB4_47-.Lpost_addpc11
.Lpost_addpc11:
.LBB4_4875:                             ;   in Loop: Header=BB4_49 Depth=1
	v_add_nc_u64_e32 v[8:9], 1, v[8:9]
	global_wb scope:SCOPE_SYS
	s_wait_storecnt 0x0
	s_wait_loadcnt_dscnt 0x0
	flat_store_b64 v[22:23], v[8:9] scope:SCOPE_SYS
; %bb.12920:                            ;   in Loop: Header=BB4_49 Depth=1
	s_add_pc_i64 .LBB4_47-.Lpost_addpc2
.Lpost_addpc2:
.LBB4_4876:
	s_or_b32 exec_lo, exec_lo, s20
	s_clause 0x2
	scratch_load_b32 v31, off, s33 offset:204
	scratch_load_b64 v[38:39], off, s33 offset:196
	scratch_load_b32 v10, off, s33 offset:208
.LBB4_4877:
	s_wait_xcnt 0x0
	s_or_b32 exec_lo, exec_lo, s18
                                        ; implicit-def: $vgpr0
                                        ; implicit-def: $vgpr18_vgpr19
                                        ; implicit-def: $vgpr4_vgpr5
	scratch_store_b64 off, v[0:1], s33 offset:188 ; 8-byte Folded Spill
                                        ; implicit-def: $vgpr32_vgpr33
                                        ; implicit-def: $vgpr26_vgpr27
                                        ; implicit-def: $vgpr22_vgpr23
                                        ; implicit-def: $vgpr121
                                        ; implicit-def: $vgpr0
                                        ; implicit-def: $vgpr34_vgpr35
.LBB4_4878:
	s_wait_xcnt 0x0
	s_and_not1_saveexec_b32 s17, s17
	s_cbranch_execnz .LBB4_4879
; %bb.12940:
	s_add_pc_i64 .LBB4_9700-.Lpost_addpc12
.Lpost_addpc12:
.LBB4_4879:
	v_mov_b64_e32 v[28:29], 0
	s_mov_b32 s18, exec_lo
	v_cmpx_ne_u64_e32 0, v[4:5]
	s_cbranch_execnz .LBB4_4880
; %bb.12942:
	s_add_pc_i64 .LBB4_9699-.Lpost_addpc13
.Lpost_addpc13:
.LBB4_4880:
	scratch_load_b64 v[2:3], off, s33 offset:188 ; 8-byte Folded Reload
	s_ashr_i32 s2, s15, 31
	s_wait_loadcnt 0x1
	v_dual_mov_b32 v125, v10 :: v_dual_mov_b32 v37, 0
	s_lshr_b32 s2, s2, 24
	v_cmp_eq_u32_e32 vcc_lo, 32, v1
	s_add_co_i32 s2, s15, s2
	v_mov_b64_e32 v[64:65], 0
	v_mov_b64_e32 v[28:29], 0
	v_cmp_ge_u32_e64 s1, v121, v1
	s_ashr_i32 s19, s2, 8
	v_cmp_ne_u32_e64 s2, 32, v1
	v_cmp_ne_u32_e64 s3, v1, v10
	v_dual_mov_b32 v53, v37 :: v_dual_mov_b32 v55, v37
	v_and_b32_e32 v54, 0x1fe0, v1
	v_dual_mov_b32 v108, 1 :: v_dual_mov_b32 v109, 0x7f800000
	v_mov_b32_e32 v110, 0x7c
	s_mov_b64 s[12:13], 0xffffffffffffff
	s_mov_b32 s20, 0
	s_xor_b32 s21, vcc_lo, -1
	s_mov_b32 s22, 0x7f800000
	v_dual_mov_b32 v124, v31 :: v_dual_lshrrev_b32 v106, 5, v121
	s_wait_loadcnt 0x0
	v_dual_ashrrev_i32 v3, 31, v2 :: v_dual_bitop2_b32 v107, 31, v121 bitop3:0x40
	scratch_store_b64 off, v[38:39], s33 offset:196 ; 8-byte Folded Spill
	s_wait_xcnt 0x0
	v_dual_mov_b32 v39, v37 :: v_dual_lshrrev_b32 v38, 5, v1
	v_mov_b32_e32 v49, v37
	scratch_store_b64 off, v[2:3], s33 offset:188 ; 8-byte Folded Spill
	s_wait_xcnt 0x0
	v_dual_lshlrev_b32 v50, 10, v38 :: v_dual_bitop2_b32 v2, 31, v31 bitop3:0x40
	v_dual_mov_b32 v51, v37 :: v_dual_lshlrev_b32 v52, 9, v38
	s_trap 2
	s_delay_alu instid0(VALU_DEP_2) | instskip(SKIP_3) | instid1(VALU_DEP_3)
	v_cmp_eq_u32_e64 s4, 0, v2
	v_lshlrev_b32_e32 v2, 10, v106
	v_cmp_le_u32_e64 s5, v107, v0
	v_cmp_eq_u32_e64 s6, 0, v107
	v_lshl_or_b32 v48, v107, 4, v2
	s_branch .LBB4_4883
.LBB4_4881:                             ;   in Loop: Header=BB4_4883 Depth=1
	s_wait_xcnt 0x0
	s_or_b32 exec_lo, exec_lo, s7
.LBB4_4882:                             ;   in Loop: Header=BB4_4883 Depth=1
	s_delay_alu instid0(SALU_CYCLE_1) | instskip(SKIP_1) | instid1(VALU_DEP_1)
	s_or_b32 exec_lo, exec_lo, s10
	v_add_nc_u64_e32 v[64:65], v[64:65], v[34:35]
	v_cmp_ge_u64_e32 vcc_lo, v[64:65], v[4:5]
	s_or_b32 s20, vcc_lo, s20
	s_delay_alu instid0(SALU_CYCLE_1)
	s_and_not1_b32 exec_lo, exec_lo, s20
	s_cbranch_execnz .LBB4_4883
; %bb.12944:
	s_add_pc_i64 .LBB4_9698-.Lpost_addpc14
.Lpost_addpc14:
.LBB4_4883:                             ; =>This Loop Header: Depth=1
                                        ;     Child Loop BB4_4891 Depth 2
                                        ;     Child Loop BB4_4916 Depth 2
	;; [unrolled: 1-line block ×10, first 2 shown]
	v_sub_nc_u64_e32 v[2:3], v[4:5], v[64:65]
	s_delay_alu instid0(VALU_DEP_1) | instskip(NEXT) | instid1(VALU_DEP_1)
	v_min_u64 v[66:67], v[34:35], v[2:3]
	v_add_nc_u32_e32 v0, 15, v66
	s_delay_alu instid0(VALU_DEP_2) | instskip(NEXT) | instid1(VALU_DEP_2)
	v_cmp_eq_u64_e32 vcc_lo, 0, v[66:67]
	v_and_b32_e32 v0, 0x7ffffff0, v0
	s_or_b32 s23, s1, vcc_lo
	s_delay_alu instid0(SALU_CYCLE_1) | instskip(NEXT) | instid1(VALU_DEP_1)
	s_xor_b32 s7, s23, -1
	v_dual_mov_b32 v0, v37 :: v_dual_max_i32 v67, s19, v0
	s_and_saveexec_b32 s24, s7
	s_cbranch_execnz .LBB4_4884
; %bb.12946:                            ;   in Loop: Header=BB4_4883 Depth=1
	s_add_pc_i64 .LBB4_9652-.Lpost_addpc15
.Lpost_addpc15:
.LBB4_4884:                             ;   in Loop: Header=BB4_4883 Depth=1
	s_and_saveexec_b32 s7, s0
	s_cbranch_execz .LBB4_4886
; %bb.4885:                             ;   in Loop: Header=BB4_4883 Depth=1
	s_trap 2
	ds_load_b64 v[2:3], v0
	ds_load_2addr_b64 v[10:13], v0 offset1:1
	v_add_nc_u64_e32 v[14:15], v[64:65], v[18:19]
	s_wait_dscnt 0x1
	s_delay_alu instid0(VALU_DEP_1) | instskip(SKIP_4) | instid1(VALU_DEP_4)
	v_add_nc_u64_e32 v[16:17], v[2:3], v[14:15]
	v_cmp_ne_u64_e32 vcc_lo, 0, v[2:3]
	s_wait_dscnt 0x0
	v_add_nc_u64_e32 v[2:3], v[10:11], v[14:15]
	v_add_nc_u64_e32 v[10:11], v[12:13], v[14:15]
	v_dual_cndmask_b32 v13, 0, v17 :: v_dual_cndmask_b32 v12, 0, v16
	ds_store_b64 v0, v[2:3]
	ds_store_b64 v0, v[10:11]
	;; [unrolled: 1-line block ×3, first 2 shown]
.LBB4_4886:                             ;   in Loop: Header=BB4_4883 Depth=1
	s_or_b32 exec_lo, exec_lo, s7
	v_and_b32_e32 v0, 4, v120
	s_mov_b32 s10, exec_lo
	s_delay_alu instid0(VALU_DEP_1)
	v_cmpx_ne_u32_e32 0, v0
	s_cbranch_execz .LBB4_4908
; %bb.4887:                             ;   in Loop: Header=BB4_4883 Depth=1
	v_add_nc_u64_e32 v[10:11], 1, v[8:9]
	s_mov_b32 s11, exec_lo
	s_wait_loadcnt 0x0
	s_delay_alu instid0(VALU_DEP_1)
	v_cmpx_lt_u64_e64 v[32:33], v[10:11]
	s_cbranch_execz .LBB4_4899
; %bb.4888:                             ;   in Loop: Header=BB4_4883 Depth=1
	v_and_b32_e32 v0, 64, v120
	s_mov_b32 s25, 0
	s_mov_b32 s29, 0
                                        ; implicit-def: $sgpr26
                                        ; implicit-def: $sgpr27
                                        ; implicit-def: $sgpr28
	s_delay_alu instid0(VALU_DEP_1)
	v_cmp_eq_u32_e32 vcc_lo, 0, v0
	s_branch .LBB4_4891
.LBB4_4889:                             ;   in Loop: Header=BB4_4891 Depth=2
	s_or_b32 exec_lo, exec_lo, s44
	s_delay_alu instid0(SALU_CYCLE_1)
	s_and_not1_b32 s7, s28, exec_lo
	s_and_b32 s28, s42, exec_lo
	s_and_not1_b32 s27, s27, exec_lo
	s_and_b32 s41, s41, exec_lo
	s_or_b32 s28, s7, s28
	s_or_b32 s27, s27, s41
.LBB4_4890:                             ;   in Loop: Header=BB4_4891 Depth=2
	s_or_b32 exec_lo, exec_lo, s40
	s_delay_alu instid0(SALU_CYCLE_1) | instskip(NEXT) | instid1(SALU_CYCLE_1)
	s_and_b32 s7, exec_lo, s27
	s_or_b32 s25, s7, s25
	s_and_not1_b32 s7, s26, exec_lo
	s_and_b32 s26, s28, exec_lo
	s_delay_alu instid0(SALU_CYCLE_1)
	s_or_b32 s26, s7, s26
	s_and_not1_b32 exec_lo, exec_lo, s25
	s_cbranch_execz .LBB4_4896
.LBB4_4891:                             ;   Parent Loop BB4_4883 Depth=1
                                        ; =>  This Inner Loop Header: Depth=2
	s_sleep 1
	s_wait_loadcnt_dscnt 0x0
	flat_load_b64 v[32:33], v[22:23] scope:SCOPE_SYS
	s_or_b32 s28, s28, exec_lo
	s_or_b32 s27, s27, exec_lo
                                        ; implicit-def: $vgpr0
	s_wait_xcnt 0x0
	s_and_saveexec_b32 s40, vcc_lo
	s_cbranch_execz .LBB4_4890
; %bb.4892:                             ;   in Loop: Header=BB4_4891 Depth=2
	s_cmp_lt_i32 s29, 0x270f
	s_mov_b32 s41, -1
	s_cselect_b32 s43, -1, 0
	s_cmp_gt_i32 s29, 0x270e
	s_cbranch_scc0 .LBB4_4894
; %bb.4893:                             ;   in Loop: Header=BB4_4891 Depth=2
	s_trap 2
	ds_load_b64 v[2:3], v0
	s_and_not1_b32 s29, s43, exec_lo
	s_mov_b32 s42, 0
	s_wait_storecnt 0x0
	s_wait_loadcnt_dscnt 0x0
	flat_load_b32 v0, v[2:3] scope:SCOPE_SYS
	s_wait_loadcnt_dscnt 0x0
	global_inv scope:SCOPE_SYS
	v_cmp_eq_u32_e64 s7, 0, v0
	s_and_b32 s7, s7, exec_lo
	s_delay_alu instid0(SALU_CYCLE_1)
	s_or_b32 s43, s29, s7
	s_mov_b32 s29, 0
	s_and_saveexec_b32 s44, s43
	s_cbranch_execz .LBB4_4889
	s_branch .LBB4_4895
.LBB4_4894:                             ;   in Loop: Header=BB4_4891 Depth=2
	s_add_co_i32 s29, s29, 1
	s_mov_b32 s42, -1
                                        ; implicit-def: $vgpr0
	s_and_saveexec_b32 s44, s43
	s_cbranch_execz .LBB4_4889
.LBB4_4895:                             ;   in Loop: Header=BB4_4891 Depth=2
	s_wait_loadcnt_dscnt 0x0
	v_cmp_ge_u64_e64 s7, v[32:33], v[10:11]
	s_or_b32 s42, s42, exec_lo
	s_or_not1_b32 s41, s7, exec_lo
	s_branch .LBB4_4889
.LBB4_4896:                             ;   in Loop: Header=BB4_4883 Depth=1
	s_or_b32 exec_lo, exec_lo, s25
	s_xor_b32 s7, s26, -1
	s_delay_alu instid0(SALU_CYCLE_1) | instskip(NEXT) | instid1(SALU_CYCLE_1)
	s_and_saveexec_b32 s25, s7
	s_xor_b32 s7, exec_lo, s25
	s_cbranch_execz .LBB4_4898
; %bb.4897:                             ;   in Loop: Header=BB4_4883 Depth=1
	v_or_b32_e32 v120, 64, v120
	s_wait_storecnt 0x0
	s_wait_loadcnt_dscnt 0x0
	ds_store_b32 v0, v0
	s_trap 2
.LBB4_4898:                             ;   in Loop: Header=BB4_4883 Depth=1
	s_or_b32 exec_lo, exec_lo, s7
.LBB4_4899:                             ;   in Loop: Header=BB4_4883 Depth=1
	s_delay_alu instid0(SALU_CYCLE_1)
	s_or_b32 exec_lo, exec_lo, s11
	v_and_b32_e32 v0, 0x100, v120
	v_dual_mov_b32 v9, v37 :: v_dual_bitop2_b32 v8, 7, v8 bitop3:0x40
	s_mov_b32 s7, -1
	s_mov_b32 s11, exec_lo
	;;#ASMSTART
	s_wakeup
	;;#ASMEND
                                        ; implicit-def: $vgpr12_vgpr13
	v_cmpx_ne_u32_e32 0, v0
	s_cbranch_execz .LBB4_4903
; %bb.4900:                             ;   in Loop: Header=BB4_4883 Depth=1
	v_mad_nc_u64_u32 v[14:15], v8, 24, v[6:7]
	s_mov_b32 s25, exec_lo
                                        ; implicit-def: $vgpr12_vgpr13
	flat_load_b32 v0, v[14:15]
	s_wait_loadcnt_dscnt 0x0
	v_cmp_ne_u32_e32 vcc_lo, 1, v0
	s_wait_xcnt 0x0
	v_cmpx_eq_u32_e32 1, v0
	s_cbranch_execz .LBB4_4902
; %bb.4901:                             ;   in Loop: Header=BB4_4883 Depth=1
	flat_load_b32 v12, v[14:15] offset:4 scope:SCOPE_SYS
	s_wait_loadcnt_dscnt 0x0
	v_ashrrev_i32_e32 v13, 31, v12
.LBB4_4902:                             ;   in Loop: Header=BB4_4883 Depth=1
	s_wait_xcnt 0x0
	s_or_b32 exec_lo, exec_lo, s25
	s_delay_alu instid0(SALU_CYCLE_1)
	s_or_not1_b32 s7, vcc_lo, exec_lo
.LBB4_4903:                             ;   in Loop: Header=BB4_4883 Depth=1
	s_or_b32 exec_lo, exec_lo, s11
	s_and_saveexec_b32 s11, s7
	s_cbranch_execz .LBB4_4905
; %bb.4904:                             ;   in Loop: Header=BB4_4883 Depth=1
	scratch_load_b64 v[2:3], off, s33 offset:188 ; 8-byte Folded Reload
	s_wait_loadcnt 0x0
	v_mul_u64_e32 v[12:13], v[8:9], v[2:3]
.LBB4_4905:                             ;   in Loop: Header=BB4_4883 Depth=1
	s_wait_xcnt 0x0
	s_or_b32 exec_lo, exec_lo, s11
	s_delay_alu instid0(VALU_DEP_1)
	v_add_nc_u64_e32 v[2:3], v[26:27], v[12:13]
	v_and_b32_e32 v0, 0x2000, v120
	s_mov_b32 s7, exec_lo
	ds_store_b64 v0, v[2:3] offset:728
	v_cmpx_ne_u32_e32 0, v0
	s_cbranch_execz .LBB4_4907
; %bb.4906:                             ;   in Loop: Header=BB4_4883 Depth=1
	ds_load_b64 v[2:3], v0 offset:872
	s_wait_dscnt 0x0
	v_add_nc_u64_e32 v[2:3], 1, v[2:3]
	ds_store_b64 v0, v[2:3] offset:872
.LBB4_4907:                             ;   in Loop: Header=BB4_4883 Depth=1
	s_or_b32 exec_lo, exec_lo, s7
	v_mov_b64_e32 v[8:9], v[10:11]
.LBB4_4908:                             ;   in Loop: Header=BB4_4883 Depth=1
	s_or_b32 exec_lo, exec_lo, s10
	s_and_saveexec_b32 s7, s2
	s_cbranch_execz .LBB4_4927
; %bb.4909:                             ;   in Loop: Header=BB4_4883 Depth=1
	s_and_saveexec_b32 s10, s3
	s_delay_alu instid0(SALU_CYCLE_1)
	s_xor_b32 s10, exec_lo, s10
	s_cbranch_execz .LBB4_4924
; %bb.4910:                             ;   in Loop: Header=BB4_4883 Depth=1
	s_and_saveexec_b32 s11, s4
	s_cbranch_execz .LBB4_4923
; %bb.4911:                             ;   in Loop: Header=BB4_4883 Depth=1
	s_mov_b32 s26, exec_lo
	s_mov_b32 s25, exec_lo
	v_mbcnt_lo_u32_b32 v0, s26, 0
	global_wb scope:SCOPE_DEV
	s_wait_storecnt 0x0
	s_wait_loadcnt_dscnt 0x0
	global_inv scope:SCOPE_DEV
	v_cmpx_eq_u32_e32 0, v0
	s_cbranch_execz .LBB4_4913
; %bb.4912:                             ;   in Loop: Header=BB4_4883 Depth=1
	s_bcnt1_i32_b32 s26, s26
	s_delay_alu instid0(SALU_CYCLE_1)
	v_dual_mov_b32 v3, v37 :: v_dual_mov_b32 v2, s26
	s_wait_loadcnt 0x0
	ds_add_u64 v0, v[2:3]
	s_trap 2
.LBB4_4913:                             ;   in Loop: Header=BB4_4883 Depth=1
	s_or_b32 exec_lo, exec_lo, s25
	s_trap 2
	ds_load_b64 v[2:3], v0
	s_wait_dscnt 0x0
	v_add_nc_u64_e32 v[28:29], v[28:29], v[38:39]
	s_mov_b32 s25, exec_lo
	s_delay_alu instid0(VALU_DEP_1)
	v_cmpx_lt_u64_e64 v[2:3], v[28:29]
	s_cbranch_execz .LBB4_4922
; %bb.4914:                             ;   in Loop: Header=BB4_4883 Depth=1
	s_mov_b32 s26, 0
	s_mov_b32 s29, 0
                                        ; implicit-def: $sgpr27
                                        ; implicit-def: $sgpr28
	s_branch .LBB4_4916
.LBB4_4915:                             ;   in Loop: Header=BB4_4916 Depth=2
	s_or_b32 exec_lo, exec_lo, s41
	s_delay_alu instid0(SALU_CYCLE_1) | instskip(NEXT) | instid1(SALU_CYCLE_1)
	s_and_b32 s40, exec_lo, s42
	s_or_b32 s26, s40, s26
	s_and_not1_b32 s27, s27, exec_lo
	s_and_b32 s40, s28, exec_lo
	s_delay_alu instid0(SALU_CYCLE_1)
	s_or_b32 s27, s27, s40
	s_and_not1_b32 exec_lo, exec_lo, s26
	s_cbranch_execz .LBB4_4920
.LBB4_4916:                             ;   Parent Loop BB4_4883 Depth=1
                                        ; =>  This Inner Loop Header: Depth=2
	s_add_co_i32 s29, s29, 1
	s_delay_alu instid0(SALU_CYCLE_1) | instskip(SKIP_1) | instid1(SALU_CYCLE_1)
	s_cmp_lg_u32 s29, 0x2710
	s_cselect_b32 s40, -1, 0
	s_and_b32 vcc_lo, exec_lo, s40
	s_cbranch_vccz .LBB4_4918
; %bb.4917:                             ;   in Loop: Header=BB4_4916 Depth=2
	s_mov_b32 s42, -1
	s_or_b32 s28, s28, exec_lo
	s_and_saveexec_b32 s41, s40
	s_cbranch_execz .LBB4_4915
	s_branch .LBB4_4919
.LBB4_4918:                             ;   in Loop: Header=BB4_4916 Depth=2
	s_trap 2
	ds_load_b64 v[2:3], v0
	s_and_not1_b32 s40, s40, exec_lo
	s_mov_b32 s29, 0
	s_wait_loadcnt_dscnt 0x0
	flat_load_b32 v0, v[2:3] scope:SCOPE_SYS
	s_wait_loadcnt_dscnt 0x0
	global_inv scope:SCOPE_SYS
	v_cmp_eq_u32_e32 vcc_lo, 0, v0
	s_and_b32 s41, vcc_lo, exec_lo
	s_delay_alu instid0(SALU_CYCLE_1)
	s_or_b32 s40, s40, s41
	s_mov_b32 s42, -1
	s_or_b32 s28, s28, exec_lo
	s_and_saveexec_b32 s41, s40
	s_cbranch_execz .LBB4_4915
.LBB4_4919:                             ;   in Loop: Header=BB4_4916 Depth=2
	s_sleep 1
	s_trap 2
	ds_load_b64 v[2:3], v0
	s_wait_dscnt 0x0
	s_and_not1_b32 s28, s28, exec_lo
	v_cmp_ge_u64_e32 vcc_lo, v[2:3], v[28:29]
	s_or_not1_b32 s42, vcc_lo, exec_lo
	s_branch .LBB4_4915
.LBB4_4920:                             ;   in Loop: Header=BB4_4883 Depth=1
	s_or_b32 exec_lo, exec_lo, s26
	s_and_saveexec_b32 s26, s27
	s_delay_alu instid0(SALU_CYCLE_1)
	s_xor_b32 s26, exec_lo, s26
	s_cbranch_execz .LBB4_4922
; %bb.4921:                             ;   in Loop: Header=BB4_4883 Depth=1
	ds_store_b32 v0, v108
	s_trap 2
.LBB4_4922:                             ;   in Loop: Header=BB4_4883 Depth=1
	s_or_b32 exec_lo, exec_lo, s25
	;;#ASMSTART
	s_wakeup
	;;#ASMEND
.LBB4_4923:                             ;   in Loop: Header=BB4_4883 Depth=1
	s_or_b32 exec_lo, exec_lo, s11
.LBB4_4924:                             ;   in Loop: Header=BB4_4883 Depth=1
	s_and_not1_saveexec_b32 s10, s10
	s_cbranch_execz .LBB4_4926
; %bb.4925:                             ;   in Loop: Header=BB4_4883 Depth=1
	global_wb scope:SCOPE_DEV
	s_wait_storecnt 0x0
	s_wait_loadcnt_dscnt 0x0
	global_inv scope:SCOPE_DEV
	s_barrier_signal -1
	s_barrier_wait -1
.LBB4_4926:                             ;   in Loop: Header=BB4_4883 Depth=1
	s_or_b32 exec_lo, exec_lo, s10
.LBB4_4927:                             ;   in Loop: Header=BB4_4883 Depth=1
	s_delay_alu instid0(SALU_CYCLE_1) | instskip(SKIP_3) | instid1(VALU_DEP_1)
	s_or_b32 exec_lo, exec_lo, s7
	s_trap 2
	ds_load_b32 v0, v0
	v_and_b32_e32 v2, 0x4000, v120
	v_cmp_ne_u32_e32 vcc_lo, 0, v2
	s_and_b32 s10, s21, vcc_lo
	s_delay_alu instid0(SALU_CYCLE_1)
	s_and_saveexec_b32 s7, s10
	s_cbranch_execz .LBB4_4946
; %bb.4928:                             ;   in Loop: Header=BB4_4883 Depth=1
	s_and_saveexec_b32 s10, s3
	s_delay_alu instid0(SALU_CYCLE_1)
	s_xor_b32 s10, exec_lo, s10
	s_cbranch_execz .LBB4_4943
; %bb.4929:                             ;   in Loop: Header=BB4_4883 Depth=1
	s_and_saveexec_b32 s11, s4
	s_cbranch_execz .LBB4_4942
; %bb.4930:                             ;   in Loop: Header=BB4_4883 Depth=1
	s_mov_b32 s26, exec_lo
	s_mov_b32 s25, exec_lo
	v_mbcnt_lo_u32_b32 v2, s26, 0
	global_wb scope:SCOPE_DEV
	s_wait_storecnt 0x0
	s_wait_loadcnt_dscnt 0x0
	global_inv scope:SCOPE_DEV
	v_cmpx_eq_u32_e32 0, v2
	s_cbranch_execz .LBB4_4932
; %bb.4931:                             ;   in Loop: Header=BB4_4883 Depth=1
	s_bcnt1_i32_b32 s26, s26
	s_delay_alu instid0(SALU_CYCLE_1)
	v_dual_mov_b32 v3, v37 :: v_dual_mov_b32 v2, s26
	s_wait_loadcnt 0x0
	ds_add_u64 v0, v[2:3]
	s_trap 2
.LBB4_4932:                             ;   in Loop: Header=BB4_4883 Depth=1
	s_or_b32 exec_lo, exec_lo, s25
	s_trap 2
	ds_load_b64 v[2:3], v0
	s_wait_dscnt 0x0
	v_add_nc_u64_e32 v[28:29], v[28:29], v[38:39]
	s_mov_b32 s25, exec_lo
	s_delay_alu instid0(VALU_DEP_1)
	v_cmpx_lt_u64_e64 v[2:3], v[28:29]
	s_cbranch_execz .LBB4_4941
; %bb.4933:                             ;   in Loop: Header=BB4_4883 Depth=1
	s_mov_b32 s26, 0
	s_mov_b32 s29, 0
                                        ; implicit-def: $sgpr27
                                        ; implicit-def: $sgpr28
	s_branch .LBB4_4935
.LBB4_4934:                             ;   in Loop: Header=BB4_4935 Depth=2
	s_or_b32 exec_lo, exec_lo, s41
	s_delay_alu instid0(SALU_CYCLE_1) | instskip(NEXT) | instid1(SALU_CYCLE_1)
	s_and_b32 s40, exec_lo, s42
	s_or_b32 s26, s40, s26
	s_and_not1_b32 s27, s27, exec_lo
	s_and_b32 s40, s28, exec_lo
	s_delay_alu instid0(SALU_CYCLE_1)
	s_or_b32 s27, s27, s40
	s_and_not1_b32 exec_lo, exec_lo, s26
	s_cbranch_execz .LBB4_4939
.LBB4_4935:                             ;   Parent Loop BB4_4883 Depth=1
                                        ; =>  This Inner Loop Header: Depth=2
	s_add_co_i32 s29, s29, 1
	s_delay_alu instid0(SALU_CYCLE_1) | instskip(SKIP_1) | instid1(SALU_CYCLE_1)
	s_cmp_lg_u32 s29, 0x2710
	s_cselect_b32 s40, -1, 0
	s_and_b32 vcc_lo, exec_lo, s40
	s_cbranch_vccz .LBB4_4937
; %bb.4936:                             ;   in Loop: Header=BB4_4935 Depth=2
	s_mov_b32 s42, -1
	s_or_b32 s28, s28, exec_lo
	s_and_saveexec_b32 s41, s40
	s_cbranch_execz .LBB4_4934
	s_branch .LBB4_4938
.LBB4_4937:                             ;   in Loop: Header=BB4_4935 Depth=2
	s_trap 2
	ds_load_b64 v[2:3], v0
	s_and_not1_b32 s40, s40, exec_lo
	s_mov_b32 s29, 0
	s_wait_loadcnt_dscnt 0x0
	flat_load_b32 v2, v[2:3] scope:SCOPE_SYS
	s_wait_loadcnt_dscnt 0x0
	global_inv scope:SCOPE_SYS
	v_cmp_eq_u32_e32 vcc_lo, 0, v2
	s_and_b32 s41, vcc_lo, exec_lo
	s_delay_alu instid0(SALU_CYCLE_1)
	s_or_b32 s40, s40, s41
	s_mov_b32 s42, -1
	s_or_b32 s28, s28, exec_lo
	s_and_saveexec_b32 s41, s40
	s_cbranch_execz .LBB4_4934
.LBB4_4938:                             ;   in Loop: Header=BB4_4935 Depth=2
	s_sleep 1
	s_trap 2
	ds_load_b64 v[2:3], v0
	s_wait_dscnt 0x0
	s_and_not1_b32 s28, s28, exec_lo
	v_cmp_ge_u64_e32 vcc_lo, v[2:3], v[28:29]
	s_or_not1_b32 s42, vcc_lo, exec_lo
	s_branch .LBB4_4934
.LBB4_4939:                             ;   in Loop: Header=BB4_4883 Depth=1
	s_or_b32 exec_lo, exec_lo, s26
	s_and_saveexec_b32 s26, s27
	s_delay_alu instid0(SALU_CYCLE_1)
	s_xor_b32 s26, exec_lo, s26
	s_cbranch_execz .LBB4_4941
; %bb.4940:                             ;   in Loop: Header=BB4_4883 Depth=1
	ds_store_b32 v0, v108
	s_trap 2
.LBB4_4941:                             ;   in Loop: Header=BB4_4883 Depth=1
	s_or_b32 exec_lo, exec_lo, s25
	;;#ASMSTART
	s_wakeup
	;;#ASMEND
.LBB4_4942:                             ;   in Loop: Header=BB4_4883 Depth=1
	s_or_b32 exec_lo, exec_lo, s11
.LBB4_4943:                             ;   in Loop: Header=BB4_4883 Depth=1
	s_and_not1_saveexec_b32 s10, s10
	s_cbranch_execz .LBB4_4945
; %bb.4944:                             ;   in Loop: Header=BB4_4883 Depth=1
	global_wb scope:SCOPE_DEV
	s_wait_storecnt 0x0
	s_wait_loadcnt_dscnt 0x0
	global_inv scope:SCOPE_DEV
	s_barrier_signal -1
	s_barrier_wait -1
.LBB4_4945:                             ;   in Loop: Header=BB4_4883 Depth=1
	s_or_b32 exec_lo, exec_lo, s10
.LBB4_4946:                             ;   in Loop: Header=BB4_4883 Depth=1
	s_delay_alu instid0(SALU_CYCLE_1)
	s_or_b32 exec_lo, exec_lo, s7
	s_trap 2
	s_wait_dscnt 0x0
	ds_load_b64 v[68:69], v0
	v_min_u32_e32 v67, v67, v66
	s_wait_dscnt 0x0
	v_cmp_eq_u64_e32 vcc_lo, 0, v[68:69]
	s_cbranch_vccnz .LBB4_4954
; %bb.4947:                             ;   in Loop: Header=BB4_4883 Depth=1
	s_trap 2
	ds_load_b64 v[70:71], v0
	s_wait_dscnt 0x0
	v_cmp_eq_u64_e32 vcc_lo, 0, v[70:71]
	s_cbranch_vccnz .LBB4_4954
; %bb.4948:                             ;   in Loop: Header=BB4_4883 Depth=1
	s_mov_b32 s7, -1
	s_and_saveexec_b32 s10, s5
	s_cbranch_execz .LBB4_4950
; %bb.4949:                             ;   in Loop: Header=BB4_4883 Depth=1
	ds_load_b32 v2, v0 offset:720
	s_wait_dscnt 0x0
	v_and_b32_e32 v2, 15, v2
	s_delay_alu instid0(VALU_DEP_1)
	v_cmp_eq_u32_e32 vcc_lo, 0, v2
	s_or_not1_b32 s7, vcc_lo, exec_lo
.LBB4_4950:                             ;   in Loop: Header=BB4_4883 Depth=1
	s_or_b32 exec_lo, exec_lo, s10
	s_and_saveexec_b32 s10, s6
	s_cbranch_execz .LBB4_4952
; %bb.4951:                             ;   in Loop: Header=BB4_4883 Depth=1
	ds_load_b32 v2, v0 offset:784
	s_wait_dscnt 0x0
	v_and_b32_e32 v2, 15, v2
	s_delay_alu instid0(VALU_DEP_1) | instskip(SKIP_3) | instid1(SALU_CYCLE_1)
	v_cmp_eq_u32_e32 vcc_lo, 0, v2
	s_and_b32 s11, s7, vcc_lo
	s_and_not1_b32 s7, s7, exec_lo
	s_and_b32 s11, s11, exec_lo
	s_or_b32 s7, s7, s11
.LBB4_4952:                             ;   in Loop: Header=BB4_4883 Depth=1
	s_or_b32 exec_lo, exec_lo, s10
	v_cmp_eq_u32_e32 vcc_lo, 0, v0
	s_xor_b32 s7, s7, -1
	v_mov_b32_e32 v30, 0
	v_cndmask_b32_e64 v2, 0, 1, s7
	s_mov_b32 s7, -1
	v_dual_cndmask_b32 v111, 0, v67, vcc_lo :: v_dual_mov_b32 v123, v121
	s_delay_alu instid0(VALU_DEP_2) | instskip(NEXT) | instid1(VALU_DEP_2)
	v_cmp_ne_u32_e32 vcc_lo, 0, v2
	v_mov_b32_e32 v122, v111
	s_cbranch_vccz .LBB4_4955
; %bb.4953:                             ;   in Loop: Header=BB4_4883 Depth=1
	s_and_saveexec_b32 s25, s7
	s_cbranch_execnz .LBB4_8278
	s_branch .LBB4_9628
.LBB4_4954:                             ;   in Loop: Header=BB4_4883 Depth=1
	s_mov_b32 s7, 0
	s_and_saveexec_b32 s10, s2
	s_cbranch_execnz .LBB4_9629
	s_branch .LBB4_9647
.LBB4_4955:                             ;   in Loop: Header=BB4_4883 Depth=1
	v_lshrrev_b32_e32 v0, 10, v111
	s_mov_b32 s10, exec_lo
	s_delay_alu instid0(VALU_DEP_1) | instskip(NEXT) | instid1(VALU_DEP_1)
	v_sub_nc_u32_e32 v98, v0, v106
	v_cmpx_lt_i32_e32 0, v98
	s_cbranch_execz .LBB4_7207
; %bb.4956:                             ;   in Loop: Header=BB4_4883 Depth=1
	s_trap 2
	ds_load_b64 v[2:3], v0
	v_add_nc_u64_e32 v[80:81], v[68:69], v[48:49]
	v_add_nc_u64_e32 v[82:83], v[70:71], v[48:49]
	s_wait_dscnt 0x0
	v_readfirstlane_b32 s26, v2
	v_readfirstlane_b32 s27, v3
	v_add_nc_u64_e32 v[84:85], v[2:3], v[48:49]
	s_and_b32 s11, s26, 3
	s_bfe_i32 s7, s26, 0x80000
	s_clz_i32_u32 s29, s11
	s_bfe_u32 s25, s26, 0x50002
	s_min_u32 s29, s29, 32
	s_and_b32 s28, s26, 0x7c
	s_sub_co_i32 s42, s29, 29
	s_lshl_b32 s40, s26, 24
	s_sext_i32_i8 s41, s26
	s_lshl_b64 s[26:27], s[26:27], s42
	s_and_b32 s40, s40, 0x80000000
	s_sub_co_i32 s27, 30, s29
	s_and_b32 s26, s26, 3
	s_cmp_gt_i32 s41, -1
	s_cselect_b32 s29, s22, 0xff800000
	s_cmp_eq_u32 s11, 0
	s_cselect_b32 s29, s29, 0x7f800001
	s_cmp_eq_u32 s25, 0
	s_cselect_b32 s25, s27, s25
	s_cselect_b32 s11, s26, s11
	s_lshl_b32 s25, s25, 23
	s_lshl_b32 s11, s11, 21
	s_add_co_i32 s25, s25, s40
	s_delay_alu instid0(SALU_CYCLE_1)
	s_or_b32 s11, s25, s11
	s_mov_b32 s25, 0
	s_add_co_i32 s11, s11, 0x38000000
	s_cmp_eq_u32 s28, 0x7c
	s_cselect_b32 s11, s29, s11
	s_and_b32 s26, s7, 0xff
	s_delay_alu instid0(SALU_CYCLE_1)
	s_and_b32 s27, 0xffff, s26
	s_branch .LBB4_4959
.LBB4_4957:                             ;   in Loop: Header=BB4_4959 Depth=2
	s_or_b32 exec_lo, exec_lo, s28
.LBB4_4958:                             ;   in Loop: Header=BB4_4959 Depth=2
	s_delay_alu instid0(SALU_CYCLE_1)
	s_or_b32 exec_lo, exec_lo, s7
	v_lshl_or_b32 v11, v56, 8, v41
	v_dual_lshlrev_b32 v12, 16, v96 :: v_dual_lshlrev_b32 v13, 24, v30
	v_lshl_or_b32 v0, v0, 8, v99
	v_dual_lshlrev_b32 v15, 16, v102 :: v_dual_lshlrev_b32 v20, 24, v115
	;; [unrolled: 2-line block ×3, first 2 shown]
	v_or3_b32 v59, v11, v12, v13
	s_delay_alu instid0(VALU_DEP_4)
	v_or3_b32 v58, v0, v15, v20
	v_dual_lshlrev_b32 v0, 24, v87 :: v_dual_lshlrev_b32 v11, 16, v86
	v_lshl_or_b32 v12, v47, 8, v42
	v_or3_b32 v60, v21, v24, v25
	v_lshl_or_b32 v13, v118, 8, v112
	v_dual_lshlrev_b32 v15, 16, v16 :: v_dual_lshlrev_b32 v16, 24, v17
	v_lshl_or_b32 v17, v43, 8, v117
	v_dual_lshlrev_b32 v20, 16, v45 :: v_dual_lshlrev_b32 v24, 16, v116
	v_dual_lshlrev_b32 v21, 24, v57 :: v_dual_lshlrev_b32 v25, 24, v119
	v_lshl_or_b32 v3, v113, 8, v3
	v_lshlrev_b32_e32 v30, 24, v10
	v_lshlrev_b32_e32 v14, 16, v14
	v_lshl_or_b32 v2, v2, 8, v100
	v_or3_b32 v61, v12, v11, v0
	v_sub_nc_u32_e32 v98, v98, v38
	v_or3_b32 v11, v13, v15, v16
	v_or3_b32 v10, v17, v20, v21
	;; [unrolled: 1-line block ×4, first 2 shown]
	s_clause 0x1
	global_store_b128 v[82:83], v[58:61], off th:TH_STORE_NT
	global_store_b128 v[82:83], v[10:13], off offset:512 th:TH_STORE_NT
	v_add_nc_u64_e32 v[80:81], v[80:81], v[50:51]
	v_add_nc_u64_e32 v[84:85], v[84:85], v[50:51]
	v_cmp_gt_i32_e32 vcc_lo, 1, v98
	s_wait_xcnt 0x0
	v_add_nc_u64_e32 v[82:83], v[82:83], v[50:51]
	s_or_b32 s25, vcc_lo, s25
	s_delay_alu instid0(SALU_CYCLE_1)
	s_and_not1_b32 exec_lo, exec_lo, s25
	s_cbranch_execz .LBB4_7206
.LBB4_4959:                             ;   Parent Loop BB4_4883 Depth=1
                                        ; =>  This Inner Loop Header: Depth=2
	s_cmp_lt_i32 s26, 0x80
	s_cbranch_scc1 .LBB4_4963
; %bb.4960:                             ;   in Loop: Header=BB4_4959 Depth=2
	s_cmp_eq_u32 s27, 0x80
	s_mov_b32 s7, -1
	s_cbranch_scc0 .LBB4_4962
; %bb.4961:                             ;   in Loop: Header=BB4_4959 Depth=2
	s_mov_b32 s7, 0
.LBB4_4962:                             ;   in Loop: Header=BB4_4959 Depth=2
	s_brev_b32 s28, 1
	s_branch .LBB4_4965
.LBB4_4963:                             ;   in Loop: Header=BB4_4959 Depth=2
	s_mov_b32 s7, 0
	s_brev_b32 s28, 1
	s_cbranch_execz .LBB4_4965
; %bb.4964:                             ;   in Loop: Header=BB4_4959 Depth=2
	s_cmp_lg_u32 s27, 0
	s_mov_b32 s28, 0
	s_cselect_b32 s7, -1, 0
.LBB4_4965:                             ;   in Loop: Header=BB4_4959 Depth=2
	s_delay_alu instid0(SALU_CYCLE_1)
	s_and_not1_b32 vcc_lo, exec_lo, s7
	s_cbranch_vccnz .LBB4_4967
; %bb.4966:                             ;   in Loop: Header=BB4_4959 Depth=2
	s_mov_b32 s28, s11
.LBB4_4967:                             ;   in Loop: Header=BB4_4959 Depth=2
	global_load_b128 v[10:13], v[80:81], off th:TH_LOAD_NT
	s_wait_loadcnt 0x0
	v_and_b32_e32 v0, 0xff, v10
	s_delay_alu instid0(VALU_DEP_1)
	v_cmp_ne_u16_e32 vcc_lo, 0, v0
	v_mov_b32_e32 v0, 0
	s_wait_xcnt 0x0
	s_and_saveexec_b32 s7, vcc_lo
	s_cbranch_execz .LBB4_4977
; %bb.4968:                             ;   in Loop: Header=BB4_4959 Depth=2
	v_bfe_i32 v3, v10, 0, 8
	v_bfrev_b32_e32 v0, 1
	s_mov_b32 s29, exec_lo
	s_delay_alu instid0(VALU_DEP_2)
	v_cmpx_ne_u16_e32 0xff80, v3
	s_cbranch_execz .LBB4_4976
; %bb.4969:                             ;   in Loop: Header=BB4_4959 Depth=2
	v_and_b32_e32 v0, 0x7c, v10
	v_and_b32_e32 v2, 3, v10
	s_delay_alu instid0(VALU_DEP_2) | instskip(SKIP_1) | instid1(SALU_CYCLE_1)
	v_cmp_ne_u32_e32 vcc_lo, 0x7c, v0
                                        ; implicit-def: $vgpr0
	s_and_saveexec_b32 s40, vcc_lo
	s_xor_b32 s40, exec_lo, s40
	s_cbranch_execz .LBB4_4973
; %bb.4970:                             ;   in Loop: Header=BB4_4959 Depth=2
	v_bfe_u32 v0, v10, 2, 5
	s_mov_b32 s41, exec_lo
	s_delay_alu instid0(VALU_DEP_1)
	v_cmpx_eq_u32_e32 0, v0
; %bb.4971:                             ;   in Loop: Header=BB4_4959 Depth=2
	v_clz_i32_u32_e32 v0, v2
	s_delay_alu instid0(VALU_DEP_1) | instskip(NEXT) | instid1(VALU_DEP_1)
	v_min_u32_e32 v0, 32, v0
	v_subrev_nc_u32_e32 v2, 29, v0
	s_delay_alu instid0(VALU_DEP_1) | instskip(NEXT) | instid1(VALU_DEP_1)
	v_lshlrev_b64_e32 v[2:3], v2, v[10:11]
	v_dual_sub_nc_u32 v0, 30, v0 :: v_dual_bitop2_b32 v2, 3, v2 bitop3:0x40
; %bb.4972:                             ;   in Loop: Header=BB4_4959 Depth=2
	s_or_b32 exec_lo, exec_lo, s41
	v_lshlrev_b32_e32 v3, 24, v10
	s_delay_alu instid0(VALU_DEP_1) | instskip(NEXT) | instid1(VALU_DEP_1)
	v_and_b32_e32 v3, 0x80000000, v3
	v_lshl_add_u32 v0, v0, 23, v3
                                        ; implicit-def: $vgpr3
	s_delay_alu instid0(VALU_DEP_1) | instskip(NEXT) | instid1(VALU_DEP_1)
	v_lshl_or_b32 v0, v2, 21, v0
                                        ; implicit-def: $vgpr2
	v_add_nc_u32_e32 v0, 0x38000000, v0
.LBB4_4973:                             ;   in Loop: Header=BB4_4959 Depth=2
	s_and_not1_saveexec_b32 s40, s40
; %bb.4974:                             ;   in Loop: Header=BB4_4959 Depth=2
	v_cmp_lt_i16_e32 vcc_lo, -1, v3
	v_cndmask_b32_e32 v0, 0xff800000, v109, vcc_lo
	v_cmp_eq_u32_e32 vcc_lo, 0, v2
	s_delay_alu instid0(VALU_DEP_2)
	v_cndmask_b32_e32 v0, 0x7f800001, v0, vcc_lo
; %bb.4975:                             ;   in Loop: Header=BB4_4959 Depth=2
	s_or_b32 exec_lo, exec_lo, s40
.LBB4_4976:                             ;   in Loop: Header=BB4_4959 Depth=2
	s_delay_alu instid0(SALU_CYCLE_1)
	s_or_b32 exec_lo, exec_lo, s29
.LBB4_4977:                             ;   in Loop: Header=BB4_4959 Depth=2
	s_delay_alu instid0(SALU_CYCLE_1) | instskip(NEXT) | instid1(VALU_DEP_1)
	s_or_b32 exec_lo, exec_lo, s7
	v_dual_mul_f32 v3, s28, v0 :: v_dual_mov_b32 v15, v37
                                        ; implicit-def: $vgpr0
	s_mov_b32 s7, exec_lo
	s_delay_alu instid0(VALU_DEP_1) | instskip(SKIP_2) | instid1(VALU_DEP_3)
	v_and_b32_e32 v14, 0x7f800000, v3
	v_and_b32_e32 v36, 0x7fffff, v3
	v_lshrrev_b32_e32 v2, 24, v3
	v_cmpx_ne_u64_e32 0x7f800000, v[14:15]
	s_xor_b32 s29, exec_lo, s7
	s_cbranch_execz .LBB4_4991
; %bb.4978:                             ;   in Loop: Header=BB4_4959 Depth=2
	v_and_b32_e32 v14, 0x7fffffff, v3
	v_mov_b32_e32 v15, v37
	v_and_b32_e32 v2, 0x80, v2
                                        ; implicit-def: $vgpr0
	s_mov_b32 s7, exec_lo
	s_delay_alu instid0(VALU_DEP_2)
	v_cmpx_gt_u64_e32 0x47600001, v[14:15]
	s_xor_b32 s40, exec_lo, s7
	s_cbranch_execz .LBB4_4988
; %bb.4979:                             ;   in Loop: Header=BB4_4959 Depth=2
	v_mov_b32_e32 v0, 0
	s_mov_b32 s41, exec_lo
	v_cmpx_ne_u32_e32 0, v3
	s_cbranch_execz .LBB4_4987
; %bb.4980:                             ;   in Loop: Header=BB4_4959 Depth=2
	v_bfe_u32 v0, v3, 23, 8
	v_or_b32_e32 v16, 0x800000, v36
	v_mov_b32_e32 v17, v37
	s_mov_b32 s42, exec_lo
	s_delay_alu instid0(VALU_DEP_3) | instskip(SKIP_1) | instid1(VALU_DEP_2)
	v_sub_nc_u32_e32 v3, 0x71, v0
	v_cmp_gt_u32_e32 vcc_lo, 0x72, v0
	v_cndmask_b32_e32 v3, 0, v3, vcc_lo
	v_cmp_eq_u32_e32 vcc_lo, 0, v0
	v_cndmask_b32_e32 v16, v16, v36, vcc_lo
	s_delay_alu instid0(VALU_DEP_3) | instskip(NEXT) | instid1(VALU_DEP_1)
	v_cndmask_b32_e64 v3, v3, 0x70, vcc_lo
	v_dual_add_nc_u32 v14, 21, v3 :: v_dual_add_nc_u32 v20, 20, v3
	s_delay_alu instid0(VALU_DEP_1) | instskip(NEXT) | instid1(VALU_DEP_2)
	v_lshlrev_b64_e64 v[14:15], v14, -1
	v_lshlrev_b64_e64 v[20:21], v20, 1
	s_delay_alu instid0(VALU_DEP_2) | instskip(NEXT) | instid1(VALU_DEP_3)
	v_bfi_b32 v25, v15, 0, 0
	v_bfi_b32 v24, v14, 0, v16
	v_lshrrev_b64 v[14:15], v3, v[16:17]
	s_delay_alu instid0(VALU_DEP_1) | instskip(NEXT) | instid1(VALU_DEP_3)
	v_mov_b64_e32 v[16:17], v[14:15]
	v_cmpx_eq_u64_e64 v[24:25], v[20:21]
; %bb.4981:                             ;   in Loop: Header=BB4_4959 Depth=2
	v_bfe_u32 v16, v14, 21, 1
	v_mov_b32_e32 v17, v37
	s_delay_alu instid0(VALU_DEP_1) | instskip(NEXT) | instid1(VALU_DEP_1)
	v_add_nc_u64_e32 v[16:17], v[14:15], v[16:17]
	v_add_nc_u64_e32 v[16:17], -1, v[16:17]
; %bb.4982:                             ;   in Loop: Header=BB4_4959 Depth=2
	s_or_b32 exec_lo, exec_lo, s42
	v_add_nc_u32_e32 v0, 0xffffff81, v0
	v_lshrrev_b32_e32 v15, 23, v14
	s_mov_b32 s7, exec_lo
	s_delay_alu instid0(VALU_DEP_2) | instskip(NEXT) | instid1(VALU_DEP_1)
	v_cndmask_b32_e64 v0, v0, 0xffffff82, vcc_lo
	v_add3_u32 v3, v3, v0, v15
	v_and_b32_e32 v0, 0x1fffff, v16
	s_delay_alu instid0(VALU_DEP_1) | instskip(NEXT) | instid1(VALU_DEP_1)
	v_dual_add_nc_u32 v16, 14, v3 :: v_dual_add_nc_u32 v36, v0, v14
                                        ; implicit-def: $vgpr14_vgpr15
                                        ; implicit-def: $vgpr0
	v_cmpx_ne_u32_e32 0, v16
	s_xor_b32 s7, exec_lo, s7
; %bb.4983:                             ;   in Loop: Header=BB4_4959 Depth=2
	s_delay_alu instid0(VALU_DEP_2) | instskip(SKIP_2) | instid1(VALU_DEP_2)
	v_cmp_lt_u64_e32 vcc_lo, 0xffffff, v[36:37]
	v_add_nc_u32_e32 v0, 15, v3
	v_cndmask_b32_e64 v3, 0, 1, vcc_lo
	v_cndmask_b32_e32 v0, v16, v0, vcc_lo
	s_delay_alu instid0(VALU_DEP_2)
	v_lshrrev_b64 v[14:15], v3, v[36:37]
; %bb.4984:                             ;   in Loop: Header=BB4_4959 Depth=2
	s_and_not1_saveexec_b32 s7, s7
; %bb.4985:                             ;   in Loop: Header=BB4_4959 Depth=2
	v_mov_b64_e32 v[14:15], v[36:37]
	v_bfe_u32 v0, v36, 23, 1
; %bb.4986:                             ;   in Loop: Header=BB4_4959 Depth=2
	s_or_b32 exec_lo, exec_lo, s7
	s_delay_alu instid0(VALU_DEP_2) | instskip(NEXT) | instid1(VALU_DEP_2)
	v_lshrrev_b64 v[14:15], 21, v[14:15]
	v_cmp_gt_i32_e32 vcc_lo, 32, v0
	v_min_i32_e32 v3, 31, v0
	v_cmp_eq_u32_e64 s7, 0, v0
	s_delay_alu instid0(VALU_DEP_4) | instskip(NEXT) | instid1(VALU_DEP_3)
	v_cndmask_b32_e32 v15, 0, v15, vcc_lo
	v_dual_cndmask_b32 v14, 3, v14 :: v_dual_lshlrev_b32 v3, 2, v3
	s_delay_alu instid0(VALU_DEP_1) | instskip(NEXT) | instid1(VALU_DEP_2)
	v_and_b32_e32 v3, 0xfc, v3
	v_cmp_eq_u64_e32 vcc_lo, 0, v[14:15]
	s_delay_alu instid0(VALU_DEP_2)
	v_and_or_b32 v0, v14, 3, v3
	s_and_b32 s7, s7, vcc_lo
	s_delay_alu instid0(VALU_DEP_1) | instid1(SALU_CYCLE_1)
	v_cndmask_b32_e64 v0, v0, 0, s7
	s_delay_alu instid0(VALU_DEP_1)
	v_or_b32_e32 v0, v0, v2
.LBB4_4987:                             ;   in Loop: Header=BB4_4959 Depth=2
	s_or_b32 exec_lo, exec_lo, s41
                                        ; implicit-def: $vgpr2
.LBB4_4988:                             ;   in Loop: Header=BB4_4959 Depth=2
	s_and_not1_saveexec_b32 s7, s40
; %bb.4989:                             ;   in Loop: Header=BB4_4959 Depth=2
	v_or_b32_e32 v0, 0x7b, v2
; %bb.4990:                             ;   in Loop: Header=BB4_4959 Depth=2
	s_or_b32 exec_lo, exec_lo, s7
                                        ; implicit-def: $vgpr3
                                        ; implicit-def: $vgpr2
.LBB4_4991:                             ;   in Loop: Header=BB4_4959 Depth=2
	s_and_not1_saveexec_b32 s7, s29
	s_cbranch_execz .LBB4_4997
; %bb.4992:                             ;   in Loop: Header=BB4_4959 Depth=2
	s_mov_b32 s29, exec_lo
                                        ; implicit-def: $vgpr0
	v_cmpx_ne_u64_e32 0, v[36:37]
	s_xor_b32 s29, exec_lo, s29
; %bb.4993:                             ;   in Loop: Header=BB4_4959 Depth=2
	v_or_b32_e32 v0, 0x7f, v2
                                        ; implicit-def: $vgpr3
; %bb.4994:                             ;   in Loop: Header=BB4_4959 Depth=2
	s_and_not1_saveexec_b32 s29, s29
; %bb.4995:                             ;   in Loop: Header=BB4_4959 Depth=2
	v_cmp_lt_i32_e32 vcc_lo, -1, v3
	v_cndmask_b32_e32 v0, 0xfc, v110, vcc_lo
; %bb.4996:                             ;   in Loop: Header=BB4_4959 Depth=2
	s_or_b32 exec_lo, exec_lo, s29
.LBB4_4997:                             ;   in Loop: Header=BB4_4959 Depth=2
	s_delay_alu instid0(SALU_CYCLE_1) | instskip(SKIP_3) | instid1(VALU_DEP_2)
	s_or_b32 exec_lo, exec_lo, s7
	v_lshrrev_b16 v14, 8, v10
	v_mov_b32_e32 v3, 0
	s_mov_b32 s7, exec_lo
	v_cmpx_ne_u16_e32 0, v14
	s_cbranch_execz .LBB4_5007
; %bb.4998:                             ;   in Loop: Header=BB4_4959 Depth=2
	v_bfrev_b32_e32 v3, 1
	s_mov_b32 s29, exec_lo
	v_cmpx_ne_u16_e32 0x80, v14
	s_cbranch_execz .LBB4_5006
; %bb.4999:                             ;   in Loop: Header=BB4_4959 Depth=2
	v_and_b32_e32 v15, 0xffff, v14
	s_delay_alu instid0(VALU_DEP_1) | instskip(SKIP_1) | instid1(VALU_DEP_2)
	v_and_b32_e32 v3, 0x7c, v15
	v_and_b32_e32 v2, 3, v15
	v_cmp_ne_u32_e32 vcc_lo, 0x7c, v3
                                        ; implicit-def: $vgpr3
	s_and_saveexec_b32 s40, vcc_lo
	s_delay_alu instid0(SALU_CYCLE_1)
	s_xor_b32 s40, exec_lo, s40
	s_cbranch_execz .LBB4_5003
; %bb.5000:                             ;   in Loop: Header=BB4_4959 Depth=2
	v_bfe_u32 v3, v15, 2, 5
	s_mov_b32 s41, exec_lo
	s_delay_alu instid0(VALU_DEP_1)
	v_cmpx_eq_u32_e32 0, v3
; %bb.5001:                             ;   in Loop: Header=BB4_4959 Depth=2
	v_clz_i32_u32_e32 v2, v2
	s_delay_alu instid0(VALU_DEP_1) | instskip(SKIP_1) | instid1(VALU_DEP_2)
	v_min_u32_e32 v16, 32, v2
	v_mov_b32_e32 v15, v37
	v_subrev_nc_u32_e32 v2, 29, v16
	s_delay_alu instid0(VALU_DEP_1) | instskip(NEXT) | instid1(VALU_DEP_1)
	v_lshlrev_b64_e32 v[2:3], v2, v[14:15]
	v_dual_sub_nc_u32 v3, 30, v16 :: v_dual_bitop2_b32 v2, 3, v2 bitop3:0x40
; %bb.5002:                             ;   in Loop: Header=BB4_4959 Depth=2
	s_or_b32 exec_lo, exec_lo, s41
	v_lshlrev_b32_e32 v14, 16, v10
	s_delay_alu instid0(VALU_DEP_1) | instskip(NEXT) | instid1(VALU_DEP_1)
	v_and_b32_e32 v14, 0x80000000, v14
	v_lshl_add_u32 v3, v3, 23, v14
	s_delay_alu instid0(VALU_DEP_1) | instskip(NEXT) | instid1(VALU_DEP_1)
	v_lshl_or_b32 v2, v2, 21, v3
	v_add_nc_u32_e32 v3, 0x38000000, v2
                                        ; implicit-def: $vgpr2
.LBB4_5003:                             ;   in Loop: Header=BB4_4959 Depth=2
	s_and_not1_saveexec_b32 s40, s40
; %bb.5004:                             ;   in Loop: Header=BB4_4959 Depth=2
	v_cmp_lt_i16_e32 vcc_lo, -1, v10
	v_cndmask_b32_e32 v3, 0xff800000, v109, vcc_lo
	v_cmp_eq_u32_e32 vcc_lo, 0, v2
	s_delay_alu instid0(VALU_DEP_2)
	v_cndmask_b32_e32 v3, 0x7f800001, v3, vcc_lo
; %bb.5005:                             ;   in Loop: Header=BB4_4959 Depth=2
	s_or_b32 exec_lo, exec_lo, s40
.LBB4_5006:                             ;   in Loop: Header=BB4_4959 Depth=2
	s_delay_alu instid0(SALU_CYCLE_1)
	s_or_b32 exec_lo, exec_lo, s29
.LBB4_5007:                             ;   in Loop: Header=BB4_4959 Depth=2
	s_delay_alu instid0(SALU_CYCLE_1) | instskip(NEXT) | instid1(VALU_DEP_1)
	s_or_b32 exec_lo, exec_lo, s7
	v_dual_mul_f32 v3, s28, v3 :: v_dual_mov_b32 v15, v37
                                        ; implicit-def: $vgpr30
	s_mov_b32 s7, exec_lo
	s_delay_alu instid0(VALU_DEP_1) | instskip(SKIP_2) | instid1(VALU_DEP_3)
	v_and_b32_e32 v14, 0x7f800000, v3
	v_and_b32_e32 v36, 0x7fffff, v3
	v_lshrrev_b32_e32 v2, 24, v3
	v_cmpx_ne_u64_e32 0x7f800000, v[14:15]
	s_xor_b32 s29, exec_lo, s7
	s_cbranch_execz .LBB4_5021
; %bb.5008:                             ;   in Loop: Header=BB4_4959 Depth=2
	v_and_b32_e32 v14, 0x7fffffff, v3
	v_mov_b32_e32 v15, v37
	v_and_b32_e32 v2, 0x80, v2
                                        ; implicit-def: $vgpr30
	s_mov_b32 s7, exec_lo
	s_delay_alu instid0(VALU_DEP_2)
	v_cmpx_gt_u64_e32 0x47600001, v[14:15]
	s_xor_b32 s40, exec_lo, s7
	s_cbranch_execz .LBB4_5018
; %bb.5009:                             ;   in Loop: Header=BB4_4959 Depth=2
	v_mov_b32_e32 v30, 0
	s_mov_b32 s41, exec_lo
	v_cmpx_ne_u32_e32 0, v3
	s_cbranch_execz .LBB4_5017
; %bb.5010:                             ;   in Loop: Header=BB4_4959 Depth=2
	v_bfe_u32 v3, v3, 23, 8
	v_or_b32_e32 v16, 0x800000, v36
	s_mov_b32 s42, exec_lo
	s_delay_alu instid0(VALU_DEP_2) | instskip(SKIP_1) | instid1(VALU_DEP_2)
	v_dual_mov_b32 v17, v37 :: v_dual_sub_nc_u32 v14, 0x71, v3
	v_cmp_gt_u32_e32 vcc_lo, 0x72, v3
	v_cndmask_b32_e32 v14, 0, v14, vcc_lo
	v_cmp_eq_u32_e32 vcc_lo, 0, v3
	s_delay_alu instid0(VALU_DEP_2) | instskip(SKIP_1) | instid1(VALU_DEP_2)
	v_cndmask_b32_e64 v20, v14, 0x70, vcc_lo
	v_cndmask_b32_e32 v16, v16, v36, vcc_lo
	v_dual_add_nc_u32 v14, 21, v20 :: v_dual_add_nc_u32 v21, 20, v20
	s_delay_alu instid0(VALU_DEP_1) | instskip(NEXT) | instid1(VALU_DEP_2)
	v_lshlrev_b64_e64 v[14:15], v14, -1
	v_lshlrev_b64_e64 v[24:25], v21, 1
	s_delay_alu instid0(VALU_DEP_2) | instskip(NEXT) | instid1(VALU_DEP_3)
	v_bfi_b32 v31, v15, 0, 0
	v_bfi_b32 v30, v14, 0, v16
	v_lshrrev_b64 v[14:15], v20, v[16:17]
	s_delay_alu instid0(VALU_DEP_1) | instskip(NEXT) | instid1(VALU_DEP_3)
	v_mov_b64_e32 v[16:17], v[14:15]
	v_cmpx_eq_u64_e64 v[30:31], v[24:25]
; %bb.5011:                             ;   in Loop: Header=BB4_4959 Depth=2
	v_bfe_u32 v16, v14, 21, 1
	v_mov_b32_e32 v17, v37
	s_delay_alu instid0(VALU_DEP_1) | instskip(NEXT) | instid1(VALU_DEP_1)
	v_add_nc_u64_e32 v[16:17], v[14:15], v[16:17]
	v_add_nc_u64_e32 v[16:17], -1, v[16:17]
; %bb.5012:                             ;   in Loop: Header=BB4_4959 Depth=2
	s_or_b32 exec_lo, exec_lo, s42
	v_add_nc_u32_e32 v3, 0xffffff81, v3
	v_lshrrev_b32_e32 v15, 23, v14
	s_mov_b32 s7, exec_lo
	s_delay_alu instid0(VALU_DEP_2) | instskip(NEXT) | instid1(VALU_DEP_1)
	v_cndmask_b32_e64 v3, v3, 0xffffff82, vcc_lo
	v_add3_u32 v17, v20, v3, v15
	v_and_b32_e32 v3, 0x1fffff, v16
	s_delay_alu instid0(VALU_DEP_1) | instskip(NEXT) | instid1(VALU_DEP_1)
	v_dual_add_nc_u32 v16, 14, v17 :: v_dual_add_nc_u32 v36, v3, v14
                                        ; implicit-def: $vgpr14_vgpr15
                                        ; implicit-def: $vgpr3
	v_cmpx_ne_u32_e32 0, v16
	s_xor_b32 s7, exec_lo, s7
; %bb.5013:                             ;   in Loop: Header=BB4_4959 Depth=2
	s_delay_alu instid0(VALU_DEP_2) | instskip(SKIP_2) | instid1(VALU_DEP_2)
	v_cmp_lt_u64_e32 vcc_lo, 0xffffff, v[36:37]
	v_add_nc_u32_e32 v3, 15, v17
	v_cndmask_b32_e64 v14, 0, 1, vcc_lo
	v_cndmask_b32_e32 v3, v16, v3, vcc_lo
	s_delay_alu instid0(VALU_DEP_2)
	v_lshrrev_b64 v[14:15], v14, v[36:37]
; %bb.5014:                             ;   in Loop: Header=BB4_4959 Depth=2
	s_and_not1_saveexec_b32 s7, s7
; %bb.5015:                             ;   in Loop: Header=BB4_4959 Depth=2
	v_mov_b64_e32 v[14:15], v[36:37]
	v_bfe_u32 v3, v36, 23, 1
; %bb.5016:                             ;   in Loop: Header=BB4_4959 Depth=2
	s_or_b32 exec_lo, exec_lo, s7
	s_delay_alu instid0(VALU_DEP_2) | instskip(NEXT) | instid1(VALU_DEP_2)
	v_lshrrev_b64 v[14:15], 21, v[14:15]
	v_cmp_gt_i32_e32 vcc_lo, 32, v3
	v_min_i32_e32 v16, 31, v3
	v_cmp_eq_u32_e64 s7, 0, v3
	s_delay_alu instid0(VALU_DEP_2) | instskip(SKIP_1) | instid1(VALU_DEP_2)
	v_dual_cndmask_b32 v14, 3, v14, vcc_lo :: v_dual_lshlrev_b32 v16, 2, v16
	v_cndmask_b32_e32 v15, 0, v15, vcc_lo
	v_and_b32_e32 v16, 0xfc, v16
	s_delay_alu instid0(VALU_DEP_2) | instskip(NEXT) | instid1(VALU_DEP_2)
	v_cmp_eq_u64_e32 vcc_lo, 0, v[14:15]
	v_and_or_b32 v3, v14, 3, v16
	s_and_b32 s7, s7, vcc_lo
	s_delay_alu instid0(VALU_DEP_1) | instid1(SALU_CYCLE_1)
	v_cndmask_b32_e64 v3, v3, 0, s7
	s_delay_alu instid0(VALU_DEP_1)
	v_or_b32_e32 v30, v3, v2
.LBB4_5017:                             ;   in Loop: Header=BB4_4959 Depth=2
	s_or_b32 exec_lo, exec_lo, s41
                                        ; implicit-def: $vgpr2
.LBB4_5018:                             ;   in Loop: Header=BB4_4959 Depth=2
	s_and_not1_saveexec_b32 s7, s40
; %bb.5019:                             ;   in Loop: Header=BB4_4959 Depth=2
	v_or_b32_e32 v30, 0x7b, v2
; %bb.5020:                             ;   in Loop: Header=BB4_4959 Depth=2
	s_or_b32 exec_lo, exec_lo, s7
                                        ; implicit-def: $vgpr3
                                        ; implicit-def: $vgpr2
.LBB4_5021:                             ;   in Loop: Header=BB4_4959 Depth=2
	s_and_not1_saveexec_b32 s7, s29
	s_cbranch_execz .LBB4_5027
; %bb.5022:                             ;   in Loop: Header=BB4_4959 Depth=2
	s_mov_b32 s29, exec_lo
                                        ; implicit-def: $vgpr30
	v_cmpx_ne_u64_e32 0, v[36:37]
	s_xor_b32 s29, exec_lo, s29
; %bb.5023:                             ;   in Loop: Header=BB4_4959 Depth=2
	v_or_b32_e32 v30, 0x7f, v2
                                        ; implicit-def: $vgpr3
; %bb.5024:                             ;   in Loop: Header=BB4_4959 Depth=2
	s_and_not1_saveexec_b32 s29, s29
; %bb.5025:                             ;   in Loop: Header=BB4_4959 Depth=2
	v_cmp_lt_i32_e32 vcc_lo, -1, v3
	v_cndmask_b32_e32 v30, 0xfc, v110, vcc_lo
; %bb.5026:                             ;   in Loop: Header=BB4_4959 Depth=2
	s_or_b32 exec_lo, exec_lo, s29
.LBB4_5027:                             ;   in Loop: Header=BB4_4959 Depth=2
	s_delay_alu instid0(SALU_CYCLE_1) | instskip(SKIP_2) | instid1(VALU_DEP_1)
	s_or_b32 exec_lo, exec_lo, s7
	v_dual_lshrrev_b32 v14, 16, v10 :: v_dual_mov_b32 v2, 0
	s_mov_b32 s7, exec_lo
	v_and_b32_e32 v3, 0xff, v14
	s_delay_alu instid0(VALU_DEP_1)
	v_cmpx_ne_u16_e32 0, v3
	s_cbranch_execz .LBB4_5037
; %bb.5028:                             ;   in Loop: Header=BB4_4959 Depth=2
	v_bfrev_b32_e32 v2, 1
	s_mov_b32 s29, exec_lo
	v_cmpx_ne_u16_e32 0x80, v3
	s_cbranch_execz .LBB4_5036
; %bb.5029:                             ;   in Loop: Header=BB4_4959 Depth=2
	v_and_b32_e32 v2, 0x7c0000, v10
	v_bfe_u32 v3, v10, 16, 2
	s_delay_alu instid0(VALU_DEP_2) | instskip(SKIP_1) | instid1(SALU_CYCLE_1)
	v_cmp_ne_u32_e32 vcc_lo, 0x7c0000, v2
                                        ; implicit-def: $vgpr2
	s_and_saveexec_b32 s40, vcc_lo
	s_xor_b32 s40, exec_lo, s40
	s_cbranch_execz .LBB4_5033
; %bb.5030:                             ;   in Loop: Header=BB4_4959 Depth=2
	v_bfe_u32 v2, v10, 18, 5
	s_mov_b32 s41, exec_lo
	s_delay_alu instid0(VALU_DEP_1)
	v_cmpx_eq_u32_e32 0, v2
; %bb.5031:                             ;   in Loop: Header=BB4_4959 Depth=2
	v_clz_i32_u32_e32 v2, v3
	s_delay_alu instid0(VALU_DEP_1) | instskip(NEXT) | instid1(VALU_DEP_1)
	v_min_u32_e32 v2, 32, v2
	v_subrev_nc_u32_e32 v3, 29, v2
	s_delay_alu instid0(VALU_DEP_1) | instskip(NEXT) | instid1(VALU_DEP_1)
	v_lshlrev_b64_e32 v[16:17], v3, v[14:15]
	v_dual_sub_nc_u32 v2, 30, v2 :: v_dual_bitop2_b32 v3, 3, v16 bitop3:0x40
; %bb.5032:                             ;   in Loop: Header=BB4_4959 Depth=2
	s_or_b32 exec_lo, exec_lo, s41
	v_lshlrev_b32_e32 v14, 24, v14
	s_delay_alu instid0(VALU_DEP_1) | instskip(NEXT) | instid1(VALU_DEP_1)
	v_and_b32_e32 v14, 0x80000000, v14
	v_lshl_add_u32 v2, v2, 23, v14
                                        ; implicit-def: $vgpr14
	s_delay_alu instid0(VALU_DEP_1) | instskip(NEXT) | instid1(VALU_DEP_1)
	v_lshl_or_b32 v2, v3, 21, v2
                                        ; implicit-def: $vgpr3
	v_add_nc_u32_e32 v2, 0x38000000, v2
.LBB4_5033:                             ;   in Loop: Header=BB4_4959 Depth=2
	s_and_not1_saveexec_b32 s40, s40
; %bb.5034:                             ;   in Loop: Header=BB4_4959 Depth=2
	v_bfe_i32 v2, v14, 0, 8
	s_delay_alu instid0(VALU_DEP_1) | instskip(SKIP_2) | instid1(VALU_DEP_2)
	v_cmp_lt_i16_e32 vcc_lo, -1, v2
	v_cndmask_b32_e32 v2, 0xff800000, v109, vcc_lo
	v_cmp_eq_u32_e32 vcc_lo, 0, v3
	v_cndmask_b32_e32 v2, 0x7f800001, v2, vcc_lo
; %bb.5035:                             ;   in Loop: Header=BB4_4959 Depth=2
	s_or_b32 exec_lo, exec_lo, s40
.LBB4_5036:                             ;   in Loop: Header=BB4_4959 Depth=2
	s_delay_alu instid0(SALU_CYCLE_1)
	s_or_b32 exec_lo, exec_lo, s29
.LBB4_5037:                             ;   in Loop: Header=BB4_4959 Depth=2
	s_delay_alu instid0(SALU_CYCLE_1) | instskip(NEXT) | instid1(VALU_DEP_1)
	s_or_b32 exec_lo, exec_lo, s7
	v_dual_mul_f32 v3, s28, v2 :: v_dual_mov_b32 v15, v37
                                        ; implicit-def: $vgpr86
	s_mov_b32 s7, exec_lo
	s_delay_alu instid0(VALU_DEP_1) | instskip(SKIP_2) | instid1(VALU_DEP_3)
	v_and_b32_e32 v14, 0x7f800000, v3
	v_and_b32_e32 v36, 0x7fffff, v3
	v_lshrrev_b32_e32 v2, 24, v3
	v_cmpx_ne_u64_e32 0x7f800000, v[14:15]
	s_xor_b32 s29, exec_lo, s7
	s_cbranch_execz .LBB4_5051
; %bb.5038:                             ;   in Loop: Header=BB4_4959 Depth=2
	v_and_b32_e32 v14, 0x7fffffff, v3
	v_mov_b32_e32 v15, v37
	v_and_b32_e32 v2, 0x80, v2
                                        ; implicit-def: $vgpr86
	s_mov_b32 s7, exec_lo
	s_delay_alu instid0(VALU_DEP_2)
	v_cmpx_gt_u64_e32 0x47600001, v[14:15]
	s_xor_b32 s40, exec_lo, s7
	s_cbranch_execz .LBB4_5048
; %bb.5039:                             ;   in Loop: Header=BB4_4959 Depth=2
	v_mov_b32_e32 v86, 0
	s_mov_b32 s41, exec_lo
	v_cmpx_ne_u32_e32 0, v3
	s_cbranch_execz .LBB4_5047
; %bb.5040:                             ;   in Loop: Header=BB4_4959 Depth=2
	v_bfe_u32 v3, v3, 23, 8
	v_or_b32_e32 v16, 0x800000, v36
	s_mov_b32 s42, exec_lo
	s_delay_alu instid0(VALU_DEP_2) | instskip(SKIP_1) | instid1(VALU_DEP_2)
	v_dual_mov_b32 v17, v37 :: v_dual_sub_nc_u32 v14, 0x71, v3
	v_cmp_gt_u32_e32 vcc_lo, 0x72, v3
	v_cndmask_b32_e32 v14, 0, v14, vcc_lo
	v_cmp_eq_u32_e32 vcc_lo, 0, v3
	s_delay_alu instid0(VALU_DEP_2) | instskip(SKIP_1) | instid1(VALU_DEP_2)
	v_cndmask_b32_e64 v20, v14, 0x70, vcc_lo
	v_cndmask_b32_e32 v16, v16, v36, vcc_lo
	v_dual_add_nc_u32 v14, 21, v20 :: v_dual_add_nc_u32 v21, 20, v20
	s_delay_alu instid0(VALU_DEP_1) | instskip(NEXT) | instid1(VALU_DEP_2)
	v_lshlrev_b64_e64 v[14:15], v14, -1
	v_lshlrev_b64_e64 v[24:25], v21, 1
	s_delay_alu instid0(VALU_DEP_2) | instskip(NEXT) | instid1(VALU_DEP_3)
	v_bfi_b32 v87, v15, 0, 0
	v_bfi_b32 v86, v14, 0, v16
	v_lshrrev_b64 v[14:15], v20, v[16:17]
	s_delay_alu instid0(VALU_DEP_1) | instskip(NEXT) | instid1(VALU_DEP_3)
	v_mov_b64_e32 v[16:17], v[14:15]
	v_cmpx_eq_u64_e64 v[86:87], v[24:25]
; %bb.5041:                             ;   in Loop: Header=BB4_4959 Depth=2
	v_bfe_u32 v16, v14, 21, 1
	v_mov_b32_e32 v17, v37
	s_delay_alu instid0(VALU_DEP_1) | instskip(NEXT) | instid1(VALU_DEP_1)
	v_add_nc_u64_e32 v[16:17], v[14:15], v[16:17]
	v_add_nc_u64_e32 v[16:17], -1, v[16:17]
; %bb.5042:                             ;   in Loop: Header=BB4_4959 Depth=2
	s_or_b32 exec_lo, exec_lo, s42
	v_add_nc_u32_e32 v3, 0xffffff81, v3
	v_lshrrev_b32_e32 v15, 23, v14
	s_mov_b32 s7, exec_lo
	s_delay_alu instid0(VALU_DEP_2) | instskip(NEXT) | instid1(VALU_DEP_1)
	v_cndmask_b32_e64 v3, v3, 0xffffff82, vcc_lo
	v_add3_u32 v17, v20, v3, v15
	v_and_b32_e32 v3, 0x1fffff, v16
	s_delay_alu instid0(VALU_DEP_1) | instskip(NEXT) | instid1(VALU_DEP_1)
	v_dual_add_nc_u32 v16, 14, v17 :: v_dual_add_nc_u32 v36, v3, v14
                                        ; implicit-def: $vgpr14_vgpr15
                                        ; implicit-def: $vgpr3
	v_cmpx_ne_u32_e32 0, v16
	s_xor_b32 s7, exec_lo, s7
; %bb.5043:                             ;   in Loop: Header=BB4_4959 Depth=2
	s_delay_alu instid0(VALU_DEP_2) | instskip(SKIP_2) | instid1(VALU_DEP_2)
	v_cmp_lt_u64_e32 vcc_lo, 0xffffff, v[36:37]
	v_add_nc_u32_e32 v3, 15, v17
	v_cndmask_b32_e64 v14, 0, 1, vcc_lo
	v_cndmask_b32_e32 v3, v16, v3, vcc_lo
	s_delay_alu instid0(VALU_DEP_2)
	v_lshrrev_b64 v[14:15], v14, v[36:37]
; %bb.5044:                             ;   in Loop: Header=BB4_4959 Depth=2
	s_and_not1_saveexec_b32 s7, s7
; %bb.5045:                             ;   in Loop: Header=BB4_4959 Depth=2
	v_mov_b64_e32 v[14:15], v[36:37]
	v_bfe_u32 v3, v36, 23, 1
; %bb.5046:                             ;   in Loop: Header=BB4_4959 Depth=2
	s_or_b32 exec_lo, exec_lo, s7
	s_delay_alu instid0(VALU_DEP_2) | instskip(NEXT) | instid1(VALU_DEP_2)
	v_lshrrev_b64 v[14:15], 21, v[14:15]
	v_cmp_gt_i32_e32 vcc_lo, 32, v3
	v_min_i32_e32 v16, 31, v3
	v_cmp_eq_u32_e64 s7, 0, v3
	s_delay_alu instid0(VALU_DEP_2) | instskip(SKIP_1) | instid1(VALU_DEP_2)
	v_dual_cndmask_b32 v14, 3, v14, vcc_lo :: v_dual_lshlrev_b32 v16, 2, v16
	v_cndmask_b32_e32 v15, 0, v15, vcc_lo
	v_and_b32_e32 v16, 0xfc, v16
	s_delay_alu instid0(VALU_DEP_2) | instskip(NEXT) | instid1(VALU_DEP_2)
	v_cmp_eq_u64_e32 vcc_lo, 0, v[14:15]
	v_and_or_b32 v3, v14, 3, v16
	s_and_b32 s7, s7, vcc_lo
	s_delay_alu instid0(VALU_DEP_1) | instid1(SALU_CYCLE_1)
	v_cndmask_b32_e64 v3, v3, 0, s7
	s_delay_alu instid0(VALU_DEP_1)
	v_or_b32_e32 v86, v3, v2
.LBB4_5047:                             ;   in Loop: Header=BB4_4959 Depth=2
	s_or_b32 exec_lo, exec_lo, s41
                                        ; implicit-def: $vgpr2
.LBB4_5048:                             ;   in Loop: Header=BB4_4959 Depth=2
	s_and_not1_saveexec_b32 s7, s40
; %bb.5049:                             ;   in Loop: Header=BB4_4959 Depth=2
	v_or_b32_e32 v86, 0x7b, v2
; %bb.5050:                             ;   in Loop: Header=BB4_4959 Depth=2
	s_or_b32 exec_lo, exec_lo, s7
                                        ; implicit-def: $vgpr3
                                        ; implicit-def: $vgpr2
.LBB4_5051:                             ;   in Loop: Header=BB4_4959 Depth=2
	s_and_not1_saveexec_b32 s7, s29
	s_cbranch_execz .LBB4_5057
; %bb.5052:                             ;   in Loop: Header=BB4_4959 Depth=2
	s_mov_b32 s29, exec_lo
                                        ; implicit-def: $vgpr86
	v_cmpx_ne_u64_e32 0, v[36:37]
	s_xor_b32 s29, exec_lo, s29
; %bb.5053:                             ;   in Loop: Header=BB4_4959 Depth=2
	v_or_b32_e32 v86, 0x7f, v2
                                        ; implicit-def: $vgpr3
; %bb.5054:                             ;   in Loop: Header=BB4_4959 Depth=2
	s_and_not1_saveexec_b32 s29, s29
; %bb.5055:                             ;   in Loop: Header=BB4_4959 Depth=2
	v_cmp_lt_i32_e32 vcc_lo, -1, v3
	v_cndmask_b32_e32 v86, 0xfc, v110, vcc_lo
; %bb.5056:                             ;   in Loop: Header=BB4_4959 Depth=2
	s_or_b32 exec_lo, exec_lo, s29
.LBB4_5057:                             ;   in Loop: Header=BB4_4959 Depth=2
	s_delay_alu instid0(SALU_CYCLE_1)
	s_or_b32 exec_lo, exec_lo, s7
	v_mov_b32_e32 v2, 0
	s_mov_b32 s7, exec_lo
	v_cmpx_lt_u32_e32 0xffffff, v10
	s_cbranch_execz .LBB4_5067
; %bb.5058:                             ;   in Loop: Header=BB4_4959 Depth=2
	v_lshrrev_b32_e32 v14, 24, v10
	v_bfrev_b32_e32 v2, 1
	s_mov_b32 s29, exec_lo
	s_delay_alu instid0(VALU_DEP_2)
	v_cmpx_ne_u32_e32 0x80, v14
	s_cbranch_execz .LBB4_5066
; %bb.5059:                             ;   in Loop: Header=BB4_4959 Depth=2
	v_and_b32_e32 v2, 0x7c000000, v10
	v_bfe_u32 v3, v10, 24, 2
	s_delay_alu instid0(VALU_DEP_2) | instskip(SKIP_1) | instid1(SALU_CYCLE_1)
	v_cmp_ne_u32_e32 vcc_lo, 0x7c000000, v2
                                        ; implicit-def: $vgpr2
	s_and_saveexec_b32 s40, vcc_lo
	s_xor_b32 s40, exec_lo, s40
	s_cbranch_execz .LBB4_5063
; %bb.5060:                             ;   in Loop: Header=BB4_4959 Depth=2
	v_bfe_u32 v2, v10, 26, 5
	s_mov_b32 s41, exec_lo
	s_delay_alu instid0(VALU_DEP_1)
	v_cmpx_eq_u32_e32 0, v2
; %bb.5061:                             ;   in Loop: Header=BB4_4959 Depth=2
	v_clz_i32_u32_e32 v2, v3
	s_delay_alu instid0(VALU_DEP_1) | instskip(NEXT) | instid1(VALU_DEP_1)
	v_min_u32_e32 v2, 32, v2
	v_subrev_nc_u32_e32 v3, 29, v2
	v_sub_nc_u32_e32 v2, 30, v2
	s_delay_alu instid0(VALU_DEP_2) | instskip(NEXT) | instid1(VALU_DEP_1)
	v_lshlrev_b64_e32 v[14:15], v3, v[14:15]
	v_and_b32_e32 v3, 3, v14
; %bb.5062:                             ;   in Loop: Header=BB4_4959 Depth=2
	s_or_b32 exec_lo, exec_lo, s41
	v_and_b32_e32 v14, 0x80000000, v10
	s_delay_alu instid0(VALU_DEP_1) | instskip(NEXT) | instid1(VALU_DEP_1)
	v_lshl_add_u32 v2, v2, 23, v14
	v_lshl_or_b32 v2, v3, 21, v2
                                        ; implicit-def: $vgpr3
	s_delay_alu instid0(VALU_DEP_1)
	v_add_nc_u32_e32 v2, 0x38000000, v2
.LBB4_5063:                             ;   in Loop: Header=BB4_4959 Depth=2
	s_and_not1_saveexec_b32 s40, s40
; %bb.5064:                             ;   in Loop: Header=BB4_4959 Depth=2
	v_cmp_lt_i32_e32 vcc_lo, -1, v10
	v_cndmask_b32_e32 v2, 0xff800000, v109, vcc_lo
	v_cmp_eq_u32_e32 vcc_lo, 0, v3
	s_delay_alu instid0(VALU_DEP_2)
	v_cndmask_b32_e32 v2, 0x7f800001, v2, vcc_lo
; %bb.5065:                             ;   in Loop: Header=BB4_4959 Depth=2
	s_or_b32 exec_lo, exec_lo, s40
.LBB4_5066:                             ;   in Loop: Header=BB4_4959 Depth=2
	s_delay_alu instid0(SALU_CYCLE_1)
	s_or_b32 exec_lo, exec_lo, s29
.LBB4_5067:                             ;   in Loop: Header=BB4_4959 Depth=2
	s_delay_alu instid0(SALU_CYCLE_1) | instskip(NEXT) | instid1(VALU_DEP_1)
	s_or_b32 exec_lo, exec_lo, s7
	v_dual_mul_f32 v3, s28, v2 :: v_dual_mov_b32 v15, v37
                                        ; implicit-def: $vgpr87
	s_mov_b32 s7, exec_lo
	s_delay_alu instid0(VALU_DEP_1) | instskip(SKIP_2) | instid1(VALU_DEP_3)
	v_and_b32_e32 v14, 0x7f800000, v3
	v_and_b32_e32 v36, 0x7fffff, v3
	v_lshrrev_b32_e32 v2, 24, v3
	v_cmpx_ne_u64_e32 0x7f800000, v[14:15]
	s_xor_b32 s29, exec_lo, s7
	s_cbranch_execz .LBB4_5081
; %bb.5068:                             ;   in Loop: Header=BB4_4959 Depth=2
	v_and_b32_e32 v14, 0x7fffffff, v3
	v_mov_b32_e32 v15, v37
	v_and_b32_e32 v2, 0x80, v2
                                        ; implicit-def: $vgpr87
	s_mov_b32 s7, exec_lo
	s_delay_alu instid0(VALU_DEP_2)
	v_cmpx_gt_u64_e32 0x47600001, v[14:15]
	s_xor_b32 s40, exec_lo, s7
	s_cbranch_execz .LBB4_5078
; %bb.5069:                             ;   in Loop: Header=BB4_4959 Depth=2
	v_mov_b32_e32 v87, 0
	s_mov_b32 s41, exec_lo
	v_cmpx_ne_u32_e32 0, v3
	s_cbranch_execz .LBB4_5077
; %bb.5070:                             ;   in Loop: Header=BB4_4959 Depth=2
	v_bfe_u32 v3, v3, 23, 8
	v_or_b32_e32 v16, 0x800000, v36
	s_mov_b32 s42, exec_lo
	s_delay_alu instid0(VALU_DEP_2) | instskip(SKIP_1) | instid1(VALU_DEP_2)
	v_dual_mov_b32 v17, v37 :: v_dual_sub_nc_u32 v14, 0x71, v3
	v_cmp_gt_u32_e32 vcc_lo, 0x72, v3
	v_cndmask_b32_e32 v14, 0, v14, vcc_lo
	v_cmp_eq_u32_e32 vcc_lo, 0, v3
	s_delay_alu instid0(VALU_DEP_2) | instskip(SKIP_1) | instid1(VALU_DEP_2)
	v_cndmask_b32_e64 v20, v14, 0x70, vcc_lo
	v_cndmask_b32_e32 v16, v16, v36, vcc_lo
	v_dual_add_nc_u32 v14, 21, v20 :: v_dual_add_nc_u32 v21, 20, v20
	s_delay_alu instid0(VALU_DEP_1) | instskip(NEXT) | instid1(VALU_DEP_2)
	v_lshlrev_b64_e64 v[14:15], v14, -1
	v_lshlrev_b64_e64 v[24:25], v21, 1
	s_delay_alu instid0(VALU_DEP_2) | instskip(NEXT) | instid1(VALU_DEP_3)
	v_bfi_b32 v97, v15, 0, 0
	v_bfi_b32 v96, v14, 0, v16
	v_lshrrev_b64 v[14:15], v20, v[16:17]
	s_delay_alu instid0(VALU_DEP_1) | instskip(NEXT) | instid1(VALU_DEP_3)
	v_mov_b64_e32 v[16:17], v[14:15]
	v_cmpx_eq_u64_e64 v[96:97], v[24:25]
; %bb.5071:                             ;   in Loop: Header=BB4_4959 Depth=2
	v_bfe_u32 v16, v14, 21, 1
	v_mov_b32_e32 v17, v37
	s_delay_alu instid0(VALU_DEP_1) | instskip(NEXT) | instid1(VALU_DEP_1)
	v_add_nc_u64_e32 v[16:17], v[14:15], v[16:17]
	v_add_nc_u64_e32 v[16:17], -1, v[16:17]
; %bb.5072:                             ;   in Loop: Header=BB4_4959 Depth=2
	s_or_b32 exec_lo, exec_lo, s42
	v_add_nc_u32_e32 v3, 0xffffff81, v3
	v_lshrrev_b32_e32 v15, 23, v14
	s_mov_b32 s7, exec_lo
	s_delay_alu instid0(VALU_DEP_2) | instskip(NEXT) | instid1(VALU_DEP_1)
	v_cndmask_b32_e64 v3, v3, 0xffffff82, vcc_lo
	v_add3_u32 v17, v20, v3, v15
	v_and_b32_e32 v3, 0x1fffff, v16
	s_delay_alu instid0(VALU_DEP_1) | instskip(NEXT) | instid1(VALU_DEP_1)
	v_dual_add_nc_u32 v16, 14, v17 :: v_dual_add_nc_u32 v36, v3, v14
                                        ; implicit-def: $vgpr14_vgpr15
                                        ; implicit-def: $vgpr3
	v_cmpx_ne_u32_e32 0, v16
	s_xor_b32 s7, exec_lo, s7
; %bb.5073:                             ;   in Loop: Header=BB4_4959 Depth=2
	s_delay_alu instid0(VALU_DEP_2) | instskip(SKIP_2) | instid1(VALU_DEP_2)
	v_cmp_lt_u64_e32 vcc_lo, 0xffffff, v[36:37]
	v_add_nc_u32_e32 v3, 15, v17
	v_cndmask_b32_e64 v14, 0, 1, vcc_lo
	v_cndmask_b32_e32 v3, v16, v3, vcc_lo
	s_delay_alu instid0(VALU_DEP_2)
	v_lshrrev_b64 v[14:15], v14, v[36:37]
; %bb.5074:                             ;   in Loop: Header=BB4_4959 Depth=2
	s_and_not1_saveexec_b32 s7, s7
; %bb.5075:                             ;   in Loop: Header=BB4_4959 Depth=2
	v_mov_b64_e32 v[14:15], v[36:37]
	v_bfe_u32 v3, v36, 23, 1
; %bb.5076:                             ;   in Loop: Header=BB4_4959 Depth=2
	s_or_b32 exec_lo, exec_lo, s7
	s_delay_alu instid0(VALU_DEP_2) | instskip(NEXT) | instid1(VALU_DEP_2)
	v_lshrrev_b64 v[14:15], 21, v[14:15]
	v_cmp_gt_i32_e32 vcc_lo, 32, v3
	v_min_i32_e32 v16, 31, v3
	v_cmp_eq_u32_e64 s7, 0, v3
	s_delay_alu instid0(VALU_DEP_2) | instskip(SKIP_1) | instid1(VALU_DEP_2)
	v_dual_cndmask_b32 v14, 3, v14, vcc_lo :: v_dual_lshlrev_b32 v16, 2, v16
	v_cndmask_b32_e32 v15, 0, v15, vcc_lo
	v_and_b32_e32 v16, 0xfc, v16
	s_delay_alu instid0(VALU_DEP_2) | instskip(NEXT) | instid1(VALU_DEP_2)
	v_cmp_eq_u64_e32 vcc_lo, 0, v[14:15]
	v_and_or_b32 v3, v14, 3, v16
	s_and_b32 s7, s7, vcc_lo
	s_delay_alu instid0(VALU_DEP_1) | instid1(SALU_CYCLE_1)
	v_cndmask_b32_e64 v3, v3, 0, s7
	s_delay_alu instid0(VALU_DEP_1)
	v_or_b32_e32 v87, v3, v2
.LBB4_5077:                             ;   in Loop: Header=BB4_4959 Depth=2
	s_or_b32 exec_lo, exec_lo, s41
                                        ; implicit-def: $vgpr2
.LBB4_5078:                             ;   in Loop: Header=BB4_4959 Depth=2
	s_and_not1_saveexec_b32 s7, s40
; %bb.5079:                             ;   in Loop: Header=BB4_4959 Depth=2
	v_or_b32_e32 v87, 0x7b, v2
; %bb.5080:                             ;   in Loop: Header=BB4_4959 Depth=2
	s_or_b32 exec_lo, exec_lo, s7
                                        ; implicit-def: $vgpr3
                                        ; implicit-def: $vgpr2
.LBB4_5081:                             ;   in Loop: Header=BB4_4959 Depth=2
	s_and_not1_saveexec_b32 s7, s29
	s_cbranch_execz .LBB4_5087
; %bb.5082:                             ;   in Loop: Header=BB4_4959 Depth=2
	s_mov_b32 s29, exec_lo
                                        ; implicit-def: $vgpr87
	v_cmpx_ne_u64_e32 0, v[36:37]
	s_xor_b32 s29, exec_lo, s29
; %bb.5083:                             ;   in Loop: Header=BB4_4959 Depth=2
	v_or_b32_e32 v87, 0x7f, v2
                                        ; implicit-def: $vgpr3
; %bb.5084:                             ;   in Loop: Header=BB4_4959 Depth=2
	s_and_not1_saveexec_b32 s29, s29
; %bb.5085:                             ;   in Loop: Header=BB4_4959 Depth=2
	v_cmp_lt_i32_e32 vcc_lo, -1, v3
	v_cndmask_b32_e32 v87, 0xfc, v110, vcc_lo
; %bb.5086:                             ;   in Loop: Header=BB4_4959 Depth=2
	s_or_b32 exec_lo, exec_lo, s29
.LBB4_5087:                             ;   in Loop: Header=BB4_4959 Depth=2
	s_delay_alu instid0(SALU_CYCLE_1) | instskip(SKIP_3) | instid1(VALU_DEP_2)
	s_or_b32 exec_lo, exec_lo, s7
	v_and_b32_e32 v3, 0xff, v11
	v_dual_mov_b32 v36, v11 :: v_dual_mov_b32 v2, 0
	s_mov_b32 s7, exec_lo
	v_cmpx_ne_u16_e32 0, v3
	s_cbranch_execz .LBB4_5097
; %bb.5088:                             ;   in Loop: Header=BB4_4959 Depth=2
	v_bfrev_b32_e32 v2, 1
	s_mov_b32 s29, exec_lo
	v_cmpx_ne_u16_e32 0x80, v3
	s_cbranch_execz .LBB4_5096
; %bb.5089:                             ;   in Loop: Header=BB4_4959 Depth=2
	v_and_b32_e32 v2, 0x7c, v11
	v_and_b32_e32 v3, 3, v11
	s_delay_alu instid0(VALU_DEP_2) | instskip(SKIP_1) | instid1(SALU_CYCLE_1)
	v_cmp_ne_u32_e32 vcc_lo, 0x7c, v2
                                        ; implicit-def: $vgpr2
	s_and_saveexec_b32 s40, vcc_lo
	s_xor_b32 s40, exec_lo, s40
	s_cbranch_execz .LBB4_5093
; %bb.5090:                             ;   in Loop: Header=BB4_4959 Depth=2
	v_bfe_u32 v2, v11, 2, 5
	s_mov_b32 s41, exec_lo
	s_delay_alu instid0(VALU_DEP_1)
	v_cmpx_eq_u32_e32 0, v2
; %bb.5091:                             ;   in Loop: Header=BB4_4959 Depth=2
	v_clz_i32_u32_e32 v2, v3
	s_delay_alu instid0(VALU_DEP_1) | instskip(NEXT) | instid1(VALU_DEP_1)
	v_min_u32_e32 v2, 32, v2
	v_subrev_nc_u32_e32 v3, 29, v2
	v_sub_nc_u32_e32 v2, 30, v2
	s_delay_alu instid0(VALU_DEP_2) | instskip(NEXT) | instid1(VALU_DEP_1)
	v_lshlrev_b64_e32 v[14:15], v3, v[36:37]
	v_and_b32_e32 v3, 3, v14
; %bb.5092:                             ;   in Loop: Header=BB4_4959 Depth=2
	s_or_b32 exec_lo, exec_lo, s41
	v_lshlrev_b32_e32 v14, 24, v11
	s_delay_alu instid0(VALU_DEP_1) | instskip(NEXT) | instid1(VALU_DEP_1)
	v_and_b32_e32 v14, 0x80000000, v14
	v_lshl_add_u32 v2, v2, 23, v14
	s_delay_alu instid0(VALU_DEP_1) | instskip(NEXT) | instid1(VALU_DEP_1)
	v_lshl_or_b32 v2, v3, 21, v2
                                        ; implicit-def: $vgpr3
	v_add_nc_u32_e32 v2, 0x38000000, v2
.LBB4_5093:                             ;   in Loop: Header=BB4_4959 Depth=2
	s_and_not1_saveexec_b32 s40, s40
; %bb.5094:                             ;   in Loop: Header=BB4_4959 Depth=2
	v_bfe_i32 v2, v11, 0, 8
	s_delay_alu instid0(VALU_DEP_1) | instskip(SKIP_2) | instid1(VALU_DEP_2)
	v_cmp_lt_i16_e32 vcc_lo, -1, v2
	v_cndmask_b32_e32 v2, 0xff800000, v109, vcc_lo
	v_cmp_eq_u32_e32 vcc_lo, 0, v3
	v_cndmask_b32_e32 v2, 0x7f800001, v2, vcc_lo
; %bb.5095:                             ;   in Loop: Header=BB4_4959 Depth=2
	s_or_b32 exec_lo, exec_lo, s40
.LBB4_5096:                             ;   in Loop: Header=BB4_4959 Depth=2
	s_delay_alu instid0(SALU_CYCLE_1)
	s_or_b32 exec_lo, exec_lo, s29
.LBB4_5097:                             ;   in Loop: Header=BB4_4959 Depth=2
	s_delay_alu instid0(SALU_CYCLE_1) | instskip(NEXT) | instid1(VALU_DEP_1)
	s_or_b32 exec_lo, exec_lo, s7
	v_dual_mul_f32 v3, s28, v2 :: v_dual_mov_b32 v17, v37
	v_mov_b32_e32 v15, v37
                                        ; implicit-def: $vgpr41
	s_mov_b32 s7, exec_lo
	s_delay_alu instid0(VALU_DEP_2) | instskip(SKIP_2) | instid1(VALU_DEP_3)
	v_and_b32_e32 v16, 0x7f800000, v3
	v_and_b32_e32 v14, 0x7fffff, v3
	v_lshrrev_b32_e32 v2, 24, v3
	v_cmpx_ne_u64_e32 0x7f800000, v[16:17]
	s_xor_b32 s29, exec_lo, s7
	s_cbranch_execz .LBB4_5111
; %bb.5098:                             ;   in Loop: Header=BB4_4959 Depth=2
	v_and_b32_e32 v16, 0x7fffffff, v3
	v_mov_b32_e32 v17, v37
	v_and_b32_e32 v2, 0x80, v2
                                        ; implicit-def: $vgpr41
	s_mov_b32 s7, exec_lo
	s_delay_alu instid0(VALU_DEP_2)
	v_cmpx_gt_u64_e32 0x47600001, v[16:17]
	s_xor_b32 s40, exec_lo, s7
	s_cbranch_execz .LBB4_5108
; %bb.5099:                             ;   in Loop: Header=BB4_4959 Depth=2
	v_mov_b32_e32 v41, 0
	s_mov_b32 s41, exec_lo
	v_cmpx_ne_u32_e32 0, v3
	s_cbranch_execz .LBB4_5107
; %bb.5100:                             ;   in Loop: Header=BB4_4959 Depth=2
	v_bfe_u32 v3, v3, 23, 8
	v_or_b32_e32 v21, 0x800000, v14
	s_delay_alu instid0(VALU_DEP_2) | instskip(SKIP_1) | instid1(VALU_DEP_2)
	v_sub_nc_u32_e32 v16, 0x71, v3
	v_cmp_gt_u32_e32 vcc_lo, 0x72, v3
	v_cndmask_b32_e32 v16, 0, v16, vcc_lo
	v_cmp_eq_u32_e32 vcc_lo, 0, v3
	v_cndmask_b32_e32 v14, v21, v14, vcc_lo
	s_delay_alu instid0(VALU_DEP_3) | instskip(NEXT) | instid1(VALU_DEP_1)
	v_cndmask_b32_e64 v20, v16, 0x70, vcc_lo
	v_dual_add_nc_u32 v16, 21, v20 :: v_dual_add_nc_u32 v24, 20, v20
	s_delay_alu instid0(VALU_DEP_1) | instskip(NEXT) | instid1(VALU_DEP_2)
	v_lshlrev_b64_e64 v[16:17], v16, -1
	v_lshlrev_b64_e64 v[24:25], v24, 1
	s_delay_alu instid0(VALU_DEP_2) | instskip(SKIP_1) | instid1(VALU_DEP_4)
	v_bfi_b32 v16, v16, 0, v14
	v_lshrrev_b64 v[14:15], v20, v[14:15]
	v_bfi_b32 v17, v17, 0, 0
	s_delay_alu instid0(VALU_DEP_1) | instskip(NEXT) | instid1(VALU_DEP_3)
	v_cmp_eq_u64_e64 s7, v[16:17], v[24:25]
	v_mov_b64_e32 v[16:17], v[14:15]
	s_and_saveexec_b32 s42, s7
; %bb.5101:                             ;   in Loop: Header=BB4_4959 Depth=2
	v_bfe_u32 v16, v14, 21, 1
	v_mov_b32_e32 v17, v37
	s_delay_alu instid0(VALU_DEP_1) | instskip(NEXT) | instid1(VALU_DEP_1)
	v_add_nc_u64_e32 v[16:17], v[14:15], v[16:17]
	v_add_nc_u64_e32 v[16:17], -1, v[16:17]
; %bb.5102:                             ;   in Loop: Header=BB4_4959 Depth=2
	s_or_b32 exec_lo, exec_lo, s42
	v_add_nc_u32_e32 v3, 0xffffff81, v3
	v_lshrrev_b32_e32 v15, 23, v14
	s_mov_b32 s7, exec_lo
	s_delay_alu instid0(VALU_DEP_2) | instskip(NEXT) | instid1(VALU_DEP_1)
	v_cndmask_b32_e64 v3, v3, 0xffffff82, vcc_lo
	v_add3_u32 v17, v20, v3, v15
	v_and_b32_e32 v3, 0x1fffff, v16
	s_delay_alu instid0(VALU_DEP_2) | instskip(NEXT) | instid1(VALU_DEP_2)
	v_dual_mov_b32 v15, v37 :: v_dual_add_nc_u32 v16, 14, v17
	v_add_nc_u32_e32 v14, v3, v14
                                        ; implicit-def: $vgpr3
	s_delay_alu instid0(VALU_DEP_2)
	v_cmpx_ne_u32_e32 0, v16
	s_xor_b32 s7, exec_lo, s7
; %bb.5103:                             ;   in Loop: Header=BB4_4959 Depth=2
	s_delay_alu instid0(VALU_DEP_2) | instskip(SKIP_1) | instid1(VALU_DEP_1)
	v_cmp_lt_u64_e32 vcc_lo, 0xffffff, v[14:15]
	v_add_nc_u32_e32 v3, 15, v17
	v_cndmask_b32_e32 v3, v16, v3, vcc_lo
	v_cndmask_b32_e64 v16, 0, 1, vcc_lo
	s_delay_alu instid0(VALU_DEP_1)
	v_lshrrev_b64 v[14:15], v16, v[14:15]
; %bb.5104:                             ;   in Loop: Header=BB4_4959 Depth=2
	s_and_not1_saveexec_b32 s7, s7
; %bb.5105:                             ;   in Loop: Header=BB4_4959 Depth=2
	s_delay_alu instid0(VALU_DEP_1)
	v_bfe_u32 v3, v14, 23, 1
; %bb.5106:                             ;   in Loop: Header=BB4_4959 Depth=2
	s_or_b32 exec_lo, exec_lo, s7
	s_delay_alu instid0(VALU_DEP_2) | instskip(NEXT) | instid1(VALU_DEP_2)
	v_lshrrev_b64 v[14:15], 21, v[14:15]
	v_cmp_gt_i32_e32 vcc_lo, 32, v3
	v_min_i32_e32 v16, 31, v3
	v_cmp_eq_u32_e64 s7, 0, v3
	s_delay_alu instid0(VALU_DEP_2) | instskip(SKIP_1) | instid1(VALU_DEP_2)
	v_dual_cndmask_b32 v14, 3, v14, vcc_lo :: v_dual_lshlrev_b32 v16, 2, v16
	v_cndmask_b32_e32 v15, 0, v15, vcc_lo
	v_and_b32_e32 v16, 0xfc, v16
	s_delay_alu instid0(VALU_DEP_2) | instskip(NEXT) | instid1(VALU_DEP_2)
	v_cmp_eq_u64_e32 vcc_lo, 0, v[14:15]
	v_and_or_b32 v3, v14, 3, v16
	s_and_b32 s7, s7, vcc_lo
	s_delay_alu instid0(VALU_DEP_1) | instid1(SALU_CYCLE_1)
	v_cndmask_b32_e64 v3, v3, 0, s7
	s_delay_alu instid0(VALU_DEP_1)
	v_or_b32_e32 v41, v3, v2
.LBB4_5107:                             ;   in Loop: Header=BB4_4959 Depth=2
	s_or_b32 exec_lo, exec_lo, s41
                                        ; implicit-def: $vgpr2
.LBB4_5108:                             ;   in Loop: Header=BB4_4959 Depth=2
	s_and_not1_saveexec_b32 s7, s40
; %bb.5109:                             ;   in Loop: Header=BB4_4959 Depth=2
	v_or_b32_e32 v41, 0x7b, v2
; %bb.5110:                             ;   in Loop: Header=BB4_4959 Depth=2
	s_or_b32 exec_lo, exec_lo, s7
                                        ; implicit-def: $vgpr3
                                        ; implicit-def: $vgpr14_vgpr15
                                        ; implicit-def: $vgpr2
.LBB4_5111:                             ;   in Loop: Header=BB4_4959 Depth=2
	s_and_not1_saveexec_b32 s7, s29
	s_cbranch_execz .LBB4_5117
; %bb.5112:                             ;   in Loop: Header=BB4_4959 Depth=2
	s_mov_b32 s29, exec_lo
                                        ; implicit-def: $vgpr41
	v_cmpx_ne_u64_e32 0, v[14:15]
	s_xor_b32 s29, exec_lo, s29
; %bb.5113:                             ;   in Loop: Header=BB4_4959 Depth=2
	v_or_b32_e32 v41, 0x7f, v2
                                        ; implicit-def: $vgpr3
; %bb.5114:                             ;   in Loop: Header=BB4_4959 Depth=2
	s_and_not1_saveexec_b32 s29, s29
; %bb.5115:                             ;   in Loop: Header=BB4_4959 Depth=2
	v_cmp_lt_i32_e32 vcc_lo, -1, v3
	v_cndmask_b32_e32 v41, 0xfc, v110, vcc_lo
; %bb.5116:                             ;   in Loop: Header=BB4_4959 Depth=2
	s_or_b32 exec_lo, exec_lo, s29
.LBB4_5117:                             ;   in Loop: Header=BB4_4959 Depth=2
	s_delay_alu instid0(SALU_CYCLE_1) | instskip(SKIP_3) | instid1(VALU_DEP_2)
	s_or_b32 exec_lo, exec_lo, s7
	v_lshrrev_b16 v14, 8, v36
	v_mov_b32_e32 v3, 0
	s_mov_b32 s7, exec_lo
	v_cmpx_ne_u16_e32 0, v14
	s_cbranch_execz .LBB4_5127
; %bb.5118:                             ;   in Loop: Header=BB4_4959 Depth=2
	v_bfrev_b32_e32 v3, 1
	s_mov_b32 s29, exec_lo
	v_cmpx_ne_u16_e32 0x80, v14
	s_cbranch_execz .LBB4_5126
; %bb.5119:                             ;   in Loop: Header=BB4_4959 Depth=2
	v_and_b32_e32 v15, 0xffff, v14
	s_delay_alu instid0(VALU_DEP_1) | instskip(SKIP_1) | instid1(VALU_DEP_2)
	v_and_b32_e32 v3, 0x7c, v15
	v_and_b32_e32 v2, 3, v15
	v_cmp_ne_u32_e32 vcc_lo, 0x7c, v3
                                        ; implicit-def: $vgpr3
	s_and_saveexec_b32 s40, vcc_lo
	s_delay_alu instid0(SALU_CYCLE_1)
	s_xor_b32 s40, exec_lo, s40
	s_cbranch_execz .LBB4_5123
; %bb.5120:                             ;   in Loop: Header=BB4_4959 Depth=2
	v_bfe_u32 v3, v15, 2, 5
	s_mov_b32 s41, exec_lo
	s_delay_alu instid0(VALU_DEP_1)
	v_cmpx_eq_u32_e32 0, v3
; %bb.5121:                             ;   in Loop: Header=BB4_4959 Depth=2
	v_clz_i32_u32_e32 v2, v2
	s_delay_alu instid0(VALU_DEP_1) | instskip(SKIP_1) | instid1(VALU_DEP_2)
	v_min_u32_e32 v16, 32, v2
	v_mov_b32_e32 v15, v37
	v_subrev_nc_u32_e32 v2, 29, v16
	s_delay_alu instid0(VALU_DEP_1) | instskip(NEXT) | instid1(VALU_DEP_1)
	v_lshlrev_b64_e32 v[2:3], v2, v[14:15]
	v_dual_sub_nc_u32 v3, 30, v16 :: v_dual_bitop2_b32 v2, 3, v2 bitop3:0x40
; %bb.5122:                             ;   in Loop: Header=BB4_4959 Depth=2
	s_or_b32 exec_lo, exec_lo, s41
	v_lshlrev_b32_e32 v14, 16, v36
	s_delay_alu instid0(VALU_DEP_1) | instskip(NEXT) | instid1(VALU_DEP_1)
	v_and_b32_e32 v14, 0x80000000, v14
	v_lshl_add_u32 v3, v3, 23, v14
	s_delay_alu instid0(VALU_DEP_1) | instskip(NEXT) | instid1(VALU_DEP_1)
	v_lshl_or_b32 v2, v2, 21, v3
	v_add_nc_u32_e32 v3, 0x38000000, v2
                                        ; implicit-def: $vgpr2
.LBB4_5123:                             ;   in Loop: Header=BB4_4959 Depth=2
	s_and_not1_saveexec_b32 s40, s40
; %bb.5124:                             ;   in Loop: Header=BB4_4959 Depth=2
	v_cmp_lt_i16_e32 vcc_lo, -1, v36
	v_cndmask_b32_e32 v3, 0xff800000, v109, vcc_lo
	v_cmp_eq_u32_e32 vcc_lo, 0, v2
	s_delay_alu instid0(VALU_DEP_2)
	v_cndmask_b32_e32 v3, 0x7f800001, v3, vcc_lo
; %bb.5125:                             ;   in Loop: Header=BB4_4959 Depth=2
	s_or_b32 exec_lo, exec_lo, s40
.LBB4_5126:                             ;   in Loop: Header=BB4_4959 Depth=2
	s_delay_alu instid0(SALU_CYCLE_1)
	s_or_b32 exec_lo, exec_lo, s29
.LBB4_5127:                             ;   in Loop: Header=BB4_4959 Depth=2
	s_delay_alu instid0(SALU_CYCLE_1) | instskip(NEXT) | instid1(VALU_DEP_1)
	s_or_b32 exec_lo, exec_lo, s7
	v_dual_mul_f32 v3, s28, v3 :: v_dual_mov_b32 v15, v37
                                        ; implicit-def: $vgpr56
	s_mov_b32 s7, exec_lo
	s_delay_alu instid0(VALU_DEP_1) | instskip(SKIP_2) | instid1(VALU_DEP_3)
	v_and_b32_e32 v14, 0x7f800000, v3
	v_and_b32_e32 v36, 0x7fffff, v3
	v_lshrrev_b32_e32 v2, 24, v3
	v_cmpx_ne_u64_e32 0x7f800000, v[14:15]
	s_xor_b32 s29, exec_lo, s7
	s_cbranch_execz .LBB4_5141
; %bb.5128:                             ;   in Loop: Header=BB4_4959 Depth=2
	v_and_b32_e32 v14, 0x7fffffff, v3
	v_mov_b32_e32 v15, v37
	v_and_b32_e32 v2, 0x80, v2
                                        ; implicit-def: $vgpr56
	s_mov_b32 s7, exec_lo
	s_delay_alu instid0(VALU_DEP_2)
	v_cmpx_gt_u64_e32 0x47600001, v[14:15]
	s_xor_b32 s40, exec_lo, s7
	s_cbranch_execz .LBB4_5138
; %bb.5129:                             ;   in Loop: Header=BB4_4959 Depth=2
	v_mov_b32_e32 v56, 0
	s_mov_b32 s41, exec_lo
	v_cmpx_ne_u32_e32 0, v3
	s_cbranch_execz .LBB4_5137
; %bb.5130:                             ;   in Loop: Header=BB4_4959 Depth=2
	v_bfe_u32 v3, v3, 23, 8
	v_or_b32_e32 v16, 0x800000, v36
	s_mov_b32 s42, exec_lo
	s_delay_alu instid0(VALU_DEP_2) | instskip(SKIP_1) | instid1(VALU_DEP_2)
	v_dual_mov_b32 v17, v37 :: v_dual_sub_nc_u32 v14, 0x71, v3
	v_cmp_gt_u32_e32 vcc_lo, 0x72, v3
	v_cndmask_b32_e32 v14, 0, v14, vcc_lo
	v_cmp_eq_u32_e32 vcc_lo, 0, v3
	s_delay_alu instid0(VALU_DEP_2) | instskip(SKIP_1) | instid1(VALU_DEP_2)
	v_cndmask_b32_e64 v20, v14, 0x70, vcc_lo
	v_cndmask_b32_e32 v16, v16, v36, vcc_lo
	v_dual_add_nc_u32 v14, 21, v20 :: v_dual_add_nc_u32 v21, 20, v20
	s_delay_alu instid0(VALU_DEP_1) | instskip(NEXT) | instid1(VALU_DEP_2)
	v_lshlrev_b64_e64 v[14:15], v14, -1
	v_lshlrev_b64_e64 v[24:25], v21, 1
	s_delay_alu instid0(VALU_DEP_2) | instskip(NEXT) | instid1(VALU_DEP_3)
	v_bfi_b32 v97, v15, 0, 0
	v_bfi_b32 v96, v14, 0, v16
	v_lshrrev_b64 v[14:15], v20, v[16:17]
	s_delay_alu instid0(VALU_DEP_1) | instskip(NEXT) | instid1(VALU_DEP_3)
	v_mov_b64_e32 v[16:17], v[14:15]
	v_cmpx_eq_u64_e64 v[96:97], v[24:25]
; %bb.5131:                             ;   in Loop: Header=BB4_4959 Depth=2
	v_bfe_u32 v16, v14, 21, 1
	v_mov_b32_e32 v17, v37
	s_delay_alu instid0(VALU_DEP_1) | instskip(NEXT) | instid1(VALU_DEP_1)
	v_add_nc_u64_e32 v[16:17], v[14:15], v[16:17]
	v_add_nc_u64_e32 v[16:17], -1, v[16:17]
; %bb.5132:                             ;   in Loop: Header=BB4_4959 Depth=2
	s_or_b32 exec_lo, exec_lo, s42
	v_add_nc_u32_e32 v3, 0xffffff81, v3
	v_lshrrev_b32_e32 v15, 23, v14
	s_mov_b32 s7, exec_lo
	s_delay_alu instid0(VALU_DEP_2) | instskip(NEXT) | instid1(VALU_DEP_1)
	v_cndmask_b32_e64 v3, v3, 0xffffff82, vcc_lo
	v_add3_u32 v17, v20, v3, v15
	v_and_b32_e32 v3, 0x1fffff, v16
	s_delay_alu instid0(VALU_DEP_1) | instskip(NEXT) | instid1(VALU_DEP_1)
	v_dual_add_nc_u32 v16, 14, v17 :: v_dual_add_nc_u32 v36, v3, v14
                                        ; implicit-def: $vgpr14_vgpr15
                                        ; implicit-def: $vgpr3
	v_cmpx_ne_u32_e32 0, v16
	s_xor_b32 s7, exec_lo, s7
; %bb.5133:                             ;   in Loop: Header=BB4_4959 Depth=2
	s_delay_alu instid0(VALU_DEP_2) | instskip(SKIP_2) | instid1(VALU_DEP_2)
	v_cmp_lt_u64_e32 vcc_lo, 0xffffff, v[36:37]
	v_add_nc_u32_e32 v3, 15, v17
	v_cndmask_b32_e64 v14, 0, 1, vcc_lo
	v_cndmask_b32_e32 v3, v16, v3, vcc_lo
	s_delay_alu instid0(VALU_DEP_2)
	v_lshrrev_b64 v[14:15], v14, v[36:37]
; %bb.5134:                             ;   in Loop: Header=BB4_4959 Depth=2
	s_and_not1_saveexec_b32 s7, s7
; %bb.5135:                             ;   in Loop: Header=BB4_4959 Depth=2
	v_mov_b64_e32 v[14:15], v[36:37]
	v_bfe_u32 v3, v36, 23, 1
; %bb.5136:                             ;   in Loop: Header=BB4_4959 Depth=2
	s_or_b32 exec_lo, exec_lo, s7
	s_delay_alu instid0(VALU_DEP_2) | instskip(NEXT) | instid1(VALU_DEP_2)
	v_lshrrev_b64 v[14:15], 21, v[14:15]
	v_cmp_gt_i32_e32 vcc_lo, 32, v3
	v_min_i32_e32 v16, 31, v3
	v_cmp_eq_u32_e64 s7, 0, v3
	s_delay_alu instid0(VALU_DEP_2) | instskip(SKIP_1) | instid1(VALU_DEP_2)
	v_dual_cndmask_b32 v14, 3, v14, vcc_lo :: v_dual_lshlrev_b32 v16, 2, v16
	v_cndmask_b32_e32 v15, 0, v15, vcc_lo
	v_and_b32_e32 v16, 0xfc, v16
	s_delay_alu instid0(VALU_DEP_2) | instskip(NEXT) | instid1(VALU_DEP_2)
	v_cmp_eq_u64_e32 vcc_lo, 0, v[14:15]
	v_and_or_b32 v3, v14, 3, v16
	s_and_b32 s7, s7, vcc_lo
	s_delay_alu instid0(VALU_DEP_1) | instid1(SALU_CYCLE_1)
	v_cndmask_b32_e64 v3, v3, 0, s7
	s_delay_alu instid0(VALU_DEP_1)
	v_or_b32_e32 v56, v3, v2
.LBB4_5137:                             ;   in Loop: Header=BB4_4959 Depth=2
	s_or_b32 exec_lo, exec_lo, s41
                                        ; implicit-def: $vgpr2
.LBB4_5138:                             ;   in Loop: Header=BB4_4959 Depth=2
	s_and_not1_saveexec_b32 s7, s40
; %bb.5139:                             ;   in Loop: Header=BB4_4959 Depth=2
	v_or_b32_e32 v56, 0x7b, v2
; %bb.5140:                             ;   in Loop: Header=BB4_4959 Depth=2
	s_or_b32 exec_lo, exec_lo, s7
                                        ; implicit-def: $vgpr3
                                        ; implicit-def: $vgpr2
.LBB4_5141:                             ;   in Loop: Header=BB4_4959 Depth=2
	s_and_not1_saveexec_b32 s7, s29
	s_cbranch_execz .LBB4_5147
; %bb.5142:                             ;   in Loop: Header=BB4_4959 Depth=2
	s_mov_b32 s29, exec_lo
                                        ; implicit-def: $vgpr56
	v_cmpx_ne_u64_e32 0, v[36:37]
	s_xor_b32 s29, exec_lo, s29
; %bb.5143:                             ;   in Loop: Header=BB4_4959 Depth=2
	v_or_b32_e32 v56, 0x7f, v2
                                        ; implicit-def: $vgpr3
; %bb.5144:                             ;   in Loop: Header=BB4_4959 Depth=2
	s_and_not1_saveexec_b32 s29, s29
; %bb.5145:                             ;   in Loop: Header=BB4_4959 Depth=2
	v_cmp_lt_i32_e32 vcc_lo, -1, v3
	v_cndmask_b32_e32 v56, 0xfc, v110, vcc_lo
; %bb.5146:                             ;   in Loop: Header=BB4_4959 Depth=2
	s_or_b32 exec_lo, exec_lo, s29
.LBB4_5147:                             ;   in Loop: Header=BB4_4959 Depth=2
	s_delay_alu instid0(SALU_CYCLE_1) | instskip(SKIP_2) | instid1(VALU_DEP_1)
	s_or_b32 exec_lo, exec_lo, s7
	v_dual_lshrrev_b32 v14, 16, v11 :: v_dual_mov_b32 v2, 0
	s_mov_b32 s7, exec_lo
	v_and_b32_e32 v3, 0xff, v14
	s_delay_alu instid0(VALU_DEP_1)
	v_cmpx_ne_u16_e32 0, v3
	s_cbranch_execz .LBB4_5157
; %bb.5148:                             ;   in Loop: Header=BB4_4959 Depth=2
	v_bfrev_b32_e32 v2, 1
	s_mov_b32 s29, exec_lo
	v_cmpx_ne_u16_e32 0x80, v3
	s_cbranch_execz .LBB4_5156
; %bb.5149:                             ;   in Loop: Header=BB4_4959 Depth=2
	v_and_b32_e32 v2, 0x7c0000, v11
	v_bfe_u32 v3, v11, 16, 2
	s_delay_alu instid0(VALU_DEP_2) | instskip(SKIP_1) | instid1(SALU_CYCLE_1)
	v_cmp_ne_u32_e32 vcc_lo, 0x7c0000, v2
                                        ; implicit-def: $vgpr2
	s_and_saveexec_b32 s40, vcc_lo
	s_xor_b32 s40, exec_lo, s40
	s_cbranch_execz .LBB4_5153
; %bb.5150:                             ;   in Loop: Header=BB4_4959 Depth=2
	v_bfe_u32 v2, v11, 18, 5
	s_mov_b32 s41, exec_lo
	s_delay_alu instid0(VALU_DEP_1)
	v_cmpx_eq_u32_e32 0, v2
; %bb.5151:                             ;   in Loop: Header=BB4_4959 Depth=2
	v_clz_i32_u32_e32 v2, v3
	s_delay_alu instid0(VALU_DEP_1) | instskip(NEXT) | instid1(VALU_DEP_1)
	v_min_u32_e32 v2, 32, v2
	v_subrev_nc_u32_e32 v3, 29, v2
	s_delay_alu instid0(VALU_DEP_1) | instskip(NEXT) | instid1(VALU_DEP_1)
	v_lshlrev_b64_e32 v[16:17], v3, v[14:15]
	v_dual_sub_nc_u32 v2, 30, v2 :: v_dual_bitop2_b32 v3, 3, v16 bitop3:0x40
; %bb.5152:                             ;   in Loop: Header=BB4_4959 Depth=2
	s_or_b32 exec_lo, exec_lo, s41
	v_lshlrev_b32_e32 v14, 24, v14
	s_delay_alu instid0(VALU_DEP_1) | instskip(NEXT) | instid1(VALU_DEP_1)
	v_and_b32_e32 v14, 0x80000000, v14
	v_lshl_add_u32 v2, v2, 23, v14
                                        ; implicit-def: $vgpr14
	s_delay_alu instid0(VALU_DEP_1) | instskip(NEXT) | instid1(VALU_DEP_1)
	v_lshl_or_b32 v2, v3, 21, v2
                                        ; implicit-def: $vgpr3
	v_add_nc_u32_e32 v2, 0x38000000, v2
.LBB4_5153:                             ;   in Loop: Header=BB4_4959 Depth=2
	s_and_not1_saveexec_b32 s40, s40
; %bb.5154:                             ;   in Loop: Header=BB4_4959 Depth=2
	v_bfe_i32 v2, v14, 0, 8
	s_delay_alu instid0(VALU_DEP_1) | instskip(SKIP_2) | instid1(VALU_DEP_2)
	v_cmp_lt_i16_e32 vcc_lo, -1, v2
	v_cndmask_b32_e32 v2, 0xff800000, v109, vcc_lo
	v_cmp_eq_u32_e32 vcc_lo, 0, v3
	v_cndmask_b32_e32 v2, 0x7f800001, v2, vcc_lo
; %bb.5155:                             ;   in Loop: Header=BB4_4959 Depth=2
	s_or_b32 exec_lo, exec_lo, s40
.LBB4_5156:                             ;   in Loop: Header=BB4_4959 Depth=2
	s_delay_alu instid0(SALU_CYCLE_1)
	s_or_b32 exec_lo, exec_lo, s29
.LBB4_5157:                             ;   in Loop: Header=BB4_4959 Depth=2
	s_delay_alu instid0(SALU_CYCLE_1) | instskip(NEXT) | instid1(VALU_DEP_1)
	s_or_b32 exec_lo, exec_lo, s7
	v_dual_mul_f32 v3, s28, v2 :: v_dual_mov_b32 v15, v37
                                        ; implicit-def: $vgpr63
	s_mov_b32 s7, exec_lo
	s_delay_alu instid0(VALU_DEP_1) | instskip(SKIP_2) | instid1(VALU_DEP_3)
	v_and_b32_e32 v14, 0x7f800000, v3
	v_and_b32_e32 v36, 0x7fffff, v3
	v_lshrrev_b32_e32 v2, 24, v3
	v_cmpx_ne_u64_e32 0x7f800000, v[14:15]
	s_xor_b32 s29, exec_lo, s7
	s_cbranch_execz .LBB4_5171
; %bb.5158:                             ;   in Loop: Header=BB4_4959 Depth=2
	v_and_b32_e32 v14, 0x7fffffff, v3
	v_mov_b32_e32 v15, v37
	v_and_b32_e32 v2, 0x80, v2
                                        ; implicit-def: $vgpr63
	s_mov_b32 s7, exec_lo
	s_delay_alu instid0(VALU_DEP_2)
	v_cmpx_gt_u64_e32 0x47600001, v[14:15]
	s_xor_b32 s40, exec_lo, s7
	s_cbranch_execz .LBB4_5168
; %bb.5159:                             ;   in Loop: Header=BB4_4959 Depth=2
	v_mov_b32_e32 v63, 0
	s_mov_b32 s41, exec_lo
	v_cmpx_ne_u32_e32 0, v3
	s_cbranch_execz .LBB4_5167
; %bb.5160:                             ;   in Loop: Header=BB4_4959 Depth=2
	v_bfe_u32 v3, v3, 23, 8
	v_or_b32_e32 v16, 0x800000, v36
	s_mov_b32 s42, exec_lo
	s_delay_alu instid0(VALU_DEP_2) | instskip(SKIP_1) | instid1(VALU_DEP_2)
	v_dual_mov_b32 v17, v37 :: v_dual_sub_nc_u32 v14, 0x71, v3
	v_cmp_gt_u32_e32 vcc_lo, 0x72, v3
	v_cndmask_b32_e32 v14, 0, v14, vcc_lo
	v_cmp_eq_u32_e32 vcc_lo, 0, v3
	s_delay_alu instid0(VALU_DEP_2) | instskip(SKIP_1) | instid1(VALU_DEP_2)
	v_cndmask_b32_e64 v20, v14, 0x70, vcc_lo
	v_cndmask_b32_e32 v16, v16, v36, vcc_lo
	v_dual_add_nc_u32 v14, 21, v20 :: v_dual_add_nc_u32 v21, 20, v20
	s_delay_alu instid0(VALU_DEP_1) | instskip(NEXT) | instid1(VALU_DEP_2)
	v_lshlrev_b64_e64 v[14:15], v14, -1
	v_lshlrev_b64_e64 v[24:25], v21, 1
	s_delay_alu instid0(VALU_DEP_2) | instskip(NEXT) | instid1(VALU_DEP_3)
	v_bfi_b32 v97, v15, 0, 0
	v_bfi_b32 v96, v14, 0, v16
	v_lshrrev_b64 v[14:15], v20, v[16:17]
	s_delay_alu instid0(VALU_DEP_1) | instskip(NEXT) | instid1(VALU_DEP_3)
	v_mov_b64_e32 v[16:17], v[14:15]
	v_cmpx_eq_u64_e64 v[96:97], v[24:25]
; %bb.5161:                             ;   in Loop: Header=BB4_4959 Depth=2
	v_bfe_u32 v16, v14, 21, 1
	v_mov_b32_e32 v17, v37
	s_delay_alu instid0(VALU_DEP_1) | instskip(NEXT) | instid1(VALU_DEP_1)
	v_add_nc_u64_e32 v[16:17], v[14:15], v[16:17]
	v_add_nc_u64_e32 v[16:17], -1, v[16:17]
; %bb.5162:                             ;   in Loop: Header=BB4_4959 Depth=2
	s_or_b32 exec_lo, exec_lo, s42
	v_add_nc_u32_e32 v3, 0xffffff81, v3
	v_lshrrev_b32_e32 v15, 23, v14
	s_mov_b32 s7, exec_lo
	s_delay_alu instid0(VALU_DEP_2) | instskip(NEXT) | instid1(VALU_DEP_1)
	v_cndmask_b32_e64 v3, v3, 0xffffff82, vcc_lo
	v_add3_u32 v17, v20, v3, v15
	v_and_b32_e32 v3, 0x1fffff, v16
	s_delay_alu instid0(VALU_DEP_1) | instskip(NEXT) | instid1(VALU_DEP_1)
	v_dual_add_nc_u32 v16, 14, v17 :: v_dual_add_nc_u32 v36, v3, v14
                                        ; implicit-def: $vgpr14_vgpr15
                                        ; implicit-def: $vgpr3
	v_cmpx_ne_u32_e32 0, v16
	s_xor_b32 s7, exec_lo, s7
; %bb.5163:                             ;   in Loop: Header=BB4_4959 Depth=2
	s_delay_alu instid0(VALU_DEP_2) | instskip(SKIP_2) | instid1(VALU_DEP_2)
	v_cmp_lt_u64_e32 vcc_lo, 0xffffff, v[36:37]
	v_add_nc_u32_e32 v3, 15, v17
	v_cndmask_b32_e64 v14, 0, 1, vcc_lo
	v_cndmask_b32_e32 v3, v16, v3, vcc_lo
	s_delay_alu instid0(VALU_DEP_2)
	v_lshrrev_b64 v[14:15], v14, v[36:37]
; %bb.5164:                             ;   in Loop: Header=BB4_4959 Depth=2
	s_and_not1_saveexec_b32 s7, s7
; %bb.5165:                             ;   in Loop: Header=BB4_4959 Depth=2
	v_mov_b64_e32 v[14:15], v[36:37]
	v_bfe_u32 v3, v36, 23, 1
; %bb.5166:                             ;   in Loop: Header=BB4_4959 Depth=2
	s_or_b32 exec_lo, exec_lo, s7
	s_delay_alu instid0(VALU_DEP_2) | instskip(NEXT) | instid1(VALU_DEP_2)
	v_lshrrev_b64 v[14:15], 21, v[14:15]
	v_cmp_gt_i32_e32 vcc_lo, 32, v3
	v_min_i32_e32 v16, 31, v3
	v_cmp_eq_u32_e64 s7, 0, v3
	s_delay_alu instid0(VALU_DEP_2) | instskip(SKIP_1) | instid1(VALU_DEP_2)
	v_dual_cndmask_b32 v14, 3, v14, vcc_lo :: v_dual_lshlrev_b32 v16, 2, v16
	v_cndmask_b32_e32 v15, 0, v15, vcc_lo
	v_and_b32_e32 v16, 0xfc, v16
	s_delay_alu instid0(VALU_DEP_2) | instskip(NEXT) | instid1(VALU_DEP_2)
	v_cmp_eq_u64_e32 vcc_lo, 0, v[14:15]
	v_and_or_b32 v3, v14, 3, v16
	s_and_b32 s7, s7, vcc_lo
	s_delay_alu instid0(VALU_DEP_1) | instid1(SALU_CYCLE_1)
	v_cndmask_b32_e64 v3, v3, 0, s7
	s_delay_alu instid0(VALU_DEP_1)
	v_or_b32_e32 v63, v3, v2
.LBB4_5167:                             ;   in Loop: Header=BB4_4959 Depth=2
	s_or_b32 exec_lo, exec_lo, s41
                                        ; implicit-def: $vgpr2
.LBB4_5168:                             ;   in Loop: Header=BB4_4959 Depth=2
	s_and_not1_saveexec_b32 s7, s40
; %bb.5169:                             ;   in Loop: Header=BB4_4959 Depth=2
	v_or_b32_e32 v63, 0x7b, v2
; %bb.5170:                             ;   in Loop: Header=BB4_4959 Depth=2
	s_or_b32 exec_lo, exec_lo, s7
                                        ; implicit-def: $vgpr3
                                        ; implicit-def: $vgpr2
.LBB4_5171:                             ;   in Loop: Header=BB4_4959 Depth=2
	s_and_not1_saveexec_b32 s7, s29
	s_cbranch_execz .LBB4_5177
; %bb.5172:                             ;   in Loop: Header=BB4_4959 Depth=2
	s_mov_b32 s29, exec_lo
                                        ; implicit-def: $vgpr63
	v_cmpx_ne_u64_e32 0, v[36:37]
	s_xor_b32 s29, exec_lo, s29
; %bb.5173:                             ;   in Loop: Header=BB4_4959 Depth=2
	v_or_b32_e32 v63, 0x7f, v2
                                        ; implicit-def: $vgpr3
; %bb.5174:                             ;   in Loop: Header=BB4_4959 Depth=2
	s_and_not1_saveexec_b32 s29, s29
; %bb.5175:                             ;   in Loop: Header=BB4_4959 Depth=2
	v_cmp_lt_i32_e32 vcc_lo, -1, v3
	v_cndmask_b32_e32 v63, 0xfc, v110, vcc_lo
; %bb.5176:                             ;   in Loop: Header=BB4_4959 Depth=2
	s_or_b32 exec_lo, exec_lo, s29
.LBB4_5177:                             ;   in Loop: Header=BB4_4959 Depth=2
	s_delay_alu instid0(SALU_CYCLE_1)
	s_or_b32 exec_lo, exec_lo, s7
	v_mov_b32_e32 v2, 0
	s_mov_b32 s7, exec_lo
	v_cmpx_lt_u64_e64 s[12:13], v[10:11]
	s_cbranch_execz .LBB4_5187
; %bb.5178:                             ;   in Loop: Header=BB4_4959 Depth=2
	v_lshrrev_b32_e32 v14, 24, v11
	v_bfrev_b32_e32 v2, 1
	s_mov_b32 s29, exec_lo
	s_delay_alu instid0(VALU_DEP_2)
	v_cmpx_ne_u32_e32 0x80, v14
	s_cbranch_execz .LBB4_5186
; %bb.5179:                             ;   in Loop: Header=BB4_4959 Depth=2
	v_and_b32_e32 v2, 0x7c000000, v11
	v_bfe_u32 v3, v11, 24, 2
	s_delay_alu instid0(VALU_DEP_2) | instskip(SKIP_1) | instid1(SALU_CYCLE_1)
	v_cmp_ne_u32_e32 vcc_lo, 0x7c000000, v2
                                        ; implicit-def: $vgpr2
	s_and_saveexec_b32 s40, vcc_lo
	s_xor_b32 s40, exec_lo, s40
	s_cbranch_execz .LBB4_5183
; %bb.5180:                             ;   in Loop: Header=BB4_4959 Depth=2
	v_bfe_u32 v2, v11, 26, 5
	s_mov_b32 s41, exec_lo
	s_delay_alu instid0(VALU_DEP_1)
	v_cmpx_eq_u32_e32 0, v2
; %bb.5181:                             ;   in Loop: Header=BB4_4959 Depth=2
	v_clz_i32_u32_e32 v2, v3
	s_delay_alu instid0(VALU_DEP_1) | instskip(NEXT) | instid1(VALU_DEP_1)
	v_min_u32_e32 v2, 32, v2
	v_subrev_nc_u32_e32 v3, 29, v2
	v_sub_nc_u32_e32 v2, 30, v2
	s_delay_alu instid0(VALU_DEP_2) | instskip(NEXT) | instid1(VALU_DEP_1)
	v_lshlrev_b64_e32 v[14:15], v3, v[14:15]
	v_and_b32_e32 v3, 3, v14
; %bb.5182:                             ;   in Loop: Header=BB4_4959 Depth=2
	s_or_b32 exec_lo, exec_lo, s41
	v_and_b32_e32 v14, 0x80000000, v11
	s_delay_alu instid0(VALU_DEP_1) | instskip(NEXT) | instid1(VALU_DEP_1)
	v_lshl_add_u32 v2, v2, 23, v14
	v_lshl_or_b32 v2, v3, 21, v2
                                        ; implicit-def: $vgpr3
	s_delay_alu instid0(VALU_DEP_1)
	v_add_nc_u32_e32 v2, 0x38000000, v2
.LBB4_5183:                             ;   in Loop: Header=BB4_4959 Depth=2
	s_and_not1_saveexec_b32 s40, s40
; %bb.5184:                             ;   in Loop: Header=BB4_4959 Depth=2
	v_cmp_lt_i64_e32 vcc_lo, -1, v[10:11]
	v_cndmask_b32_e32 v2, 0xff800000, v109, vcc_lo
	v_cmp_eq_u32_e32 vcc_lo, 0, v3
	s_delay_alu instid0(VALU_DEP_2)
	v_cndmask_b32_e32 v2, 0x7f800001, v2, vcc_lo
; %bb.5185:                             ;   in Loop: Header=BB4_4959 Depth=2
	s_or_b32 exec_lo, exec_lo, s40
.LBB4_5186:                             ;   in Loop: Header=BB4_4959 Depth=2
	s_delay_alu instid0(SALU_CYCLE_1)
	s_or_b32 exec_lo, exec_lo, s29
.LBB4_5187:                             ;   in Loop: Header=BB4_4959 Depth=2
	s_delay_alu instid0(SALU_CYCLE_1) | instskip(NEXT) | instid1(VALU_DEP_1)
	s_or_b32 exec_lo, exec_lo, s7
	v_dual_mul_f32 v3, s28, v2 :: v_dual_mov_b32 v11, v37
                                        ; implicit-def: $vgpr72
	s_mov_b32 s7, exec_lo
	s_delay_alu instid0(VALU_DEP_1) | instskip(SKIP_2) | instid1(VALU_DEP_3)
	v_and_b32_e32 v10, 0x7f800000, v3
	v_and_b32_e32 v36, 0x7fffff, v3
	v_lshrrev_b32_e32 v2, 24, v3
	v_cmpx_ne_u64_e32 0x7f800000, v[10:11]
	s_xor_b32 s29, exec_lo, s7
	s_cbranch_execz .LBB4_5201
; %bb.5188:                             ;   in Loop: Header=BB4_4959 Depth=2
	v_and_b32_e32 v10, 0x7fffffff, v3
	v_mov_b32_e32 v11, v37
	v_and_b32_e32 v2, 0x80, v2
                                        ; implicit-def: $vgpr72
	s_mov_b32 s7, exec_lo
	s_delay_alu instid0(VALU_DEP_2)
	v_cmpx_gt_u64_e32 0x47600001, v[10:11]
	s_xor_b32 s40, exec_lo, s7
	s_cbranch_execz .LBB4_5198
; %bb.5189:                             ;   in Loop: Header=BB4_4959 Depth=2
	v_mov_b32_e32 v72, 0
	s_mov_b32 s41, exec_lo
	v_cmpx_ne_u32_e32 0, v3
	s_cbranch_execz .LBB4_5197
; %bb.5190:                             ;   in Loop: Header=BB4_4959 Depth=2
	v_bfe_u32 v3, v3, 23, 8
	v_or_b32_e32 v14, 0x800000, v36
	s_mov_b32 s42, exec_lo
	s_delay_alu instid0(VALU_DEP_2) | instskip(SKIP_1) | instid1(VALU_DEP_2)
	v_dual_mov_b32 v15, v37 :: v_dual_sub_nc_u32 v10, 0x71, v3
	v_cmp_gt_u32_e32 vcc_lo, 0x72, v3
	v_cndmask_b32_e32 v10, 0, v10, vcc_lo
	v_cmp_eq_u32_e32 vcc_lo, 0, v3
	s_delay_alu instid0(VALU_DEP_2) | instskip(SKIP_1) | instid1(VALU_DEP_2)
	v_cndmask_b32_e64 v16, v10, 0x70, vcc_lo
	v_cndmask_b32_e32 v14, v14, v36, vcc_lo
	v_dual_add_nc_u32 v10, 21, v16 :: v_dual_add_nc_u32 v17, 20, v16
	s_delay_alu instid0(VALU_DEP_1) | instskip(NEXT) | instid1(VALU_DEP_2)
	v_lshlrev_b64_e64 v[10:11], v10, -1
	v_lshlrev_b64_e64 v[20:21], v17, 1
	s_delay_alu instid0(VALU_DEP_2) | instskip(NEXT) | instid1(VALU_DEP_3)
	v_bfi_b32 v25, v11, 0, 0
	v_bfi_b32 v24, v10, 0, v14
	v_lshrrev_b64 v[10:11], v16, v[14:15]
	s_delay_alu instid0(VALU_DEP_1) | instskip(NEXT) | instid1(VALU_DEP_3)
	v_mov_b64_e32 v[14:15], v[10:11]
	v_cmpx_eq_u64_e64 v[24:25], v[20:21]
; %bb.5191:                             ;   in Loop: Header=BB4_4959 Depth=2
	v_bfe_u32 v14, v10, 21, 1
	v_mov_b32_e32 v15, v37
	s_delay_alu instid0(VALU_DEP_1) | instskip(NEXT) | instid1(VALU_DEP_1)
	v_add_nc_u64_e32 v[14:15], v[10:11], v[14:15]
	v_add_nc_u64_e32 v[14:15], -1, v[14:15]
; %bb.5192:                             ;   in Loop: Header=BB4_4959 Depth=2
	s_or_b32 exec_lo, exec_lo, s42
	v_add_nc_u32_e32 v3, 0xffffff81, v3
	v_lshrrev_b32_e32 v11, 23, v10
	s_mov_b32 s7, exec_lo
	s_delay_alu instid0(VALU_DEP_2) | instskip(NEXT) | instid1(VALU_DEP_1)
	v_cndmask_b32_e64 v3, v3, 0xffffff82, vcc_lo
	v_add3_u32 v15, v16, v3, v11
	v_and_b32_e32 v3, 0x1fffff, v14
	s_delay_alu instid0(VALU_DEP_1) | instskip(NEXT) | instid1(VALU_DEP_1)
	v_dual_add_nc_u32 v14, 14, v15 :: v_dual_add_nc_u32 v36, v3, v10
                                        ; implicit-def: $vgpr10_vgpr11
                                        ; implicit-def: $vgpr3
	v_cmpx_ne_u32_e32 0, v14
	s_xor_b32 s7, exec_lo, s7
; %bb.5193:                             ;   in Loop: Header=BB4_4959 Depth=2
	s_delay_alu instid0(VALU_DEP_2) | instskip(SKIP_2) | instid1(VALU_DEP_2)
	v_cmp_lt_u64_e32 vcc_lo, 0xffffff, v[36:37]
	v_add_nc_u32_e32 v3, 15, v15
	v_cndmask_b32_e64 v10, 0, 1, vcc_lo
	v_cndmask_b32_e32 v3, v14, v3, vcc_lo
	s_delay_alu instid0(VALU_DEP_2)
	v_lshrrev_b64 v[10:11], v10, v[36:37]
; %bb.5194:                             ;   in Loop: Header=BB4_4959 Depth=2
	s_and_not1_saveexec_b32 s7, s7
; %bb.5195:                             ;   in Loop: Header=BB4_4959 Depth=2
	v_mov_b64_e32 v[10:11], v[36:37]
	v_bfe_u32 v3, v36, 23, 1
; %bb.5196:                             ;   in Loop: Header=BB4_4959 Depth=2
	s_or_b32 exec_lo, exec_lo, s7
	s_delay_alu instid0(VALU_DEP_2) | instskip(NEXT) | instid1(VALU_DEP_2)
	v_lshrrev_b64 v[10:11], 21, v[10:11]
	v_cmp_gt_i32_e32 vcc_lo, 32, v3
	v_min_i32_e32 v14, 31, v3
	v_cmp_eq_u32_e64 s7, 0, v3
	s_delay_alu instid0(VALU_DEP_4) | instskip(NEXT) | instid1(VALU_DEP_3)
	v_cndmask_b32_e32 v10, 3, v10, vcc_lo
	v_dual_cndmask_b32 v11, 0, v11 :: v_dual_lshlrev_b32 v14, 2, v14
	s_delay_alu instid0(VALU_DEP_1) | instskip(NEXT) | instid1(VALU_DEP_2)
	v_and_b32_e32 v14, 0xfc, v14
	v_cmp_eq_u64_e32 vcc_lo, 0, v[10:11]
	s_delay_alu instid0(VALU_DEP_2)
	v_and_or_b32 v3, v10, 3, v14
	s_and_b32 s7, s7, vcc_lo
	s_delay_alu instid0(VALU_DEP_1) | instid1(SALU_CYCLE_1)
	v_cndmask_b32_e64 v3, v3, 0, s7
	s_delay_alu instid0(VALU_DEP_1)
	v_or_b32_e32 v72, v3, v2
.LBB4_5197:                             ;   in Loop: Header=BB4_4959 Depth=2
	s_or_b32 exec_lo, exec_lo, s41
                                        ; implicit-def: $vgpr2
.LBB4_5198:                             ;   in Loop: Header=BB4_4959 Depth=2
	s_and_not1_saveexec_b32 s7, s40
; %bb.5199:                             ;   in Loop: Header=BB4_4959 Depth=2
	v_or_b32_e32 v72, 0x7b, v2
; %bb.5200:                             ;   in Loop: Header=BB4_4959 Depth=2
	s_or_b32 exec_lo, exec_lo, s7
                                        ; implicit-def: $vgpr3
                                        ; implicit-def: $vgpr2
.LBB4_5201:                             ;   in Loop: Header=BB4_4959 Depth=2
	s_and_not1_saveexec_b32 s7, s29
	s_cbranch_execz .LBB4_5207
; %bb.5202:                             ;   in Loop: Header=BB4_4959 Depth=2
	s_mov_b32 s29, exec_lo
                                        ; implicit-def: $vgpr72
	v_cmpx_ne_u64_e32 0, v[36:37]
	s_xor_b32 s29, exec_lo, s29
; %bb.5203:                             ;   in Loop: Header=BB4_4959 Depth=2
	v_or_b32_e32 v72, 0x7f, v2
                                        ; implicit-def: $vgpr3
; %bb.5204:                             ;   in Loop: Header=BB4_4959 Depth=2
	s_and_not1_saveexec_b32 s29, s29
; %bb.5205:                             ;   in Loop: Header=BB4_4959 Depth=2
	v_cmp_lt_i32_e32 vcc_lo, -1, v3
	v_cndmask_b32_e32 v72, 0xfc, v110, vcc_lo
; %bb.5206:                             ;   in Loop: Header=BB4_4959 Depth=2
	s_or_b32 exec_lo, exec_lo, s29
.LBB4_5207:                             ;   in Loop: Header=BB4_4959 Depth=2
	s_delay_alu instid0(SALU_CYCLE_1) | instskip(SKIP_1) | instid1(VALU_DEP_1)
	s_or_b32 exec_lo, exec_lo, s7
	v_and_b32_e32 v2, 0xff, v12
	v_cmp_ne_u16_e32 vcc_lo, 0, v2
	v_mov_b32_e32 v2, 0
	s_and_saveexec_b32 s7, vcc_lo
	s_cbranch_execz .LBB4_5217
; %bb.5208:                             ;   in Loop: Header=BB4_4959 Depth=2
	v_bfe_i32 v10, v12, 0, 8
	v_bfrev_b32_e32 v2, 1
	s_mov_b32 s29, exec_lo
	s_delay_alu instid0(VALU_DEP_2)
	v_cmpx_ne_u16_e32 0xff80, v10
	s_cbranch_execz .LBB4_5216
; %bb.5209:                             ;   in Loop: Header=BB4_4959 Depth=2
	v_and_b32_e32 v2, 0x7c, v12
	v_and_b32_e32 v3, 3, v12
	s_delay_alu instid0(VALU_DEP_2) | instskip(SKIP_1) | instid1(SALU_CYCLE_1)
	v_cmp_ne_u32_e32 vcc_lo, 0x7c, v2
                                        ; implicit-def: $vgpr2
	s_and_saveexec_b32 s40, vcc_lo
	s_xor_b32 s40, exec_lo, s40
	s_cbranch_execz .LBB4_5213
; %bb.5210:                             ;   in Loop: Header=BB4_4959 Depth=2
	v_bfe_u32 v2, v12, 2, 5
	s_mov_b32 s41, exec_lo
	s_delay_alu instid0(VALU_DEP_1)
	v_cmpx_eq_u32_e32 0, v2
; %bb.5211:                             ;   in Loop: Header=BB4_4959 Depth=2
	v_clz_i32_u32_e32 v2, v3
	s_delay_alu instid0(VALU_DEP_1) | instskip(NEXT) | instid1(VALU_DEP_1)
	v_min_u32_e32 v2, 32, v2
	v_subrev_nc_u32_e32 v3, 29, v2
	v_sub_nc_u32_e32 v2, 30, v2
	s_delay_alu instid0(VALU_DEP_2) | instskip(NEXT) | instid1(VALU_DEP_1)
	v_lshlrev_b64_e32 v[10:11], v3, v[12:13]
	v_and_b32_e32 v3, 3, v10
; %bb.5212:                             ;   in Loop: Header=BB4_4959 Depth=2
	s_or_b32 exec_lo, exec_lo, s41
	v_lshlrev_b32_e32 v10, 24, v12
	s_delay_alu instid0(VALU_DEP_1) | instskip(NEXT) | instid1(VALU_DEP_1)
	v_and_b32_e32 v10, 0x80000000, v10
	v_lshl_add_u32 v2, v2, 23, v10
                                        ; implicit-def: $vgpr10
	s_delay_alu instid0(VALU_DEP_1) | instskip(NEXT) | instid1(VALU_DEP_1)
	v_lshl_or_b32 v2, v3, 21, v2
                                        ; implicit-def: $vgpr3
	v_add_nc_u32_e32 v2, 0x38000000, v2
.LBB4_5213:                             ;   in Loop: Header=BB4_4959 Depth=2
	s_and_not1_saveexec_b32 s40, s40
; %bb.5214:                             ;   in Loop: Header=BB4_4959 Depth=2
	v_cmp_lt_i16_e32 vcc_lo, -1, v10
	v_cndmask_b32_e32 v2, 0xff800000, v109, vcc_lo
	v_cmp_eq_u32_e32 vcc_lo, 0, v3
	s_delay_alu instid0(VALU_DEP_2)
	v_cndmask_b32_e32 v2, 0x7f800001, v2, vcc_lo
; %bb.5215:                             ;   in Loop: Header=BB4_4959 Depth=2
	s_or_b32 exec_lo, exec_lo, s40
.LBB4_5216:                             ;   in Loop: Header=BB4_4959 Depth=2
	s_delay_alu instid0(SALU_CYCLE_1)
	s_or_b32 exec_lo, exec_lo, s29
.LBB4_5217:                             ;   in Loop: Header=BB4_4959 Depth=2
	s_delay_alu instid0(SALU_CYCLE_1) | instskip(NEXT) | instid1(VALU_DEP_1)
	s_or_b32 exec_lo, exec_lo, s7
	v_dual_mul_f32 v3, s28, v2 :: v_dual_mov_b32 v11, v37
                                        ; implicit-def: $vgpr46
	s_mov_b32 s7, exec_lo
	s_delay_alu instid0(VALU_DEP_1) | instskip(SKIP_2) | instid1(VALU_DEP_3)
	v_and_b32_e32 v10, 0x7f800000, v3
	v_and_b32_e32 v36, 0x7fffff, v3
	v_lshrrev_b32_e32 v2, 24, v3
	v_cmpx_ne_u64_e32 0x7f800000, v[10:11]
	s_xor_b32 s29, exec_lo, s7
	s_cbranch_execz .LBB4_5231
; %bb.5218:                             ;   in Loop: Header=BB4_4959 Depth=2
	v_and_b32_e32 v10, 0x7fffffff, v3
	v_mov_b32_e32 v11, v37
	v_and_b32_e32 v2, 0x80, v2
                                        ; implicit-def: $vgpr46
	s_mov_b32 s7, exec_lo
	s_delay_alu instid0(VALU_DEP_2)
	v_cmpx_gt_u64_e32 0x47600001, v[10:11]
	s_xor_b32 s40, exec_lo, s7
	s_cbranch_execz .LBB4_5228
; %bb.5219:                             ;   in Loop: Header=BB4_4959 Depth=2
	v_mov_b32_e32 v46, 0
	s_mov_b32 s41, exec_lo
	v_cmpx_ne_u32_e32 0, v3
	s_cbranch_execz .LBB4_5227
; %bb.5220:                             ;   in Loop: Header=BB4_4959 Depth=2
	v_bfe_u32 v3, v3, 23, 8
	v_or_b32_e32 v14, 0x800000, v36
	s_mov_b32 s42, exec_lo
	s_delay_alu instid0(VALU_DEP_2) | instskip(SKIP_1) | instid1(VALU_DEP_2)
	v_dual_mov_b32 v15, v37 :: v_dual_sub_nc_u32 v10, 0x71, v3
	v_cmp_gt_u32_e32 vcc_lo, 0x72, v3
	v_cndmask_b32_e32 v10, 0, v10, vcc_lo
	v_cmp_eq_u32_e32 vcc_lo, 0, v3
	s_delay_alu instid0(VALU_DEP_2) | instskip(SKIP_1) | instid1(VALU_DEP_2)
	v_cndmask_b32_e64 v16, v10, 0x70, vcc_lo
	v_cndmask_b32_e32 v14, v14, v36, vcc_lo
	v_dual_add_nc_u32 v10, 21, v16 :: v_dual_add_nc_u32 v17, 20, v16
	s_delay_alu instid0(VALU_DEP_1) | instskip(NEXT) | instid1(VALU_DEP_2)
	v_lshlrev_b64_e64 v[10:11], v10, -1
	v_lshlrev_b64_e64 v[20:21], v17, 1
	s_delay_alu instid0(VALU_DEP_2) | instskip(NEXT) | instid1(VALU_DEP_3)
	v_bfi_b32 v25, v11, 0, 0
	v_bfi_b32 v24, v10, 0, v14
	v_lshrrev_b64 v[10:11], v16, v[14:15]
	s_delay_alu instid0(VALU_DEP_1) | instskip(NEXT) | instid1(VALU_DEP_3)
	v_mov_b64_e32 v[14:15], v[10:11]
	v_cmpx_eq_u64_e64 v[24:25], v[20:21]
; %bb.5221:                             ;   in Loop: Header=BB4_4959 Depth=2
	v_bfe_u32 v14, v10, 21, 1
	v_mov_b32_e32 v15, v37
	s_delay_alu instid0(VALU_DEP_1) | instskip(NEXT) | instid1(VALU_DEP_1)
	v_add_nc_u64_e32 v[14:15], v[10:11], v[14:15]
	v_add_nc_u64_e32 v[14:15], -1, v[14:15]
; %bb.5222:                             ;   in Loop: Header=BB4_4959 Depth=2
	s_or_b32 exec_lo, exec_lo, s42
	v_add_nc_u32_e32 v3, 0xffffff81, v3
	v_lshrrev_b32_e32 v11, 23, v10
	s_mov_b32 s7, exec_lo
	s_delay_alu instid0(VALU_DEP_2) | instskip(NEXT) | instid1(VALU_DEP_1)
	v_cndmask_b32_e64 v3, v3, 0xffffff82, vcc_lo
	v_add3_u32 v15, v16, v3, v11
	v_and_b32_e32 v3, 0x1fffff, v14
	s_delay_alu instid0(VALU_DEP_1) | instskip(NEXT) | instid1(VALU_DEP_1)
	v_dual_add_nc_u32 v14, 14, v15 :: v_dual_add_nc_u32 v36, v3, v10
                                        ; implicit-def: $vgpr10_vgpr11
                                        ; implicit-def: $vgpr3
	v_cmpx_ne_u32_e32 0, v14
	s_xor_b32 s7, exec_lo, s7
; %bb.5223:                             ;   in Loop: Header=BB4_4959 Depth=2
	s_delay_alu instid0(VALU_DEP_2) | instskip(SKIP_2) | instid1(VALU_DEP_2)
	v_cmp_lt_u64_e32 vcc_lo, 0xffffff, v[36:37]
	v_add_nc_u32_e32 v3, 15, v15
	v_cndmask_b32_e64 v10, 0, 1, vcc_lo
	v_cndmask_b32_e32 v3, v14, v3, vcc_lo
	s_delay_alu instid0(VALU_DEP_2)
	v_lshrrev_b64 v[10:11], v10, v[36:37]
; %bb.5224:                             ;   in Loop: Header=BB4_4959 Depth=2
	s_and_not1_saveexec_b32 s7, s7
; %bb.5225:                             ;   in Loop: Header=BB4_4959 Depth=2
	v_mov_b64_e32 v[10:11], v[36:37]
	v_bfe_u32 v3, v36, 23, 1
; %bb.5226:                             ;   in Loop: Header=BB4_4959 Depth=2
	s_or_b32 exec_lo, exec_lo, s7
	s_delay_alu instid0(VALU_DEP_2) | instskip(NEXT) | instid1(VALU_DEP_2)
	v_lshrrev_b64 v[10:11], 21, v[10:11]
	v_cmp_gt_i32_e32 vcc_lo, 32, v3
	v_min_i32_e32 v14, 31, v3
	v_cmp_eq_u32_e64 s7, 0, v3
	s_delay_alu instid0(VALU_DEP_4) | instskip(NEXT) | instid1(VALU_DEP_3)
	v_cndmask_b32_e32 v10, 3, v10, vcc_lo
	v_dual_cndmask_b32 v11, 0, v11 :: v_dual_lshlrev_b32 v14, 2, v14
	s_delay_alu instid0(VALU_DEP_1) | instskip(NEXT) | instid1(VALU_DEP_2)
	v_and_b32_e32 v14, 0xfc, v14
	v_cmp_eq_u64_e32 vcc_lo, 0, v[10:11]
	s_delay_alu instid0(VALU_DEP_2)
	v_and_or_b32 v3, v10, 3, v14
	s_and_b32 s7, s7, vcc_lo
	s_delay_alu instid0(VALU_DEP_1) | instid1(SALU_CYCLE_1)
	v_cndmask_b32_e64 v3, v3, 0, s7
	s_delay_alu instid0(VALU_DEP_1)
	v_or_b32_e32 v46, v3, v2
.LBB4_5227:                             ;   in Loop: Header=BB4_4959 Depth=2
	s_or_b32 exec_lo, exec_lo, s41
                                        ; implicit-def: $vgpr2
.LBB4_5228:                             ;   in Loop: Header=BB4_4959 Depth=2
	s_and_not1_saveexec_b32 s7, s40
; %bb.5229:                             ;   in Loop: Header=BB4_4959 Depth=2
	v_or_b32_e32 v46, 0x7b, v2
; %bb.5230:                             ;   in Loop: Header=BB4_4959 Depth=2
	s_or_b32 exec_lo, exec_lo, s7
                                        ; implicit-def: $vgpr3
                                        ; implicit-def: $vgpr2
.LBB4_5231:                             ;   in Loop: Header=BB4_4959 Depth=2
	s_and_not1_saveexec_b32 s7, s29
	s_cbranch_execz .LBB4_5237
; %bb.5232:                             ;   in Loop: Header=BB4_4959 Depth=2
	s_mov_b32 s29, exec_lo
                                        ; implicit-def: $vgpr46
	v_cmpx_ne_u64_e32 0, v[36:37]
	s_xor_b32 s29, exec_lo, s29
; %bb.5233:                             ;   in Loop: Header=BB4_4959 Depth=2
	v_or_b32_e32 v46, 0x7f, v2
                                        ; implicit-def: $vgpr3
; %bb.5234:                             ;   in Loop: Header=BB4_4959 Depth=2
	s_and_not1_saveexec_b32 s29, s29
; %bb.5235:                             ;   in Loop: Header=BB4_4959 Depth=2
	v_cmp_lt_i32_e32 vcc_lo, -1, v3
	v_cndmask_b32_e32 v46, 0xfc, v110, vcc_lo
; %bb.5236:                             ;   in Loop: Header=BB4_4959 Depth=2
	s_or_b32 exec_lo, exec_lo, s29
.LBB4_5237:                             ;   in Loop: Header=BB4_4959 Depth=2
	s_delay_alu instid0(SALU_CYCLE_1) | instskip(SKIP_3) | instid1(VALU_DEP_2)
	s_or_b32 exec_lo, exec_lo, s7
	v_lshrrev_b16 v10, 8, v12
	v_mov_b32_e32 v3, 0
	s_mov_b32 s7, exec_lo
	v_cmpx_ne_u16_e32 0, v10
	s_cbranch_execz .LBB4_5247
; %bb.5238:                             ;   in Loop: Header=BB4_4959 Depth=2
	v_bfrev_b32_e32 v3, 1
	s_mov_b32 s29, exec_lo
	v_cmpx_ne_u16_e32 0x80, v10
	s_cbranch_execz .LBB4_5246
; %bb.5239:                             ;   in Loop: Header=BB4_4959 Depth=2
	v_and_b32_e32 v11, 0xffff, v10
	s_delay_alu instid0(VALU_DEP_1) | instskip(SKIP_1) | instid1(VALU_DEP_2)
	v_and_b32_e32 v3, 0x7c, v11
	v_and_b32_e32 v2, 3, v11
	v_cmp_ne_u32_e32 vcc_lo, 0x7c, v3
                                        ; implicit-def: $vgpr3
	s_and_saveexec_b32 s40, vcc_lo
	s_delay_alu instid0(SALU_CYCLE_1)
	s_xor_b32 s40, exec_lo, s40
	s_cbranch_execz .LBB4_5243
; %bb.5240:                             ;   in Loop: Header=BB4_4959 Depth=2
	v_bfe_u32 v3, v11, 2, 5
	s_mov_b32 s41, exec_lo
	s_delay_alu instid0(VALU_DEP_1)
	v_cmpx_eq_u32_e32 0, v3
	s_cbranch_execz .LBB4_5242
; %bb.5241:                             ;   in Loop: Header=BB4_4959 Depth=2
	v_clz_i32_u32_e32 v2, v2
	s_delay_alu instid0(VALU_DEP_1) | instskip(SKIP_1) | instid1(VALU_DEP_2)
	v_min_u32_e32 v14, 32, v2
	v_mov_b32_e32 v11, v37
	v_subrev_nc_u32_e32 v2, 29, v14
	s_delay_alu instid0(VALU_DEP_1) | instskip(SKIP_1) | instid1(VALU_DEP_2)
	v_lshlrev_b64_e32 v[2:3], v2, v[10:11]
	v_sub_nc_u32_e32 v3, 30, v14
	v_and_b32_e32 v2, 3, v2
.LBB4_5242:                             ;   in Loop: Header=BB4_4959 Depth=2
	s_or_b32 exec_lo, exec_lo, s41
	v_lshlrev_b32_e32 v10, 16, v12
	s_delay_alu instid0(VALU_DEP_1) | instskip(NEXT) | instid1(VALU_DEP_1)
	v_and_b32_e32 v10, 0x80000000, v10
	v_lshl_add_u32 v3, v3, 23, v10
	s_delay_alu instid0(VALU_DEP_1) | instskip(NEXT) | instid1(VALU_DEP_1)
	v_lshl_or_b32 v2, v2, 21, v3
	v_add_nc_u32_e32 v3, 0x38000000, v2
                                        ; implicit-def: $vgpr2
.LBB4_5243:                             ;   in Loop: Header=BB4_4959 Depth=2
	s_and_not1_saveexec_b32 s40, s40
; %bb.5244:                             ;   in Loop: Header=BB4_4959 Depth=2
	v_cmp_lt_i16_e32 vcc_lo, -1, v12
	v_cndmask_b32_e32 v3, 0xff800000, v109, vcc_lo
	v_cmp_eq_u32_e32 vcc_lo, 0, v2
	s_delay_alu instid0(VALU_DEP_2)
	v_cndmask_b32_e32 v3, 0x7f800001, v3, vcc_lo
; %bb.5245:                             ;   in Loop: Header=BB4_4959 Depth=2
	s_or_b32 exec_lo, exec_lo, s40
.LBB4_5246:                             ;   in Loop: Header=BB4_4959 Depth=2
	s_delay_alu instid0(SALU_CYCLE_1)
	s_or_b32 exec_lo, exec_lo, s29
.LBB4_5247:                             ;   in Loop: Header=BB4_4959 Depth=2
	s_delay_alu instid0(SALU_CYCLE_1) | instskip(NEXT) | instid1(VALU_DEP_1)
	s_or_b32 exec_lo, exec_lo, s7
	v_dual_mul_f32 v3, s28, v3 :: v_dual_mov_b32 v11, v37
                                        ; implicit-def: $vgpr59
	s_mov_b32 s7, exec_lo
	s_delay_alu instid0(VALU_DEP_1) | instskip(SKIP_2) | instid1(VALU_DEP_3)
	v_and_b32_e32 v10, 0x7f800000, v3
	v_and_b32_e32 v36, 0x7fffff, v3
	v_lshrrev_b32_e32 v2, 24, v3
	v_cmpx_ne_u64_e32 0x7f800000, v[10:11]
	s_xor_b32 s29, exec_lo, s7
	s_cbranch_execz .LBB4_5261
; %bb.5248:                             ;   in Loop: Header=BB4_4959 Depth=2
	v_and_b32_e32 v10, 0x7fffffff, v3
	v_mov_b32_e32 v11, v37
	v_and_b32_e32 v2, 0x80, v2
                                        ; implicit-def: $vgpr59
	s_mov_b32 s7, exec_lo
	s_delay_alu instid0(VALU_DEP_2)
	v_cmpx_gt_u64_e32 0x47600001, v[10:11]
	s_xor_b32 s40, exec_lo, s7
	s_cbranch_execz .LBB4_5258
; %bb.5249:                             ;   in Loop: Header=BB4_4959 Depth=2
	v_mov_b32_e32 v59, 0
	s_mov_b32 s41, exec_lo
	v_cmpx_ne_u32_e32 0, v3
	s_cbranch_execz .LBB4_5257
; %bb.5250:                             ;   in Loop: Header=BB4_4959 Depth=2
	v_bfe_u32 v3, v3, 23, 8
	v_or_b32_e32 v14, 0x800000, v36
	s_mov_b32 s42, exec_lo
	s_delay_alu instid0(VALU_DEP_2) | instskip(SKIP_1) | instid1(VALU_DEP_2)
	v_dual_mov_b32 v15, v37 :: v_dual_sub_nc_u32 v10, 0x71, v3
	v_cmp_gt_u32_e32 vcc_lo, 0x72, v3
	v_cndmask_b32_e32 v10, 0, v10, vcc_lo
	v_cmp_eq_u32_e32 vcc_lo, 0, v3
	s_delay_alu instid0(VALU_DEP_2) | instskip(SKIP_1) | instid1(VALU_DEP_2)
	v_cndmask_b32_e64 v16, v10, 0x70, vcc_lo
	v_cndmask_b32_e32 v14, v14, v36, vcc_lo
	v_dual_add_nc_u32 v10, 21, v16 :: v_dual_add_nc_u32 v17, 20, v16
	s_delay_alu instid0(VALU_DEP_1) | instskip(NEXT) | instid1(VALU_DEP_2)
	v_lshlrev_b64_e64 v[10:11], v10, -1
	v_lshlrev_b64_e64 v[20:21], v17, 1
	s_delay_alu instid0(VALU_DEP_2) | instskip(NEXT) | instid1(VALU_DEP_3)
	v_bfi_b32 v25, v11, 0, 0
	v_bfi_b32 v24, v10, 0, v14
	v_lshrrev_b64 v[10:11], v16, v[14:15]
	s_delay_alu instid0(VALU_DEP_1) | instskip(NEXT) | instid1(VALU_DEP_3)
	v_mov_b64_e32 v[14:15], v[10:11]
	v_cmpx_eq_u64_e64 v[24:25], v[20:21]
; %bb.5251:                             ;   in Loop: Header=BB4_4959 Depth=2
	v_bfe_u32 v14, v10, 21, 1
	v_mov_b32_e32 v15, v37
	s_delay_alu instid0(VALU_DEP_1) | instskip(NEXT) | instid1(VALU_DEP_1)
	v_add_nc_u64_e32 v[14:15], v[10:11], v[14:15]
	v_add_nc_u64_e32 v[14:15], -1, v[14:15]
; %bb.5252:                             ;   in Loop: Header=BB4_4959 Depth=2
	s_or_b32 exec_lo, exec_lo, s42
	v_add_nc_u32_e32 v3, 0xffffff81, v3
	v_lshrrev_b32_e32 v11, 23, v10
	s_mov_b32 s7, exec_lo
	s_delay_alu instid0(VALU_DEP_2) | instskip(NEXT) | instid1(VALU_DEP_1)
	v_cndmask_b32_e64 v3, v3, 0xffffff82, vcc_lo
	v_add3_u32 v15, v16, v3, v11
	v_and_b32_e32 v3, 0x1fffff, v14
	s_delay_alu instid0(VALU_DEP_1) | instskip(NEXT) | instid1(VALU_DEP_1)
	v_dual_add_nc_u32 v14, 14, v15 :: v_dual_add_nc_u32 v36, v3, v10
                                        ; implicit-def: $vgpr10_vgpr11
                                        ; implicit-def: $vgpr3
	v_cmpx_ne_u32_e32 0, v14
	s_xor_b32 s7, exec_lo, s7
; %bb.5253:                             ;   in Loop: Header=BB4_4959 Depth=2
	s_delay_alu instid0(VALU_DEP_2) | instskip(SKIP_2) | instid1(VALU_DEP_2)
	v_cmp_lt_u64_e32 vcc_lo, 0xffffff, v[36:37]
	v_add_nc_u32_e32 v3, 15, v15
	v_cndmask_b32_e64 v10, 0, 1, vcc_lo
	v_cndmask_b32_e32 v3, v14, v3, vcc_lo
	s_delay_alu instid0(VALU_DEP_2)
	v_lshrrev_b64 v[10:11], v10, v[36:37]
; %bb.5254:                             ;   in Loop: Header=BB4_4959 Depth=2
	s_and_not1_saveexec_b32 s7, s7
; %bb.5255:                             ;   in Loop: Header=BB4_4959 Depth=2
	v_mov_b64_e32 v[10:11], v[36:37]
	v_bfe_u32 v3, v36, 23, 1
; %bb.5256:                             ;   in Loop: Header=BB4_4959 Depth=2
	s_or_b32 exec_lo, exec_lo, s7
	s_delay_alu instid0(VALU_DEP_2) | instskip(NEXT) | instid1(VALU_DEP_2)
	v_lshrrev_b64 v[10:11], 21, v[10:11]
	v_cmp_gt_i32_e32 vcc_lo, 32, v3
	v_min_i32_e32 v14, 31, v3
	v_cmp_eq_u32_e64 s7, 0, v3
	s_delay_alu instid0(VALU_DEP_4) | instskip(NEXT) | instid1(VALU_DEP_3)
	v_cndmask_b32_e32 v10, 3, v10, vcc_lo
	v_dual_cndmask_b32 v11, 0, v11 :: v_dual_lshlrev_b32 v14, 2, v14
	s_delay_alu instid0(VALU_DEP_1) | instskip(NEXT) | instid1(VALU_DEP_2)
	v_and_b32_e32 v14, 0xfc, v14
	v_cmp_eq_u64_e32 vcc_lo, 0, v[10:11]
	s_delay_alu instid0(VALU_DEP_2)
	v_and_or_b32 v3, v10, 3, v14
	s_and_b32 s7, s7, vcc_lo
	s_delay_alu instid0(VALU_DEP_1) | instid1(SALU_CYCLE_1)
	v_cndmask_b32_e64 v3, v3, 0, s7
	s_delay_alu instid0(VALU_DEP_1)
	v_or_b32_e32 v59, v3, v2
.LBB4_5257:                             ;   in Loop: Header=BB4_4959 Depth=2
	s_or_b32 exec_lo, exec_lo, s41
                                        ; implicit-def: $vgpr2
.LBB4_5258:                             ;   in Loop: Header=BB4_4959 Depth=2
	s_and_not1_saveexec_b32 s7, s40
; %bb.5259:                             ;   in Loop: Header=BB4_4959 Depth=2
	v_or_b32_e32 v59, 0x7b, v2
; %bb.5260:                             ;   in Loop: Header=BB4_4959 Depth=2
	s_or_b32 exec_lo, exec_lo, s7
                                        ; implicit-def: $vgpr3
                                        ; implicit-def: $vgpr2
.LBB4_5261:                             ;   in Loop: Header=BB4_4959 Depth=2
	s_and_not1_saveexec_b32 s7, s29
	s_cbranch_execz .LBB4_5267
; %bb.5262:                             ;   in Loop: Header=BB4_4959 Depth=2
	s_mov_b32 s29, exec_lo
                                        ; implicit-def: $vgpr59
	v_cmpx_ne_u64_e32 0, v[36:37]
	s_xor_b32 s29, exec_lo, s29
; %bb.5263:                             ;   in Loop: Header=BB4_4959 Depth=2
	v_or_b32_e32 v59, 0x7f, v2
                                        ; implicit-def: $vgpr3
; %bb.5264:                             ;   in Loop: Header=BB4_4959 Depth=2
	s_and_not1_saveexec_b32 s29, s29
; %bb.5265:                             ;   in Loop: Header=BB4_4959 Depth=2
	v_cmp_lt_i32_e32 vcc_lo, -1, v3
	v_cndmask_b32_e32 v59, 0xfc, v110, vcc_lo
; %bb.5266:                             ;   in Loop: Header=BB4_4959 Depth=2
	s_or_b32 exec_lo, exec_lo, s29
.LBB4_5267:                             ;   in Loop: Header=BB4_4959 Depth=2
	s_delay_alu instid0(SALU_CYCLE_1) | instskip(SKIP_2) | instid1(VALU_DEP_1)
	s_or_b32 exec_lo, exec_lo, s7
	v_dual_lshrrev_b32 v10, 16, v12 :: v_dual_mov_b32 v2, 0
	s_mov_b32 s7, exec_lo
	v_and_b32_e32 v3, 0xff, v10
	s_delay_alu instid0(VALU_DEP_1)
	v_cmpx_ne_u16_e32 0, v3
	s_cbranch_execz .LBB4_5277
; %bb.5268:                             ;   in Loop: Header=BB4_4959 Depth=2
	v_bfrev_b32_e32 v2, 1
	s_mov_b32 s29, exec_lo
	v_cmpx_ne_u16_e32 0x80, v3
	s_cbranch_execz .LBB4_5276
; %bb.5269:                             ;   in Loop: Header=BB4_4959 Depth=2
	v_and_b32_e32 v2, 0x7c0000, v12
	v_bfe_u32 v3, v12, 16, 2
	s_delay_alu instid0(VALU_DEP_2) | instskip(SKIP_1) | instid1(SALU_CYCLE_1)
	v_cmp_ne_u32_e32 vcc_lo, 0x7c0000, v2
                                        ; implicit-def: $vgpr2
	s_and_saveexec_b32 s40, vcc_lo
	s_xor_b32 s40, exec_lo, s40
	s_cbranch_execz .LBB4_5273
; %bb.5270:                             ;   in Loop: Header=BB4_4959 Depth=2
	v_bfe_u32 v2, v12, 18, 5
	s_mov_b32 s41, exec_lo
	s_delay_alu instid0(VALU_DEP_1)
	v_cmpx_eq_u32_e32 0, v2
; %bb.5271:                             ;   in Loop: Header=BB4_4959 Depth=2
	v_clz_i32_u32_e32 v2, v3
	s_delay_alu instid0(VALU_DEP_1) | instskip(NEXT) | instid1(VALU_DEP_1)
	v_min_u32_e32 v2, 32, v2
	v_subrev_nc_u32_e32 v3, 29, v2
	v_sub_nc_u32_e32 v2, 30, v2
	s_delay_alu instid0(VALU_DEP_2) | instskip(NEXT) | instid1(VALU_DEP_1)
	v_lshlrev_b64_e32 v[14:15], v3, v[10:11]
	v_and_b32_e32 v3, 3, v14
; %bb.5272:                             ;   in Loop: Header=BB4_4959 Depth=2
	s_or_b32 exec_lo, exec_lo, s41
	v_lshlrev_b32_e32 v10, 24, v10
	s_delay_alu instid0(VALU_DEP_1) | instskip(NEXT) | instid1(VALU_DEP_1)
	v_and_b32_e32 v10, 0x80000000, v10
	v_lshl_add_u32 v2, v2, 23, v10
                                        ; implicit-def: $vgpr10
	s_delay_alu instid0(VALU_DEP_1) | instskip(NEXT) | instid1(VALU_DEP_1)
	v_lshl_or_b32 v2, v3, 21, v2
                                        ; implicit-def: $vgpr3
	v_add_nc_u32_e32 v2, 0x38000000, v2
.LBB4_5273:                             ;   in Loop: Header=BB4_4959 Depth=2
	s_and_not1_saveexec_b32 s40, s40
; %bb.5274:                             ;   in Loop: Header=BB4_4959 Depth=2
	v_bfe_i32 v2, v10, 0, 8
	s_delay_alu instid0(VALU_DEP_1) | instskip(SKIP_2) | instid1(VALU_DEP_2)
	v_cmp_lt_i16_e32 vcc_lo, -1, v2
	v_cndmask_b32_e32 v2, 0xff800000, v109, vcc_lo
	v_cmp_eq_u32_e32 vcc_lo, 0, v3
	v_cndmask_b32_e32 v2, 0x7f800001, v2, vcc_lo
; %bb.5275:                             ;   in Loop: Header=BB4_4959 Depth=2
	s_or_b32 exec_lo, exec_lo, s40
.LBB4_5276:                             ;   in Loop: Header=BB4_4959 Depth=2
	s_delay_alu instid0(SALU_CYCLE_1)
	s_or_b32 exec_lo, exec_lo, s29
.LBB4_5277:                             ;   in Loop: Header=BB4_4959 Depth=2
	s_delay_alu instid0(SALU_CYCLE_1) | instskip(NEXT) | instid1(VALU_DEP_1)
	s_or_b32 exec_lo, exec_lo, s7
	v_dual_mul_f32 v3, s28, v2 :: v_dual_mov_b32 v11, v37
                                        ; implicit-def: $vgpr61
	s_mov_b32 s7, exec_lo
	s_delay_alu instid0(VALU_DEP_1) | instskip(SKIP_2) | instid1(VALU_DEP_3)
	v_and_b32_e32 v10, 0x7f800000, v3
	v_and_b32_e32 v36, 0x7fffff, v3
	v_lshrrev_b32_e32 v2, 24, v3
	v_cmpx_ne_u64_e32 0x7f800000, v[10:11]
	s_xor_b32 s29, exec_lo, s7
	s_cbranch_execz .LBB4_5291
; %bb.5278:                             ;   in Loop: Header=BB4_4959 Depth=2
	v_and_b32_e32 v10, 0x7fffffff, v3
	v_mov_b32_e32 v11, v37
	v_and_b32_e32 v2, 0x80, v2
                                        ; implicit-def: $vgpr61
	s_mov_b32 s7, exec_lo
	s_delay_alu instid0(VALU_DEP_2)
	v_cmpx_gt_u64_e32 0x47600001, v[10:11]
	s_xor_b32 s40, exec_lo, s7
	s_cbranch_execz .LBB4_5288
; %bb.5279:                             ;   in Loop: Header=BB4_4959 Depth=2
	v_mov_b32_e32 v61, 0
	s_mov_b32 s41, exec_lo
	v_cmpx_ne_u32_e32 0, v3
	s_cbranch_execz .LBB4_5287
; %bb.5280:                             ;   in Loop: Header=BB4_4959 Depth=2
	v_bfe_u32 v3, v3, 23, 8
	v_or_b32_e32 v14, 0x800000, v36
	s_mov_b32 s42, exec_lo
	s_delay_alu instid0(VALU_DEP_2) | instskip(SKIP_1) | instid1(VALU_DEP_2)
	v_dual_mov_b32 v15, v37 :: v_dual_sub_nc_u32 v10, 0x71, v3
	v_cmp_gt_u32_e32 vcc_lo, 0x72, v3
	v_cndmask_b32_e32 v10, 0, v10, vcc_lo
	v_cmp_eq_u32_e32 vcc_lo, 0, v3
	s_delay_alu instid0(VALU_DEP_2) | instskip(SKIP_1) | instid1(VALU_DEP_2)
	v_cndmask_b32_e64 v16, v10, 0x70, vcc_lo
	v_cndmask_b32_e32 v14, v14, v36, vcc_lo
	v_dual_add_nc_u32 v10, 21, v16 :: v_dual_add_nc_u32 v17, 20, v16
	s_delay_alu instid0(VALU_DEP_1) | instskip(NEXT) | instid1(VALU_DEP_2)
	v_lshlrev_b64_e64 v[10:11], v10, -1
	v_lshlrev_b64_e64 v[20:21], v17, 1
	s_delay_alu instid0(VALU_DEP_2) | instskip(NEXT) | instid1(VALU_DEP_3)
	v_bfi_b32 v25, v11, 0, 0
	v_bfi_b32 v24, v10, 0, v14
	v_lshrrev_b64 v[10:11], v16, v[14:15]
	s_delay_alu instid0(VALU_DEP_1) | instskip(NEXT) | instid1(VALU_DEP_3)
	v_mov_b64_e32 v[14:15], v[10:11]
	v_cmpx_eq_u64_e64 v[24:25], v[20:21]
; %bb.5281:                             ;   in Loop: Header=BB4_4959 Depth=2
	v_bfe_u32 v14, v10, 21, 1
	v_mov_b32_e32 v15, v37
	s_delay_alu instid0(VALU_DEP_1) | instskip(NEXT) | instid1(VALU_DEP_1)
	v_add_nc_u64_e32 v[14:15], v[10:11], v[14:15]
	v_add_nc_u64_e32 v[14:15], -1, v[14:15]
; %bb.5282:                             ;   in Loop: Header=BB4_4959 Depth=2
	s_or_b32 exec_lo, exec_lo, s42
	v_add_nc_u32_e32 v3, 0xffffff81, v3
	v_lshrrev_b32_e32 v11, 23, v10
	s_mov_b32 s7, exec_lo
	s_delay_alu instid0(VALU_DEP_2) | instskip(NEXT) | instid1(VALU_DEP_1)
	v_cndmask_b32_e64 v3, v3, 0xffffff82, vcc_lo
	v_add3_u32 v15, v16, v3, v11
	v_and_b32_e32 v3, 0x1fffff, v14
	s_delay_alu instid0(VALU_DEP_1) | instskip(NEXT) | instid1(VALU_DEP_1)
	v_dual_add_nc_u32 v14, 14, v15 :: v_dual_add_nc_u32 v36, v3, v10
                                        ; implicit-def: $vgpr10_vgpr11
                                        ; implicit-def: $vgpr3
	v_cmpx_ne_u32_e32 0, v14
	s_xor_b32 s7, exec_lo, s7
; %bb.5283:                             ;   in Loop: Header=BB4_4959 Depth=2
	s_delay_alu instid0(VALU_DEP_2) | instskip(SKIP_2) | instid1(VALU_DEP_2)
	v_cmp_lt_u64_e32 vcc_lo, 0xffffff, v[36:37]
	v_add_nc_u32_e32 v3, 15, v15
	v_cndmask_b32_e64 v10, 0, 1, vcc_lo
	v_cndmask_b32_e32 v3, v14, v3, vcc_lo
	s_delay_alu instid0(VALU_DEP_2)
	v_lshrrev_b64 v[10:11], v10, v[36:37]
; %bb.5284:                             ;   in Loop: Header=BB4_4959 Depth=2
	s_and_not1_saveexec_b32 s7, s7
; %bb.5285:                             ;   in Loop: Header=BB4_4959 Depth=2
	v_mov_b64_e32 v[10:11], v[36:37]
	v_bfe_u32 v3, v36, 23, 1
; %bb.5286:                             ;   in Loop: Header=BB4_4959 Depth=2
	s_or_b32 exec_lo, exec_lo, s7
	s_delay_alu instid0(VALU_DEP_2) | instskip(NEXT) | instid1(VALU_DEP_2)
	v_lshrrev_b64 v[10:11], 21, v[10:11]
	v_cmp_gt_i32_e32 vcc_lo, 32, v3
	v_min_i32_e32 v14, 31, v3
	v_cmp_eq_u32_e64 s7, 0, v3
	s_delay_alu instid0(VALU_DEP_4) | instskip(NEXT) | instid1(VALU_DEP_3)
	v_cndmask_b32_e32 v10, 3, v10, vcc_lo
	v_dual_cndmask_b32 v11, 0, v11 :: v_dual_lshlrev_b32 v14, 2, v14
	s_delay_alu instid0(VALU_DEP_1) | instskip(NEXT) | instid1(VALU_DEP_2)
	v_and_b32_e32 v14, 0xfc, v14
	v_cmp_eq_u64_e32 vcc_lo, 0, v[10:11]
	s_delay_alu instid0(VALU_DEP_2)
	v_and_or_b32 v3, v10, 3, v14
	s_and_b32 s7, s7, vcc_lo
	s_delay_alu instid0(VALU_DEP_1) | instid1(SALU_CYCLE_1)
	v_cndmask_b32_e64 v3, v3, 0, s7
	s_delay_alu instid0(VALU_DEP_1)
	v_or_b32_e32 v61, v3, v2
.LBB4_5287:                             ;   in Loop: Header=BB4_4959 Depth=2
	s_or_b32 exec_lo, exec_lo, s41
                                        ; implicit-def: $vgpr2
.LBB4_5288:                             ;   in Loop: Header=BB4_4959 Depth=2
	s_and_not1_saveexec_b32 s7, s40
; %bb.5289:                             ;   in Loop: Header=BB4_4959 Depth=2
	v_or_b32_e32 v61, 0x7b, v2
; %bb.5290:                             ;   in Loop: Header=BB4_4959 Depth=2
	s_or_b32 exec_lo, exec_lo, s7
                                        ; implicit-def: $vgpr3
                                        ; implicit-def: $vgpr2
.LBB4_5291:                             ;   in Loop: Header=BB4_4959 Depth=2
	s_and_not1_saveexec_b32 s7, s29
	s_cbranch_execz .LBB4_5297
; %bb.5292:                             ;   in Loop: Header=BB4_4959 Depth=2
	s_mov_b32 s29, exec_lo
                                        ; implicit-def: $vgpr61
	v_cmpx_ne_u64_e32 0, v[36:37]
	s_xor_b32 s29, exec_lo, s29
; %bb.5293:                             ;   in Loop: Header=BB4_4959 Depth=2
	v_or_b32_e32 v61, 0x7f, v2
                                        ; implicit-def: $vgpr3
; %bb.5294:                             ;   in Loop: Header=BB4_4959 Depth=2
	s_and_not1_saveexec_b32 s29, s29
; %bb.5295:                             ;   in Loop: Header=BB4_4959 Depth=2
	v_cmp_lt_i32_e32 vcc_lo, -1, v3
	v_cndmask_b32_e32 v61, 0xfc, v110, vcc_lo
; %bb.5296:                             ;   in Loop: Header=BB4_4959 Depth=2
	s_or_b32 exec_lo, exec_lo, s29
.LBB4_5297:                             ;   in Loop: Header=BB4_4959 Depth=2
	s_delay_alu instid0(SALU_CYCLE_1)
	s_or_b32 exec_lo, exec_lo, s7
	v_mov_b32_e32 v2, 0
	s_mov_b32 s7, exec_lo
	v_cmpx_lt_u32_e32 0xffffff, v12
	s_cbranch_execz .LBB4_5307
; %bb.5298:                             ;   in Loop: Header=BB4_4959 Depth=2
	v_lshrrev_b32_e32 v10, 24, v12
	v_bfrev_b32_e32 v2, 1
	s_mov_b32 s29, exec_lo
	s_delay_alu instid0(VALU_DEP_2)
	v_cmpx_ne_u32_e32 0x80, v10
	s_cbranch_execz .LBB4_5306
; %bb.5299:                             ;   in Loop: Header=BB4_4959 Depth=2
	v_and_b32_e32 v2, 0x7c000000, v12
	v_bfe_u32 v3, v12, 24, 2
	s_delay_alu instid0(VALU_DEP_2) | instskip(SKIP_1) | instid1(SALU_CYCLE_1)
	v_cmp_ne_u32_e32 vcc_lo, 0x7c000000, v2
                                        ; implicit-def: $vgpr2
	s_and_saveexec_b32 s40, vcc_lo
	s_xor_b32 s40, exec_lo, s40
	s_cbranch_execz .LBB4_5303
; %bb.5300:                             ;   in Loop: Header=BB4_4959 Depth=2
	v_bfe_u32 v2, v12, 26, 5
	s_mov_b32 s41, exec_lo
	s_delay_alu instid0(VALU_DEP_1)
	v_cmpx_eq_u32_e32 0, v2
; %bb.5301:                             ;   in Loop: Header=BB4_4959 Depth=2
	v_clz_i32_u32_e32 v2, v3
	s_delay_alu instid0(VALU_DEP_1) | instskip(NEXT) | instid1(VALU_DEP_1)
	v_min_u32_e32 v2, 32, v2
	v_subrev_nc_u32_e32 v3, 29, v2
	v_sub_nc_u32_e32 v2, 30, v2
	s_delay_alu instid0(VALU_DEP_2) | instskip(NEXT) | instid1(VALU_DEP_1)
	v_lshlrev_b64_e32 v[10:11], v3, v[10:11]
	v_and_b32_e32 v3, 3, v10
; %bb.5302:                             ;   in Loop: Header=BB4_4959 Depth=2
	s_or_b32 exec_lo, exec_lo, s41
	v_and_b32_e32 v10, 0x80000000, v12
	s_delay_alu instid0(VALU_DEP_1) | instskip(NEXT) | instid1(VALU_DEP_1)
	v_lshl_add_u32 v2, v2, 23, v10
	v_lshl_or_b32 v2, v3, 21, v2
                                        ; implicit-def: $vgpr3
	s_delay_alu instid0(VALU_DEP_1)
	v_add_nc_u32_e32 v2, 0x38000000, v2
.LBB4_5303:                             ;   in Loop: Header=BB4_4959 Depth=2
	s_and_not1_saveexec_b32 s40, s40
; %bb.5304:                             ;   in Loop: Header=BB4_4959 Depth=2
	v_cmp_lt_i32_e32 vcc_lo, -1, v12
	v_cndmask_b32_e32 v2, 0xff800000, v109, vcc_lo
	v_cmp_eq_u32_e32 vcc_lo, 0, v3
	s_delay_alu instid0(VALU_DEP_2)
	v_cndmask_b32_e32 v2, 0x7f800001, v2, vcc_lo
; %bb.5305:                             ;   in Loop: Header=BB4_4959 Depth=2
	s_or_b32 exec_lo, exec_lo, s40
.LBB4_5306:                             ;   in Loop: Header=BB4_4959 Depth=2
	s_delay_alu instid0(SALU_CYCLE_1)
	s_or_b32 exec_lo, exec_lo, s29
.LBB4_5307:                             ;   in Loop: Header=BB4_4959 Depth=2
	s_delay_alu instid0(SALU_CYCLE_1) | instskip(NEXT) | instid1(VALU_DEP_1)
	s_or_b32 exec_lo, exec_lo, s7
	v_dual_mul_f32 v3, s28, v2 :: v_dual_mov_b32 v11, v37
                                        ; implicit-def: $vgpr62
	s_mov_b32 s7, exec_lo
	s_delay_alu instid0(VALU_DEP_1) | instskip(SKIP_2) | instid1(VALU_DEP_3)
	v_and_b32_e32 v10, 0x7f800000, v3
	v_and_b32_e32 v36, 0x7fffff, v3
	v_lshrrev_b32_e32 v2, 24, v3
	v_cmpx_ne_u64_e32 0x7f800000, v[10:11]
	s_xor_b32 s29, exec_lo, s7
	s_cbranch_execz .LBB4_5321
; %bb.5308:                             ;   in Loop: Header=BB4_4959 Depth=2
	v_and_b32_e32 v10, 0x7fffffff, v3
	v_mov_b32_e32 v11, v37
	v_and_b32_e32 v2, 0x80, v2
                                        ; implicit-def: $vgpr62
	s_mov_b32 s7, exec_lo
	s_delay_alu instid0(VALU_DEP_2)
	v_cmpx_gt_u64_e32 0x47600001, v[10:11]
	s_xor_b32 s40, exec_lo, s7
	s_cbranch_execz .LBB4_5318
; %bb.5309:                             ;   in Loop: Header=BB4_4959 Depth=2
	v_mov_b32_e32 v62, 0
	s_mov_b32 s41, exec_lo
	v_cmpx_ne_u32_e32 0, v3
	s_cbranch_execz .LBB4_5317
; %bb.5310:                             ;   in Loop: Header=BB4_4959 Depth=2
	v_bfe_u32 v3, v3, 23, 8
	v_or_b32_e32 v14, 0x800000, v36
	s_mov_b32 s42, exec_lo
	s_delay_alu instid0(VALU_DEP_2) | instskip(SKIP_1) | instid1(VALU_DEP_2)
	v_dual_mov_b32 v15, v37 :: v_dual_sub_nc_u32 v10, 0x71, v3
	v_cmp_gt_u32_e32 vcc_lo, 0x72, v3
	v_cndmask_b32_e32 v10, 0, v10, vcc_lo
	v_cmp_eq_u32_e32 vcc_lo, 0, v3
	s_delay_alu instid0(VALU_DEP_2) | instskip(SKIP_1) | instid1(VALU_DEP_2)
	v_cndmask_b32_e64 v16, v10, 0x70, vcc_lo
	v_cndmask_b32_e32 v14, v14, v36, vcc_lo
	v_dual_add_nc_u32 v10, 21, v16 :: v_dual_add_nc_u32 v17, 20, v16
	s_delay_alu instid0(VALU_DEP_1) | instskip(NEXT) | instid1(VALU_DEP_2)
	v_lshlrev_b64_e64 v[10:11], v10, -1
	v_lshlrev_b64_e64 v[20:21], v17, 1
	s_delay_alu instid0(VALU_DEP_2) | instskip(NEXT) | instid1(VALU_DEP_3)
	v_bfi_b32 v25, v11, 0, 0
	v_bfi_b32 v24, v10, 0, v14
	v_lshrrev_b64 v[10:11], v16, v[14:15]
	s_delay_alu instid0(VALU_DEP_1) | instskip(NEXT) | instid1(VALU_DEP_3)
	v_mov_b64_e32 v[14:15], v[10:11]
	v_cmpx_eq_u64_e64 v[24:25], v[20:21]
; %bb.5311:                             ;   in Loop: Header=BB4_4959 Depth=2
	v_bfe_u32 v14, v10, 21, 1
	v_mov_b32_e32 v15, v37
	s_delay_alu instid0(VALU_DEP_1) | instskip(NEXT) | instid1(VALU_DEP_1)
	v_add_nc_u64_e32 v[14:15], v[10:11], v[14:15]
	v_add_nc_u64_e32 v[14:15], -1, v[14:15]
; %bb.5312:                             ;   in Loop: Header=BB4_4959 Depth=2
	s_or_b32 exec_lo, exec_lo, s42
	v_add_nc_u32_e32 v3, 0xffffff81, v3
	v_lshrrev_b32_e32 v11, 23, v10
	s_mov_b32 s7, exec_lo
	s_delay_alu instid0(VALU_DEP_2) | instskip(NEXT) | instid1(VALU_DEP_1)
	v_cndmask_b32_e64 v3, v3, 0xffffff82, vcc_lo
	v_add3_u32 v15, v16, v3, v11
	v_and_b32_e32 v3, 0x1fffff, v14
	s_delay_alu instid0(VALU_DEP_1) | instskip(NEXT) | instid1(VALU_DEP_1)
	v_dual_add_nc_u32 v14, 14, v15 :: v_dual_add_nc_u32 v36, v3, v10
                                        ; implicit-def: $vgpr10_vgpr11
                                        ; implicit-def: $vgpr3
	v_cmpx_ne_u32_e32 0, v14
	s_xor_b32 s7, exec_lo, s7
; %bb.5313:                             ;   in Loop: Header=BB4_4959 Depth=2
	s_delay_alu instid0(VALU_DEP_2) | instskip(SKIP_2) | instid1(VALU_DEP_2)
	v_cmp_lt_u64_e32 vcc_lo, 0xffffff, v[36:37]
	v_add_nc_u32_e32 v3, 15, v15
	v_cndmask_b32_e64 v10, 0, 1, vcc_lo
	v_cndmask_b32_e32 v3, v14, v3, vcc_lo
	s_delay_alu instid0(VALU_DEP_2)
	v_lshrrev_b64 v[10:11], v10, v[36:37]
; %bb.5314:                             ;   in Loop: Header=BB4_4959 Depth=2
	s_and_not1_saveexec_b32 s7, s7
; %bb.5315:                             ;   in Loop: Header=BB4_4959 Depth=2
	v_mov_b64_e32 v[10:11], v[36:37]
	v_bfe_u32 v3, v36, 23, 1
; %bb.5316:                             ;   in Loop: Header=BB4_4959 Depth=2
	s_or_b32 exec_lo, exec_lo, s7
	s_delay_alu instid0(VALU_DEP_2) | instskip(NEXT) | instid1(VALU_DEP_2)
	v_lshrrev_b64 v[10:11], 21, v[10:11]
	v_cmp_gt_i32_e32 vcc_lo, 32, v3
	v_min_i32_e32 v14, 31, v3
	v_cmp_eq_u32_e64 s7, 0, v3
	s_delay_alu instid0(VALU_DEP_4) | instskip(NEXT) | instid1(VALU_DEP_3)
	v_cndmask_b32_e32 v10, 3, v10, vcc_lo
	v_dual_cndmask_b32 v11, 0, v11 :: v_dual_lshlrev_b32 v14, 2, v14
	s_delay_alu instid0(VALU_DEP_1) | instskip(NEXT) | instid1(VALU_DEP_2)
	v_and_b32_e32 v14, 0xfc, v14
	v_cmp_eq_u64_e32 vcc_lo, 0, v[10:11]
	s_delay_alu instid0(VALU_DEP_2)
	v_and_or_b32 v3, v10, 3, v14
	s_and_b32 s7, s7, vcc_lo
	s_delay_alu instid0(VALU_DEP_1) | instid1(SALU_CYCLE_1)
	v_cndmask_b32_e64 v3, v3, 0, s7
	s_delay_alu instid0(VALU_DEP_1)
	v_or_b32_e32 v62, v3, v2
.LBB4_5317:                             ;   in Loop: Header=BB4_4959 Depth=2
	s_or_b32 exec_lo, exec_lo, s41
                                        ; implicit-def: $vgpr2
.LBB4_5318:                             ;   in Loop: Header=BB4_4959 Depth=2
	s_and_not1_saveexec_b32 s7, s40
; %bb.5319:                             ;   in Loop: Header=BB4_4959 Depth=2
	v_or_b32_e32 v62, 0x7b, v2
; %bb.5320:                             ;   in Loop: Header=BB4_4959 Depth=2
	s_or_b32 exec_lo, exec_lo, s7
                                        ; implicit-def: $vgpr3
                                        ; implicit-def: $vgpr2
.LBB4_5321:                             ;   in Loop: Header=BB4_4959 Depth=2
	s_and_not1_saveexec_b32 s7, s29
	s_cbranch_execz .LBB4_5327
; %bb.5322:                             ;   in Loop: Header=BB4_4959 Depth=2
	s_mov_b32 s29, exec_lo
                                        ; implicit-def: $vgpr62
	v_cmpx_ne_u64_e32 0, v[36:37]
	s_xor_b32 s29, exec_lo, s29
; %bb.5323:                             ;   in Loop: Header=BB4_4959 Depth=2
	v_or_b32_e32 v62, 0x7f, v2
                                        ; implicit-def: $vgpr3
; %bb.5324:                             ;   in Loop: Header=BB4_4959 Depth=2
	s_and_not1_saveexec_b32 s29, s29
; %bb.5325:                             ;   in Loop: Header=BB4_4959 Depth=2
	v_cmp_lt_i32_e32 vcc_lo, -1, v3
	v_cndmask_b32_e32 v62, 0xfc, v110, vcc_lo
; %bb.5326:                             ;   in Loop: Header=BB4_4959 Depth=2
	s_or_b32 exec_lo, exec_lo, s29
.LBB4_5327:                             ;   in Loop: Header=BB4_4959 Depth=2
	s_delay_alu instid0(SALU_CYCLE_1) | instskip(SKIP_3) | instid1(VALU_DEP_2)
	s_or_b32 exec_lo, exec_lo, s7
	v_and_b32_e32 v3, 0xff, v13
	v_dual_mov_b32 v36, v13 :: v_dual_mov_b32 v2, 0
	s_mov_b32 s7, exec_lo
	v_cmpx_ne_u16_e32 0, v3
	s_cbranch_execz .LBB4_5337
; %bb.5328:                             ;   in Loop: Header=BB4_4959 Depth=2
	v_bfrev_b32_e32 v2, 1
	s_mov_b32 s29, exec_lo
	v_cmpx_ne_u16_e32 0x80, v3
	s_cbranch_execz .LBB4_5336
; %bb.5329:                             ;   in Loop: Header=BB4_4959 Depth=2
	v_and_b32_e32 v2, 0x7c, v13
	v_and_b32_e32 v3, 3, v13
	s_delay_alu instid0(VALU_DEP_2) | instskip(SKIP_1) | instid1(SALU_CYCLE_1)
	v_cmp_ne_u32_e32 vcc_lo, 0x7c, v2
                                        ; implicit-def: $vgpr2
	s_and_saveexec_b32 s40, vcc_lo
	s_xor_b32 s40, exec_lo, s40
	s_cbranch_execz .LBB4_5333
; %bb.5330:                             ;   in Loop: Header=BB4_4959 Depth=2
	v_bfe_u32 v2, v13, 2, 5
	s_mov_b32 s41, exec_lo
	s_delay_alu instid0(VALU_DEP_1)
	v_cmpx_eq_u32_e32 0, v2
; %bb.5331:                             ;   in Loop: Header=BB4_4959 Depth=2
	v_clz_i32_u32_e32 v2, v3
	s_delay_alu instid0(VALU_DEP_1) | instskip(NEXT) | instid1(VALU_DEP_1)
	v_min_u32_e32 v2, 32, v2
	v_subrev_nc_u32_e32 v3, 29, v2
	v_sub_nc_u32_e32 v2, 30, v2
	s_delay_alu instid0(VALU_DEP_2) | instskip(NEXT) | instid1(VALU_DEP_1)
	v_lshlrev_b64_e32 v[10:11], v3, v[36:37]
	v_and_b32_e32 v3, 3, v10
; %bb.5332:                             ;   in Loop: Header=BB4_4959 Depth=2
	s_or_b32 exec_lo, exec_lo, s41
	v_lshlrev_b32_e32 v10, 24, v13
	s_delay_alu instid0(VALU_DEP_1) | instskip(NEXT) | instid1(VALU_DEP_1)
	v_and_b32_e32 v10, 0x80000000, v10
	v_lshl_add_u32 v2, v2, 23, v10
	s_delay_alu instid0(VALU_DEP_1) | instskip(NEXT) | instid1(VALU_DEP_1)
	v_lshl_or_b32 v2, v3, 21, v2
                                        ; implicit-def: $vgpr3
	v_add_nc_u32_e32 v2, 0x38000000, v2
.LBB4_5333:                             ;   in Loop: Header=BB4_4959 Depth=2
	s_and_not1_saveexec_b32 s40, s40
; %bb.5334:                             ;   in Loop: Header=BB4_4959 Depth=2
	v_bfe_i32 v2, v13, 0, 8
	s_delay_alu instid0(VALU_DEP_1) | instskip(SKIP_2) | instid1(VALU_DEP_2)
	v_cmp_lt_i16_e32 vcc_lo, -1, v2
	v_cndmask_b32_e32 v2, 0xff800000, v109, vcc_lo
	v_cmp_eq_u32_e32 vcc_lo, 0, v3
	v_cndmask_b32_e32 v2, 0x7f800001, v2, vcc_lo
; %bb.5335:                             ;   in Loop: Header=BB4_4959 Depth=2
	s_or_b32 exec_lo, exec_lo, s40
.LBB4_5336:                             ;   in Loop: Header=BB4_4959 Depth=2
	s_delay_alu instid0(SALU_CYCLE_1)
	s_or_b32 exec_lo, exec_lo, s29
.LBB4_5337:                             ;   in Loop: Header=BB4_4959 Depth=2
	s_delay_alu instid0(SALU_CYCLE_1) | instskip(NEXT) | instid1(VALU_DEP_1)
	s_or_b32 exec_lo, exec_lo, s7
	v_dual_mul_f32 v3, s28, v2 :: v_dual_mov_b32 v15, v37
	v_mov_b32_e32 v11, v37
                                        ; implicit-def: $vgpr42
	s_mov_b32 s7, exec_lo
	s_delay_alu instid0(VALU_DEP_2) | instskip(SKIP_2) | instid1(VALU_DEP_3)
	v_and_b32_e32 v14, 0x7f800000, v3
	v_and_b32_e32 v10, 0x7fffff, v3
	v_lshrrev_b32_e32 v2, 24, v3
	v_cmpx_ne_u64_e32 0x7f800000, v[14:15]
	s_xor_b32 s29, exec_lo, s7
	s_cbranch_execz .LBB4_5351
; %bb.5338:                             ;   in Loop: Header=BB4_4959 Depth=2
	v_and_b32_e32 v14, 0x7fffffff, v3
	v_mov_b32_e32 v15, v37
	v_and_b32_e32 v2, 0x80, v2
                                        ; implicit-def: $vgpr42
	s_mov_b32 s7, exec_lo
	s_delay_alu instid0(VALU_DEP_2)
	v_cmpx_gt_u64_e32 0x47600001, v[14:15]
	s_xor_b32 s40, exec_lo, s7
	s_cbranch_execz .LBB4_5348
; %bb.5339:                             ;   in Loop: Header=BB4_4959 Depth=2
	v_mov_b32_e32 v42, 0
	s_mov_b32 s41, exec_lo
	v_cmpx_ne_u32_e32 0, v3
	s_cbranch_execz .LBB4_5347
; %bb.5340:                             ;   in Loop: Header=BB4_4959 Depth=2
	v_bfe_u32 v3, v3, 23, 8
	v_or_b32_e32 v17, 0x800000, v10
	s_delay_alu instid0(VALU_DEP_2) | instskip(SKIP_1) | instid1(VALU_DEP_2)
	v_sub_nc_u32_e32 v14, 0x71, v3
	v_cmp_gt_u32_e32 vcc_lo, 0x72, v3
	v_cndmask_b32_e32 v14, 0, v14, vcc_lo
	v_cmp_eq_u32_e32 vcc_lo, 0, v3
	s_delay_alu instid0(VALU_DEP_2) | instskip(NEXT) | instid1(VALU_DEP_1)
	v_cndmask_b32_e64 v16, v14, 0x70, vcc_lo
	v_dual_cndmask_b32 v10, v17, v10, vcc_lo :: v_dual_add_nc_u32 v14, 21, v16
	v_add_nc_u32_e32 v20, 20, v16
	s_delay_alu instid0(VALU_DEP_2) | instskip(NEXT) | instid1(VALU_DEP_2)
	v_lshlrev_b64_e64 v[14:15], v14, -1
	v_lshlrev_b64_e64 v[20:21], v20, 1
	s_delay_alu instid0(VALU_DEP_2) | instskip(SKIP_1) | instid1(VALU_DEP_4)
	v_bfi_b32 v14, v14, 0, v10
	v_lshrrev_b64 v[10:11], v16, v[10:11]
	v_bfi_b32 v15, v15, 0, 0
	s_delay_alu instid0(VALU_DEP_1) | instskip(NEXT) | instid1(VALU_DEP_3)
	v_cmp_eq_u64_e64 s7, v[14:15], v[20:21]
	v_mov_b64_e32 v[14:15], v[10:11]
	s_and_saveexec_b32 s42, s7
; %bb.5341:                             ;   in Loop: Header=BB4_4959 Depth=2
	v_bfe_u32 v14, v10, 21, 1
	v_mov_b32_e32 v15, v37
	s_delay_alu instid0(VALU_DEP_1) | instskip(NEXT) | instid1(VALU_DEP_1)
	v_add_nc_u64_e32 v[14:15], v[10:11], v[14:15]
	v_add_nc_u64_e32 v[14:15], -1, v[14:15]
; %bb.5342:                             ;   in Loop: Header=BB4_4959 Depth=2
	s_or_b32 exec_lo, exec_lo, s42
	v_add_nc_u32_e32 v3, 0xffffff81, v3
	v_lshrrev_b32_e32 v11, 23, v10
	s_mov_b32 s7, exec_lo
	s_delay_alu instid0(VALU_DEP_2) | instskip(NEXT) | instid1(VALU_DEP_1)
	v_cndmask_b32_e64 v3, v3, 0xffffff82, vcc_lo
	v_add3_u32 v15, v16, v3, v11
	v_and_b32_e32 v3, 0x1fffff, v14
	s_delay_alu instid0(VALU_DEP_2) | instskip(NEXT) | instid1(VALU_DEP_2)
	v_dual_mov_b32 v11, v37 :: v_dual_add_nc_u32 v14, 14, v15
	v_add_nc_u32_e32 v10, v3, v10
                                        ; implicit-def: $vgpr3
	s_delay_alu instid0(VALU_DEP_2)
	v_cmpx_ne_u32_e32 0, v14
	s_xor_b32 s7, exec_lo, s7
; %bb.5343:                             ;   in Loop: Header=BB4_4959 Depth=2
	s_delay_alu instid0(VALU_DEP_2) | instskip(SKIP_1) | instid1(VALU_DEP_1)
	v_cmp_lt_u64_e32 vcc_lo, 0xffffff, v[10:11]
	v_add_nc_u32_e32 v3, 15, v15
	v_cndmask_b32_e32 v3, v14, v3, vcc_lo
	v_cndmask_b32_e64 v14, 0, 1, vcc_lo
	s_delay_alu instid0(VALU_DEP_1)
	v_lshrrev_b64 v[10:11], v14, v[10:11]
; %bb.5344:                             ;   in Loop: Header=BB4_4959 Depth=2
	s_and_not1_saveexec_b32 s7, s7
; %bb.5345:                             ;   in Loop: Header=BB4_4959 Depth=2
	s_delay_alu instid0(VALU_DEP_1)
	v_bfe_u32 v3, v10, 23, 1
; %bb.5346:                             ;   in Loop: Header=BB4_4959 Depth=2
	s_or_b32 exec_lo, exec_lo, s7
	s_delay_alu instid0(VALU_DEP_2) | instskip(NEXT) | instid1(VALU_DEP_2)
	v_lshrrev_b64 v[10:11], 21, v[10:11]
	v_cmp_gt_i32_e32 vcc_lo, 32, v3
	v_min_i32_e32 v14, 31, v3
	v_cmp_eq_u32_e64 s7, 0, v3
	s_delay_alu instid0(VALU_DEP_4) | instskip(NEXT) | instid1(VALU_DEP_3)
	v_cndmask_b32_e32 v10, 3, v10, vcc_lo
	v_dual_cndmask_b32 v11, 0, v11 :: v_dual_lshlrev_b32 v14, 2, v14
	s_delay_alu instid0(VALU_DEP_1) | instskip(NEXT) | instid1(VALU_DEP_2)
	v_and_b32_e32 v14, 0xfc, v14
	v_cmp_eq_u64_e32 vcc_lo, 0, v[10:11]
	s_delay_alu instid0(VALU_DEP_2)
	v_and_or_b32 v3, v10, 3, v14
	s_and_b32 s7, s7, vcc_lo
	s_delay_alu instid0(VALU_DEP_1) | instid1(SALU_CYCLE_1)
	v_cndmask_b32_e64 v3, v3, 0, s7
	s_delay_alu instid0(VALU_DEP_1)
	v_or_b32_e32 v42, v3, v2
.LBB4_5347:                             ;   in Loop: Header=BB4_4959 Depth=2
	s_or_b32 exec_lo, exec_lo, s41
                                        ; implicit-def: $vgpr2
.LBB4_5348:                             ;   in Loop: Header=BB4_4959 Depth=2
	s_and_not1_saveexec_b32 s7, s40
; %bb.5349:                             ;   in Loop: Header=BB4_4959 Depth=2
	v_or_b32_e32 v42, 0x7b, v2
; %bb.5350:                             ;   in Loop: Header=BB4_4959 Depth=2
	s_or_b32 exec_lo, exec_lo, s7
                                        ; implicit-def: $vgpr3
                                        ; implicit-def: $vgpr10_vgpr11
                                        ; implicit-def: $vgpr2
.LBB4_5351:                             ;   in Loop: Header=BB4_4959 Depth=2
	s_and_not1_saveexec_b32 s7, s29
	s_cbranch_execz .LBB4_5357
; %bb.5352:                             ;   in Loop: Header=BB4_4959 Depth=2
	s_mov_b32 s29, exec_lo
                                        ; implicit-def: $vgpr42
	v_cmpx_ne_u64_e32 0, v[10:11]
	s_xor_b32 s29, exec_lo, s29
; %bb.5353:                             ;   in Loop: Header=BB4_4959 Depth=2
	v_or_b32_e32 v42, 0x7f, v2
                                        ; implicit-def: $vgpr3
; %bb.5354:                             ;   in Loop: Header=BB4_4959 Depth=2
	s_and_not1_saveexec_b32 s29, s29
; %bb.5355:                             ;   in Loop: Header=BB4_4959 Depth=2
	v_cmp_lt_i32_e32 vcc_lo, -1, v3
	v_cndmask_b32_e32 v42, 0xfc, v110, vcc_lo
; %bb.5356:                             ;   in Loop: Header=BB4_4959 Depth=2
	s_or_b32 exec_lo, exec_lo, s29
.LBB4_5357:                             ;   in Loop: Header=BB4_4959 Depth=2
	s_delay_alu instid0(SALU_CYCLE_1) | instskip(SKIP_3) | instid1(VALU_DEP_2)
	s_or_b32 exec_lo, exec_lo, s7
	v_lshrrev_b16 v10, 8, v36
	v_mov_b32_e32 v3, 0
	s_mov_b32 s7, exec_lo
	v_cmpx_ne_u16_e32 0, v10
	s_cbranch_execz .LBB4_5367
; %bb.5358:                             ;   in Loop: Header=BB4_4959 Depth=2
	v_bfrev_b32_e32 v3, 1
	s_mov_b32 s29, exec_lo
	v_cmpx_ne_u16_e32 0x80, v10
	s_cbranch_execz .LBB4_5366
; %bb.5359:                             ;   in Loop: Header=BB4_4959 Depth=2
	v_and_b32_e32 v11, 0xffff, v10
	s_delay_alu instid0(VALU_DEP_1) | instskip(SKIP_1) | instid1(VALU_DEP_2)
	v_and_b32_e32 v3, 0x7c, v11
	v_and_b32_e32 v2, 3, v11
	v_cmp_ne_u32_e32 vcc_lo, 0x7c, v3
                                        ; implicit-def: $vgpr3
	s_and_saveexec_b32 s40, vcc_lo
	s_delay_alu instid0(SALU_CYCLE_1)
	s_xor_b32 s40, exec_lo, s40
	s_cbranch_execz .LBB4_5363
; %bb.5360:                             ;   in Loop: Header=BB4_4959 Depth=2
	v_bfe_u32 v3, v11, 2, 5
	s_mov_b32 s41, exec_lo
	s_delay_alu instid0(VALU_DEP_1)
	v_cmpx_eq_u32_e32 0, v3
	s_cbranch_execz .LBB4_5362
; %bb.5361:                             ;   in Loop: Header=BB4_4959 Depth=2
	v_clz_i32_u32_e32 v2, v2
	s_delay_alu instid0(VALU_DEP_1) | instskip(SKIP_1) | instid1(VALU_DEP_2)
	v_min_u32_e32 v14, 32, v2
	v_mov_b32_e32 v11, v37
	v_subrev_nc_u32_e32 v2, 29, v14
	s_delay_alu instid0(VALU_DEP_1) | instskip(SKIP_1) | instid1(VALU_DEP_2)
	v_lshlrev_b64_e32 v[2:3], v2, v[10:11]
	v_sub_nc_u32_e32 v3, 30, v14
	v_and_b32_e32 v2, 3, v2
.LBB4_5362:                             ;   in Loop: Header=BB4_4959 Depth=2
	s_or_b32 exec_lo, exec_lo, s41
	v_lshlrev_b32_e32 v10, 16, v36
	s_delay_alu instid0(VALU_DEP_1) | instskip(NEXT) | instid1(VALU_DEP_1)
	v_and_b32_e32 v10, 0x80000000, v10
	v_lshl_add_u32 v3, v3, 23, v10
	s_delay_alu instid0(VALU_DEP_1) | instskip(NEXT) | instid1(VALU_DEP_1)
	v_lshl_or_b32 v2, v2, 21, v3
	v_add_nc_u32_e32 v3, 0x38000000, v2
                                        ; implicit-def: $vgpr2
.LBB4_5363:                             ;   in Loop: Header=BB4_4959 Depth=2
	s_and_not1_saveexec_b32 s40, s40
; %bb.5364:                             ;   in Loop: Header=BB4_4959 Depth=2
	v_cmp_lt_i16_e32 vcc_lo, -1, v36
	v_cndmask_b32_e32 v3, 0xff800000, v109, vcc_lo
	v_cmp_eq_u32_e32 vcc_lo, 0, v2
	s_delay_alu instid0(VALU_DEP_2)
	v_cndmask_b32_e32 v3, 0x7f800001, v3, vcc_lo
; %bb.5365:                             ;   in Loop: Header=BB4_4959 Depth=2
	s_or_b32 exec_lo, exec_lo, s40
.LBB4_5366:                             ;   in Loop: Header=BB4_4959 Depth=2
	s_delay_alu instid0(SALU_CYCLE_1)
	s_or_b32 exec_lo, exec_lo, s29
.LBB4_5367:                             ;   in Loop: Header=BB4_4959 Depth=2
	s_delay_alu instid0(SALU_CYCLE_1) | instskip(NEXT) | instid1(VALU_DEP_1)
	s_or_b32 exec_lo, exec_lo, s7
	v_dual_mul_f32 v3, s28, v3 :: v_dual_mov_b32 v11, v37
                                        ; implicit-def: $vgpr47
	s_mov_b32 s7, exec_lo
	s_delay_alu instid0(VALU_DEP_1) | instskip(SKIP_2) | instid1(VALU_DEP_3)
	v_and_b32_e32 v10, 0x7f800000, v3
	v_and_b32_e32 v36, 0x7fffff, v3
	v_lshrrev_b32_e32 v2, 24, v3
	v_cmpx_ne_u64_e32 0x7f800000, v[10:11]
	s_xor_b32 s29, exec_lo, s7
	s_cbranch_execz .LBB4_5381
; %bb.5368:                             ;   in Loop: Header=BB4_4959 Depth=2
	v_and_b32_e32 v10, 0x7fffffff, v3
	v_mov_b32_e32 v11, v37
	v_and_b32_e32 v2, 0x80, v2
                                        ; implicit-def: $vgpr47
	s_mov_b32 s7, exec_lo
	s_delay_alu instid0(VALU_DEP_2)
	v_cmpx_gt_u64_e32 0x47600001, v[10:11]
	s_xor_b32 s40, exec_lo, s7
	s_cbranch_execz .LBB4_5378
; %bb.5369:                             ;   in Loop: Header=BB4_4959 Depth=2
	v_mov_b32_e32 v47, 0
	s_mov_b32 s41, exec_lo
	v_cmpx_ne_u32_e32 0, v3
	s_cbranch_execz .LBB4_5377
; %bb.5370:                             ;   in Loop: Header=BB4_4959 Depth=2
	v_bfe_u32 v3, v3, 23, 8
	v_or_b32_e32 v14, 0x800000, v36
	s_mov_b32 s42, exec_lo
	s_delay_alu instid0(VALU_DEP_2) | instskip(SKIP_1) | instid1(VALU_DEP_2)
	v_dual_mov_b32 v15, v37 :: v_dual_sub_nc_u32 v10, 0x71, v3
	v_cmp_gt_u32_e32 vcc_lo, 0x72, v3
	v_cndmask_b32_e32 v10, 0, v10, vcc_lo
	v_cmp_eq_u32_e32 vcc_lo, 0, v3
	s_delay_alu instid0(VALU_DEP_2) | instskip(SKIP_1) | instid1(VALU_DEP_2)
	v_cndmask_b32_e64 v16, v10, 0x70, vcc_lo
	v_cndmask_b32_e32 v14, v14, v36, vcc_lo
	v_dual_add_nc_u32 v10, 21, v16 :: v_dual_add_nc_u32 v17, 20, v16
	s_delay_alu instid0(VALU_DEP_1) | instskip(NEXT) | instid1(VALU_DEP_2)
	v_lshlrev_b64_e64 v[10:11], v10, -1
	v_lshlrev_b64_e64 v[20:21], v17, 1
	s_delay_alu instid0(VALU_DEP_2) | instskip(NEXT) | instid1(VALU_DEP_3)
	v_bfi_b32 v25, v11, 0, 0
	v_bfi_b32 v24, v10, 0, v14
	v_lshrrev_b64 v[10:11], v16, v[14:15]
	s_delay_alu instid0(VALU_DEP_1) | instskip(NEXT) | instid1(VALU_DEP_3)
	v_mov_b64_e32 v[14:15], v[10:11]
	v_cmpx_eq_u64_e64 v[24:25], v[20:21]
; %bb.5371:                             ;   in Loop: Header=BB4_4959 Depth=2
	v_bfe_u32 v14, v10, 21, 1
	v_mov_b32_e32 v15, v37
	s_delay_alu instid0(VALU_DEP_1) | instskip(NEXT) | instid1(VALU_DEP_1)
	v_add_nc_u64_e32 v[14:15], v[10:11], v[14:15]
	v_add_nc_u64_e32 v[14:15], -1, v[14:15]
; %bb.5372:                             ;   in Loop: Header=BB4_4959 Depth=2
	s_or_b32 exec_lo, exec_lo, s42
	v_add_nc_u32_e32 v3, 0xffffff81, v3
	v_lshrrev_b32_e32 v11, 23, v10
	s_mov_b32 s7, exec_lo
	s_delay_alu instid0(VALU_DEP_2) | instskip(NEXT) | instid1(VALU_DEP_1)
	v_cndmask_b32_e64 v3, v3, 0xffffff82, vcc_lo
	v_add3_u32 v15, v16, v3, v11
	v_and_b32_e32 v3, 0x1fffff, v14
	s_delay_alu instid0(VALU_DEP_1) | instskip(NEXT) | instid1(VALU_DEP_1)
	v_dual_add_nc_u32 v14, 14, v15 :: v_dual_add_nc_u32 v36, v3, v10
                                        ; implicit-def: $vgpr10_vgpr11
                                        ; implicit-def: $vgpr3
	v_cmpx_ne_u32_e32 0, v14
	s_xor_b32 s7, exec_lo, s7
; %bb.5373:                             ;   in Loop: Header=BB4_4959 Depth=2
	s_delay_alu instid0(VALU_DEP_2) | instskip(SKIP_2) | instid1(VALU_DEP_2)
	v_cmp_lt_u64_e32 vcc_lo, 0xffffff, v[36:37]
	v_add_nc_u32_e32 v3, 15, v15
	v_cndmask_b32_e64 v10, 0, 1, vcc_lo
	v_cndmask_b32_e32 v3, v14, v3, vcc_lo
	s_delay_alu instid0(VALU_DEP_2)
	v_lshrrev_b64 v[10:11], v10, v[36:37]
; %bb.5374:                             ;   in Loop: Header=BB4_4959 Depth=2
	s_and_not1_saveexec_b32 s7, s7
; %bb.5375:                             ;   in Loop: Header=BB4_4959 Depth=2
	v_mov_b64_e32 v[10:11], v[36:37]
	v_bfe_u32 v3, v36, 23, 1
; %bb.5376:                             ;   in Loop: Header=BB4_4959 Depth=2
	s_or_b32 exec_lo, exec_lo, s7
	s_delay_alu instid0(VALU_DEP_2) | instskip(NEXT) | instid1(VALU_DEP_2)
	v_lshrrev_b64 v[10:11], 21, v[10:11]
	v_cmp_gt_i32_e32 vcc_lo, 32, v3
	v_min_i32_e32 v14, 31, v3
	v_cmp_eq_u32_e64 s7, 0, v3
	s_delay_alu instid0(VALU_DEP_4) | instskip(NEXT) | instid1(VALU_DEP_3)
	v_cndmask_b32_e32 v10, 3, v10, vcc_lo
	v_dual_cndmask_b32 v11, 0, v11 :: v_dual_lshlrev_b32 v14, 2, v14
	s_delay_alu instid0(VALU_DEP_1) | instskip(NEXT) | instid1(VALU_DEP_2)
	v_and_b32_e32 v14, 0xfc, v14
	v_cmp_eq_u64_e32 vcc_lo, 0, v[10:11]
	s_delay_alu instid0(VALU_DEP_2)
	v_and_or_b32 v3, v10, 3, v14
	s_and_b32 s7, s7, vcc_lo
	s_delay_alu instid0(VALU_DEP_1) | instid1(SALU_CYCLE_1)
	v_cndmask_b32_e64 v3, v3, 0, s7
	s_delay_alu instid0(VALU_DEP_1)
	v_or_b32_e32 v47, v3, v2
.LBB4_5377:                             ;   in Loop: Header=BB4_4959 Depth=2
	s_or_b32 exec_lo, exec_lo, s41
                                        ; implicit-def: $vgpr2
.LBB4_5378:                             ;   in Loop: Header=BB4_4959 Depth=2
	s_and_not1_saveexec_b32 s7, s40
; %bb.5379:                             ;   in Loop: Header=BB4_4959 Depth=2
	v_or_b32_e32 v47, 0x7b, v2
; %bb.5380:                             ;   in Loop: Header=BB4_4959 Depth=2
	s_or_b32 exec_lo, exec_lo, s7
                                        ; implicit-def: $vgpr3
                                        ; implicit-def: $vgpr2
.LBB4_5381:                             ;   in Loop: Header=BB4_4959 Depth=2
	s_and_not1_saveexec_b32 s7, s29
	s_cbranch_execz .LBB4_5387
; %bb.5382:                             ;   in Loop: Header=BB4_4959 Depth=2
	s_mov_b32 s29, exec_lo
                                        ; implicit-def: $vgpr47
	v_cmpx_ne_u64_e32 0, v[36:37]
	s_xor_b32 s29, exec_lo, s29
; %bb.5383:                             ;   in Loop: Header=BB4_4959 Depth=2
	v_or_b32_e32 v47, 0x7f, v2
                                        ; implicit-def: $vgpr3
; %bb.5384:                             ;   in Loop: Header=BB4_4959 Depth=2
	s_and_not1_saveexec_b32 s29, s29
; %bb.5385:                             ;   in Loop: Header=BB4_4959 Depth=2
	v_cmp_lt_i32_e32 vcc_lo, -1, v3
	v_cndmask_b32_e32 v47, 0xfc, v110, vcc_lo
; %bb.5386:                             ;   in Loop: Header=BB4_4959 Depth=2
	s_or_b32 exec_lo, exec_lo, s29
.LBB4_5387:                             ;   in Loop: Header=BB4_4959 Depth=2
	s_delay_alu instid0(SALU_CYCLE_1) | instskip(SKIP_2) | instid1(VALU_DEP_1)
	s_or_b32 exec_lo, exec_lo, s7
	v_dual_lshrrev_b32 v10, 16, v13 :: v_dual_mov_b32 v2, 0
	s_mov_b32 s7, exec_lo
	v_and_b32_e32 v3, 0xff, v10
	s_delay_alu instid0(VALU_DEP_1)
	v_cmpx_ne_u16_e32 0, v3
	s_cbranch_execz .LBB4_5397
; %bb.5388:                             ;   in Loop: Header=BB4_4959 Depth=2
	v_bfrev_b32_e32 v2, 1
	s_mov_b32 s29, exec_lo
	v_cmpx_ne_u16_e32 0x80, v3
	s_cbranch_execz .LBB4_5396
; %bb.5389:                             ;   in Loop: Header=BB4_4959 Depth=2
	v_and_b32_e32 v2, 0x7c0000, v13
	v_bfe_u32 v3, v13, 16, 2
	s_delay_alu instid0(VALU_DEP_2) | instskip(SKIP_1) | instid1(SALU_CYCLE_1)
	v_cmp_ne_u32_e32 vcc_lo, 0x7c0000, v2
                                        ; implicit-def: $vgpr2
	s_and_saveexec_b32 s40, vcc_lo
	s_xor_b32 s40, exec_lo, s40
	s_cbranch_execz .LBB4_5393
; %bb.5390:                             ;   in Loop: Header=BB4_4959 Depth=2
	v_bfe_u32 v2, v13, 18, 5
	s_mov_b32 s41, exec_lo
	s_delay_alu instid0(VALU_DEP_1)
	v_cmpx_eq_u32_e32 0, v2
; %bb.5391:                             ;   in Loop: Header=BB4_4959 Depth=2
	v_clz_i32_u32_e32 v2, v3
	s_delay_alu instid0(VALU_DEP_1) | instskip(NEXT) | instid1(VALU_DEP_1)
	v_min_u32_e32 v2, 32, v2
	v_subrev_nc_u32_e32 v3, 29, v2
	v_sub_nc_u32_e32 v2, 30, v2
	s_delay_alu instid0(VALU_DEP_2) | instskip(NEXT) | instid1(VALU_DEP_1)
	v_lshlrev_b64_e32 v[14:15], v3, v[10:11]
	v_and_b32_e32 v3, 3, v14
; %bb.5392:                             ;   in Loop: Header=BB4_4959 Depth=2
	s_or_b32 exec_lo, exec_lo, s41
	v_lshlrev_b32_e32 v10, 24, v10
	s_delay_alu instid0(VALU_DEP_1) | instskip(NEXT) | instid1(VALU_DEP_1)
	v_and_b32_e32 v10, 0x80000000, v10
	v_lshl_add_u32 v2, v2, 23, v10
                                        ; implicit-def: $vgpr10
	s_delay_alu instid0(VALU_DEP_1) | instskip(NEXT) | instid1(VALU_DEP_1)
	v_lshl_or_b32 v2, v3, 21, v2
                                        ; implicit-def: $vgpr3
	v_add_nc_u32_e32 v2, 0x38000000, v2
.LBB4_5393:                             ;   in Loop: Header=BB4_4959 Depth=2
	s_and_not1_saveexec_b32 s40, s40
; %bb.5394:                             ;   in Loop: Header=BB4_4959 Depth=2
	v_bfe_i32 v2, v10, 0, 8
	s_delay_alu instid0(VALU_DEP_1) | instskip(SKIP_2) | instid1(VALU_DEP_2)
	v_cmp_lt_i16_e32 vcc_lo, -1, v2
	v_cndmask_b32_e32 v2, 0xff800000, v109, vcc_lo
	v_cmp_eq_u32_e32 vcc_lo, 0, v3
	v_cndmask_b32_e32 v2, 0x7f800001, v2, vcc_lo
; %bb.5395:                             ;   in Loop: Header=BB4_4959 Depth=2
	s_or_b32 exec_lo, exec_lo, s40
.LBB4_5396:                             ;   in Loop: Header=BB4_4959 Depth=2
	s_delay_alu instid0(SALU_CYCLE_1)
	s_or_b32 exec_lo, exec_lo, s29
.LBB4_5397:                             ;   in Loop: Header=BB4_4959 Depth=2
	s_delay_alu instid0(SALU_CYCLE_1) | instskip(NEXT) | instid1(VALU_DEP_1)
	s_or_b32 exec_lo, exec_lo, s7
	v_dual_mul_f32 v3, s28, v2 :: v_dual_mov_b32 v11, v37
                                        ; implicit-def: $vgpr58
	s_mov_b32 s7, exec_lo
	s_delay_alu instid0(VALU_DEP_1) | instskip(SKIP_2) | instid1(VALU_DEP_3)
	v_and_b32_e32 v10, 0x7f800000, v3
	v_and_b32_e32 v36, 0x7fffff, v3
	v_lshrrev_b32_e32 v2, 24, v3
	v_cmpx_ne_u64_e32 0x7f800000, v[10:11]
	s_xor_b32 s29, exec_lo, s7
	s_cbranch_execz .LBB4_5411
; %bb.5398:                             ;   in Loop: Header=BB4_4959 Depth=2
	v_and_b32_e32 v10, 0x7fffffff, v3
	v_mov_b32_e32 v11, v37
	v_and_b32_e32 v2, 0x80, v2
                                        ; implicit-def: $vgpr58
	s_mov_b32 s7, exec_lo
	s_delay_alu instid0(VALU_DEP_2)
	v_cmpx_gt_u64_e32 0x47600001, v[10:11]
	s_xor_b32 s40, exec_lo, s7
	s_cbranch_execz .LBB4_5408
; %bb.5399:                             ;   in Loop: Header=BB4_4959 Depth=2
	v_mov_b32_e32 v58, 0
	s_mov_b32 s41, exec_lo
	v_cmpx_ne_u32_e32 0, v3
	s_cbranch_execz .LBB4_5407
; %bb.5400:                             ;   in Loop: Header=BB4_4959 Depth=2
	v_bfe_u32 v3, v3, 23, 8
	v_or_b32_e32 v14, 0x800000, v36
	s_mov_b32 s42, exec_lo
	s_delay_alu instid0(VALU_DEP_2) | instskip(SKIP_1) | instid1(VALU_DEP_2)
	v_dual_mov_b32 v15, v37 :: v_dual_sub_nc_u32 v10, 0x71, v3
	v_cmp_gt_u32_e32 vcc_lo, 0x72, v3
	v_cndmask_b32_e32 v10, 0, v10, vcc_lo
	v_cmp_eq_u32_e32 vcc_lo, 0, v3
	s_delay_alu instid0(VALU_DEP_2) | instskip(SKIP_1) | instid1(VALU_DEP_2)
	v_cndmask_b32_e64 v16, v10, 0x70, vcc_lo
	v_cndmask_b32_e32 v14, v14, v36, vcc_lo
	v_dual_add_nc_u32 v10, 21, v16 :: v_dual_add_nc_u32 v17, 20, v16
	s_delay_alu instid0(VALU_DEP_1) | instskip(NEXT) | instid1(VALU_DEP_2)
	v_lshlrev_b64_e64 v[10:11], v10, -1
	v_lshlrev_b64_e64 v[20:21], v17, 1
	s_delay_alu instid0(VALU_DEP_2) | instskip(NEXT) | instid1(VALU_DEP_3)
	v_bfi_b32 v25, v11, 0, 0
	v_bfi_b32 v24, v10, 0, v14
	v_lshrrev_b64 v[10:11], v16, v[14:15]
	s_delay_alu instid0(VALU_DEP_1) | instskip(NEXT) | instid1(VALU_DEP_3)
	v_mov_b64_e32 v[14:15], v[10:11]
	v_cmpx_eq_u64_e64 v[24:25], v[20:21]
; %bb.5401:                             ;   in Loop: Header=BB4_4959 Depth=2
	v_bfe_u32 v14, v10, 21, 1
	v_mov_b32_e32 v15, v37
	s_delay_alu instid0(VALU_DEP_1) | instskip(NEXT) | instid1(VALU_DEP_1)
	v_add_nc_u64_e32 v[14:15], v[10:11], v[14:15]
	v_add_nc_u64_e32 v[14:15], -1, v[14:15]
; %bb.5402:                             ;   in Loop: Header=BB4_4959 Depth=2
	s_or_b32 exec_lo, exec_lo, s42
	v_add_nc_u32_e32 v3, 0xffffff81, v3
	v_lshrrev_b32_e32 v11, 23, v10
	s_mov_b32 s7, exec_lo
	s_delay_alu instid0(VALU_DEP_2) | instskip(NEXT) | instid1(VALU_DEP_1)
	v_cndmask_b32_e64 v3, v3, 0xffffff82, vcc_lo
	v_add3_u32 v15, v16, v3, v11
	v_and_b32_e32 v3, 0x1fffff, v14
	s_delay_alu instid0(VALU_DEP_1) | instskip(NEXT) | instid1(VALU_DEP_1)
	v_dual_add_nc_u32 v14, 14, v15 :: v_dual_add_nc_u32 v36, v3, v10
                                        ; implicit-def: $vgpr10_vgpr11
                                        ; implicit-def: $vgpr3
	v_cmpx_ne_u32_e32 0, v14
	s_xor_b32 s7, exec_lo, s7
; %bb.5403:                             ;   in Loop: Header=BB4_4959 Depth=2
	s_delay_alu instid0(VALU_DEP_2) | instskip(SKIP_2) | instid1(VALU_DEP_2)
	v_cmp_lt_u64_e32 vcc_lo, 0xffffff, v[36:37]
	v_add_nc_u32_e32 v3, 15, v15
	v_cndmask_b32_e64 v10, 0, 1, vcc_lo
	v_cndmask_b32_e32 v3, v14, v3, vcc_lo
	s_delay_alu instid0(VALU_DEP_2)
	v_lshrrev_b64 v[10:11], v10, v[36:37]
; %bb.5404:                             ;   in Loop: Header=BB4_4959 Depth=2
	s_and_not1_saveexec_b32 s7, s7
; %bb.5405:                             ;   in Loop: Header=BB4_4959 Depth=2
	v_mov_b64_e32 v[10:11], v[36:37]
	v_bfe_u32 v3, v36, 23, 1
; %bb.5406:                             ;   in Loop: Header=BB4_4959 Depth=2
	s_or_b32 exec_lo, exec_lo, s7
	s_delay_alu instid0(VALU_DEP_2) | instskip(NEXT) | instid1(VALU_DEP_2)
	v_lshrrev_b64 v[10:11], 21, v[10:11]
	v_cmp_gt_i32_e32 vcc_lo, 32, v3
	v_min_i32_e32 v14, 31, v3
	v_cmp_eq_u32_e64 s7, 0, v3
	s_delay_alu instid0(VALU_DEP_4) | instskip(NEXT) | instid1(VALU_DEP_3)
	v_cndmask_b32_e32 v10, 3, v10, vcc_lo
	v_dual_cndmask_b32 v11, 0, v11 :: v_dual_lshlrev_b32 v14, 2, v14
	s_delay_alu instid0(VALU_DEP_1) | instskip(NEXT) | instid1(VALU_DEP_2)
	v_and_b32_e32 v14, 0xfc, v14
	v_cmp_eq_u64_e32 vcc_lo, 0, v[10:11]
	s_delay_alu instid0(VALU_DEP_2)
	v_and_or_b32 v3, v10, 3, v14
	s_and_b32 s7, s7, vcc_lo
	s_delay_alu instid0(VALU_DEP_1) | instid1(SALU_CYCLE_1)
	v_cndmask_b32_e64 v3, v3, 0, s7
	s_delay_alu instid0(VALU_DEP_1)
	v_or_b32_e32 v58, v3, v2
.LBB4_5407:                             ;   in Loop: Header=BB4_4959 Depth=2
	s_or_b32 exec_lo, exec_lo, s41
                                        ; implicit-def: $vgpr2
.LBB4_5408:                             ;   in Loop: Header=BB4_4959 Depth=2
	s_and_not1_saveexec_b32 s7, s40
; %bb.5409:                             ;   in Loop: Header=BB4_4959 Depth=2
	v_or_b32_e32 v58, 0x7b, v2
; %bb.5410:                             ;   in Loop: Header=BB4_4959 Depth=2
	s_or_b32 exec_lo, exec_lo, s7
                                        ; implicit-def: $vgpr3
                                        ; implicit-def: $vgpr2
.LBB4_5411:                             ;   in Loop: Header=BB4_4959 Depth=2
	s_and_not1_saveexec_b32 s7, s29
	s_cbranch_execz .LBB4_5417
; %bb.5412:                             ;   in Loop: Header=BB4_4959 Depth=2
	s_mov_b32 s29, exec_lo
                                        ; implicit-def: $vgpr58
	v_cmpx_ne_u64_e32 0, v[36:37]
	s_xor_b32 s29, exec_lo, s29
; %bb.5413:                             ;   in Loop: Header=BB4_4959 Depth=2
	v_or_b32_e32 v58, 0x7f, v2
                                        ; implicit-def: $vgpr3
; %bb.5414:                             ;   in Loop: Header=BB4_4959 Depth=2
	s_and_not1_saveexec_b32 s29, s29
; %bb.5415:                             ;   in Loop: Header=BB4_4959 Depth=2
	v_cmp_lt_i32_e32 vcc_lo, -1, v3
	v_cndmask_b32_e32 v58, 0xfc, v110, vcc_lo
; %bb.5416:                             ;   in Loop: Header=BB4_4959 Depth=2
	s_or_b32 exec_lo, exec_lo, s29
.LBB4_5417:                             ;   in Loop: Header=BB4_4959 Depth=2
	s_delay_alu instid0(SALU_CYCLE_1)
	s_or_b32 exec_lo, exec_lo, s7
	v_mov_b32_e32 v2, 0
	s_mov_b32 s7, exec_lo
	v_cmpx_lt_u64_e64 s[12:13], v[12:13]
	s_cbranch_execz .LBB4_5427
; %bb.5418:                             ;   in Loop: Header=BB4_4959 Depth=2
	v_lshrrev_b32_e32 v10, 24, v13
	v_bfrev_b32_e32 v2, 1
	s_mov_b32 s29, exec_lo
	s_delay_alu instid0(VALU_DEP_2)
	v_cmpx_ne_u32_e32 0x80, v10
	s_cbranch_execz .LBB4_5426
; %bb.5419:                             ;   in Loop: Header=BB4_4959 Depth=2
	v_and_b32_e32 v2, 0x7c000000, v13
	v_bfe_u32 v3, v13, 24, 2
	s_delay_alu instid0(VALU_DEP_2) | instskip(SKIP_1) | instid1(SALU_CYCLE_1)
	v_cmp_ne_u32_e32 vcc_lo, 0x7c000000, v2
                                        ; implicit-def: $vgpr2
	s_and_saveexec_b32 s40, vcc_lo
	s_xor_b32 s40, exec_lo, s40
	s_cbranch_execz .LBB4_5423
; %bb.5420:                             ;   in Loop: Header=BB4_4959 Depth=2
	v_bfe_u32 v2, v13, 26, 5
	s_mov_b32 s41, exec_lo
	s_delay_alu instid0(VALU_DEP_1)
	v_cmpx_eq_u32_e32 0, v2
; %bb.5421:                             ;   in Loop: Header=BB4_4959 Depth=2
	v_clz_i32_u32_e32 v2, v3
	s_delay_alu instid0(VALU_DEP_1) | instskip(NEXT) | instid1(VALU_DEP_1)
	v_min_u32_e32 v2, 32, v2
	v_subrev_nc_u32_e32 v3, 29, v2
	v_sub_nc_u32_e32 v2, 30, v2
	s_delay_alu instid0(VALU_DEP_2) | instskip(NEXT) | instid1(VALU_DEP_1)
	v_lshlrev_b64_e32 v[10:11], v3, v[10:11]
	v_and_b32_e32 v3, 3, v10
; %bb.5422:                             ;   in Loop: Header=BB4_4959 Depth=2
	s_or_b32 exec_lo, exec_lo, s41
	v_and_b32_e32 v10, 0x80000000, v13
                                        ; implicit-def: $vgpr12_vgpr13
	s_delay_alu instid0(VALU_DEP_1) | instskip(NEXT) | instid1(VALU_DEP_1)
	v_lshl_add_u32 v2, v2, 23, v10
	v_lshl_or_b32 v2, v3, 21, v2
                                        ; implicit-def: $vgpr3
	s_delay_alu instid0(VALU_DEP_1)
	v_add_nc_u32_e32 v2, 0x38000000, v2
.LBB4_5423:                             ;   in Loop: Header=BB4_4959 Depth=2
	s_and_not1_saveexec_b32 s40, s40
; %bb.5424:                             ;   in Loop: Header=BB4_4959 Depth=2
	v_cmp_lt_i64_e32 vcc_lo, -1, v[12:13]
	v_cndmask_b32_e32 v2, 0xff800000, v109, vcc_lo
	v_cmp_eq_u32_e32 vcc_lo, 0, v3
	s_delay_alu instid0(VALU_DEP_2)
	v_cndmask_b32_e32 v2, 0x7f800001, v2, vcc_lo
; %bb.5425:                             ;   in Loop: Header=BB4_4959 Depth=2
	s_or_b32 exec_lo, exec_lo, s40
.LBB4_5426:                             ;   in Loop: Header=BB4_4959 Depth=2
	s_delay_alu instid0(SALU_CYCLE_1)
	s_or_b32 exec_lo, exec_lo, s29
.LBB4_5427:                             ;   in Loop: Header=BB4_4959 Depth=2
	s_delay_alu instid0(SALU_CYCLE_1) | instskip(NEXT) | instid1(VALU_DEP_1)
	s_or_b32 exec_lo, exec_lo, s7
	v_dual_mul_f32 v3, s28, v2 :: v_dual_mov_b32 v11, v37
                                        ; implicit-def: $vgpr60
	s_mov_b32 s7, exec_lo
	s_delay_alu instid0(VALU_DEP_1) | instskip(SKIP_2) | instid1(VALU_DEP_3)
	v_and_b32_e32 v10, 0x7f800000, v3
	v_and_b32_e32 v36, 0x7fffff, v3
	v_lshrrev_b32_e32 v2, 24, v3
	v_cmpx_ne_u64_e32 0x7f800000, v[10:11]
	s_xor_b32 s29, exec_lo, s7
	s_cbranch_execz .LBB4_5441
; %bb.5428:                             ;   in Loop: Header=BB4_4959 Depth=2
	v_and_b32_e32 v10, 0x7fffffff, v3
	v_mov_b32_e32 v11, v37
	v_and_b32_e32 v2, 0x80, v2
                                        ; implicit-def: $vgpr60
	s_mov_b32 s7, exec_lo
	s_delay_alu instid0(VALU_DEP_2)
	v_cmpx_gt_u64_e32 0x47600001, v[10:11]
	s_xor_b32 s40, exec_lo, s7
	s_cbranch_execz .LBB4_5438
; %bb.5429:                             ;   in Loop: Header=BB4_4959 Depth=2
	v_mov_b32_e32 v60, 0
	s_mov_b32 s41, exec_lo
	v_cmpx_ne_u32_e32 0, v3
	s_cbranch_execz .LBB4_5437
; %bb.5430:                             ;   in Loop: Header=BB4_4959 Depth=2
	v_bfe_u32 v3, v3, 23, 8
	v_or_b32_e32 v12, 0x800000, v36
	s_mov_b32 s42, exec_lo
	s_delay_alu instid0(VALU_DEP_2) | instskip(SKIP_1) | instid1(VALU_DEP_2)
	v_dual_mov_b32 v13, v37 :: v_dual_sub_nc_u32 v10, 0x71, v3
	v_cmp_gt_u32_e32 vcc_lo, 0x72, v3
	v_cndmask_b32_e32 v10, 0, v10, vcc_lo
	v_cmp_eq_u32_e32 vcc_lo, 0, v3
	v_cndmask_b32_e32 v12, v12, v36, vcc_lo
	s_delay_alu instid0(VALU_DEP_3) | instskip(NEXT) | instid1(VALU_DEP_1)
	v_cndmask_b32_e64 v14, v10, 0x70, vcc_lo
	v_dual_add_nc_u32 v10, 21, v14 :: v_dual_add_nc_u32 v15, 20, v14
	s_delay_alu instid0(VALU_DEP_1) | instskip(NEXT) | instid1(VALU_DEP_2)
	v_lshlrev_b64_e64 v[10:11], v10, -1
	v_lshlrev_b64_e64 v[16:17], v15, 1
	s_delay_alu instid0(VALU_DEP_2) | instskip(NEXT) | instid1(VALU_DEP_3)
	v_bfi_b32 v21, v11, 0, 0
	v_bfi_b32 v20, v10, 0, v12
	v_lshrrev_b64 v[10:11], v14, v[12:13]
	s_delay_alu instid0(VALU_DEP_1) | instskip(NEXT) | instid1(VALU_DEP_3)
	v_mov_b64_e32 v[12:13], v[10:11]
	v_cmpx_eq_u64_e64 v[20:21], v[16:17]
; %bb.5431:                             ;   in Loop: Header=BB4_4959 Depth=2
	v_bfe_u32 v12, v10, 21, 1
	v_mov_b32_e32 v13, v37
	s_delay_alu instid0(VALU_DEP_1) | instskip(NEXT) | instid1(VALU_DEP_1)
	v_add_nc_u64_e32 v[12:13], v[10:11], v[12:13]
	v_add_nc_u64_e32 v[12:13], -1, v[12:13]
; %bb.5432:                             ;   in Loop: Header=BB4_4959 Depth=2
	s_or_b32 exec_lo, exec_lo, s42
	v_add_nc_u32_e32 v3, 0xffffff81, v3
	v_lshrrev_b32_e32 v11, 23, v10
	s_mov_b32 s7, exec_lo
	s_delay_alu instid0(VALU_DEP_2) | instskip(NEXT) | instid1(VALU_DEP_1)
	v_cndmask_b32_e64 v3, v3, 0xffffff82, vcc_lo
	v_add3_u32 v13, v14, v3, v11
	v_and_b32_e32 v3, 0x1fffff, v12
	s_delay_alu instid0(VALU_DEP_1) | instskip(NEXT) | instid1(VALU_DEP_1)
	v_dual_add_nc_u32 v12, 14, v13 :: v_dual_add_nc_u32 v36, v3, v10
                                        ; implicit-def: $vgpr10_vgpr11
                                        ; implicit-def: $vgpr3
	v_cmpx_ne_u32_e32 0, v12
	s_xor_b32 s7, exec_lo, s7
; %bb.5433:                             ;   in Loop: Header=BB4_4959 Depth=2
	s_delay_alu instid0(VALU_DEP_2) | instskip(SKIP_2) | instid1(VALU_DEP_2)
	v_cmp_lt_u64_e32 vcc_lo, 0xffffff, v[36:37]
	v_add_nc_u32_e32 v3, 15, v13
	v_cndmask_b32_e64 v10, 0, 1, vcc_lo
	v_cndmask_b32_e32 v3, v12, v3, vcc_lo
	s_delay_alu instid0(VALU_DEP_2)
	v_lshrrev_b64 v[10:11], v10, v[36:37]
; %bb.5434:                             ;   in Loop: Header=BB4_4959 Depth=2
	s_and_not1_saveexec_b32 s7, s7
; %bb.5435:                             ;   in Loop: Header=BB4_4959 Depth=2
	v_mov_b64_e32 v[10:11], v[36:37]
	v_bfe_u32 v3, v36, 23, 1
; %bb.5436:                             ;   in Loop: Header=BB4_4959 Depth=2
	s_or_b32 exec_lo, exec_lo, s7
	s_delay_alu instid0(VALU_DEP_2) | instskip(NEXT) | instid1(VALU_DEP_2)
	v_lshrrev_b64 v[10:11], 21, v[10:11]
	v_cmp_gt_i32_e32 vcc_lo, 32, v3
	v_min_i32_e32 v12, 31, v3
	v_cmp_eq_u32_e64 s7, 0, v3
	s_delay_alu instid0(VALU_DEP_2) | instskip(SKIP_1) | instid1(VALU_DEP_2)
	v_dual_cndmask_b32 v10, 3, v10, vcc_lo :: v_dual_lshlrev_b32 v12, 2, v12
	v_cndmask_b32_e32 v11, 0, v11, vcc_lo
	v_and_b32_e32 v12, 0xfc, v12
	s_delay_alu instid0(VALU_DEP_2) | instskip(NEXT) | instid1(VALU_DEP_2)
	v_cmp_eq_u64_e32 vcc_lo, 0, v[10:11]
	v_and_or_b32 v3, v10, 3, v12
	s_and_b32 s7, s7, vcc_lo
	s_delay_alu instid0(VALU_DEP_1) | instid1(SALU_CYCLE_1)
	v_cndmask_b32_e64 v3, v3, 0, s7
	s_delay_alu instid0(VALU_DEP_1)
	v_or_b32_e32 v60, v3, v2
.LBB4_5437:                             ;   in Loop: Header=BB4_4959 Depth=2
	s_or_b32 exec_lo, exec_lo, s41
                                        ; implicit-def: $vgpr2
.LBB4_5438:                             ;   in Loop: Header=BB4_4959 Depth=2
	s_and_not1_saveexec_b32 s7, s40
; %bb.5439:                             ;   in Loop: Header=BB4_4959 Depth=2
	v_or_b32_e32 v60, 0x7b, v2
; %bb.5440:                             ;   in Loop: Header=BB4_4959 Depth=2
	s_or_b32 exec_lo, exec_lo, s7
                                        ; implicit-def: $vgpr3
                                        ; implicit-def: $vgpr2
.LBB4_5441:                             ;   in Loop: Header=BB4_4959 Depth=2
	s_and_not1_saveexec_b32 s7, s29
	s_cbranch_execz .LBB4_5447
; %bb.5442:                             ;   in Loop: Header=BB4_4959 Depth=2
	s_mov_b32 s29, exec_lo
                                        ; implicit-def: $vgpr60
	v_cmpx_ne_u64_e32 0, v[36:37]
	s_xor_b32 s29, exec_lo, s29
; %bb.5443:                             ;   in Loop: Header=BB4_4959 Depth=2
	v_or_b32_e32 v60, 0x7f, v2
                                        ; implicit-def: $vgpr3
; %bb.5444:                             ;   in Loop: Header=BB4_4959 Depth=2
	s_and_not1_saveexec_b32 s29, s29
; %bb.5445:                             ;   in Loop: Header=BB4_4959 Depth=2
	v_cmp_lt_i32_e32 vcc_lo, -1, v3
	v_cndmask_b32_e32 v60, 0xfc, v110, vcc_lo
; %bb.5446:                             ;   in Loop: Header=BB4_4959 Depth=2
	s_or_b32 exec_lo, exec_lo, s29
.LBB4_5447:                             ;   in Loop: Header=BB4_4959 Depth=2
	s_delay_alu instid0(SALU_CYCLE_1) | instskip(SKIP_3) | instid1(VALU_DEP_1)
	s_or_b32 exec_lo, exec_lo, s7
	global_load_b128 v[10:13], v[80:81], off offset:512 th:TH_LOAD_NT
	s_wait_loadcnt 0x0
	v_and_b32_e32 v2, 0xff, v10
	v_cmp_ne_u16_e32 vcc_lo, 0, v2
	v_mov_b32_e32 v2, 0
	s_wait_xcnt 0x0
	s_and_saveexec_b32 s7, vcc_lo
	s_cbranch_execz .LBB4_5457
; %bb.5448:                             ;   in Loop: Header=BB4_4959 Depth=2
	v_bfe_i32 v14, v10, 0, 8
	v_bfrev_b32_e32 v2, 1
	s_mov_b32 s29, exec_lo
	s_delay_alu instid0(VALU_DEP_2)
	v_cmpx_ne_u16_e32 0xff80, v14
	s_cbranch_execz .LBB4_5456
; %bb.5449:                             ;   in Loop: Header=BB4_4959 Depth=2
	v_and_b32_e32 v2, 0x7c, v10
	v_and_b32_e32 v3, 3, v10
	s_delay_alu instid0(VALU_DEP_2) | instskip(SKIP_1) | instid1(SALU_CYCLE_1)
	v_cmp_ne_u32_e32 vcc_lo, 0x7c, v2
                                        ; implicit-def: $vgpr2
	s_and_saveexec_b32 s40, vcc_lo
	s_xor_b32 s40, exec_lo, s40
	s_cbranch_execz .LBB4_5453
; %bb.5450:                             ;   in Loop: Header=BB4_4959 Depth=2
	v_bfe_u32 v2, v10, 2, 5
	s_mov_b32 s41, exec_lo
	s_delay_alu instid0(VALU_DEP_1)
	v_cmpx_eq_u32_e32 0, v2
; %bb.5451:                             ;   in Loop: Header=BB4_4959 Depth=2
	v_clz_i32_u32_e32 v2, v3
	s_delay_alu instid0(VALU_DEP_1) | instskip(NEXT) | instid1(VALU_DEP_1)
	v_min_u32_e32 v2, 32, v2
	v_subrev_nc_u32_e32 v3, 29, v2
	v_sub_nc_u32_e32 v2, 30, v2
	s_delay_alu instid0(VALU_DEP_2) | instskip(NEXT) | instid1(VALU_DEP_1)
	v_lshlrev_b64_e32 v[14:15], v3, v[10:11]
	v_and_b32_e32 v3, 3, v14
; %bb.5452:                             ;   in Loop: Header=BB4_4959 Depth=2
	s_or_b32 exec_lo, exec_lo, s41
	v_lshlrev_b32_e32 v14, 24, v10
	s_delay_alu instid0(VALU_DEP_1) | instskip(NEXT) | instid1(VALU_DEP_1)
	v_and_b32_e32 v14, 0x80000000, v14
	v_lshl_add_u32 v2, v2, 23, v14
                                        ; implicit-def: $vgpr14
	s_delay_alu instid0(VALU_DEP_1) | instskip(NEXT) | instid1(VALU_DEP_1)
	v_lshl_or_b32 v2, v3, 21, v2
                                        ; implicit-def: $vgpr3
	v_add_nc_u32_e32 v2, 0x38000000, v2
.LBB4_5453:                             ;   in Loop: Header=BB4_4959 Depth=2
	s_and_not1_saveexec_b32 s40, s40
; %bb.5454:                             ;   in Loop: Header=BB4_4959 Depth=2
	v_cmp_lt_i16_e32 vcc_lo, -1, v14
	v_cndmask_b32_e32 v2, 0xff800000, v109, vcc_lo
	v_cmp_eq_u32_e32 vcc_lo, 0, v3
	s_delay_alu instid0(VALU_DEP_2)
	v_cndmask_b32_e32 v2, 0x7f800001, v2, vcc_lo
; %bb.5455:                             ;   in Loop: Header=BB4_4959 Depth=2
	s_or_b32 exec_lo, exec_lo, s40
.LBB4_5456:                             ;   in Loop: Header=BB4_4959 Depth=2
	s_delay_alu instid0(SALU_CYCLE_1)
	s_or_b32 exec_lo, exec_lo, s29
.LBB4_5457:                             ;   in Loop: Header=BB4_4959 Depth=2
	s_delay_alu instid0(SALU_CYCLE_1) | instskip(NEXT) | instid1(VALU_DEP_1)
	s_or_b32 exec_lo, exec_lo, s7
	v_dual_mul_f32 v3, s28, v2 :: v_dual_mov_b32 v15, v37
                                        ; implicit-def: $vgpr117
	s_mov_b32 s7, exec_lo
	s_delay_alu instid0(VALU_DEP_1) | instskip(SKIP_2) | instid1(VALU_DEP_3)
	v_and_b32_e32 v14, 0x7f800000, v3
	v_and_b32_e32 v36, 0x7fffff, v3
	v_lshrrev_b32_e32 v2, 24, v3
	v_cmpx_ne_u64_e32 0x7f800000, v[14:15]
	s_xor_b32 s29, exec_lo, s7
	s_cbranch_execz .LBB4_5471
; %bb.5458:                             ;   in Loop: Header=BB4_4959 Depth=2
	v_and_b32_e32 v14, 0x7fffffff, v3
	v_mov_b32_e32 v15, v37
	v_and_b32_e32 v2, 0x80, v2
                                        ; implicit-def: $vgpr117
	s_mov_b32 s7, exec_lo
	s_delay_alu instid0(VALU_DEP_2)
	v_cmpx_gt_u64_e32 0x47600001, v[14:15]
	s_xor_b32 s40, exec_lo, s7
	s_cbranch_execz .LBB4_5468
; %bb.5459:                             ;   in Loop: Header=BB4_4959 Depth=2
	v_mov_b32_e32 v117, 0
	s_mov_b32 s41, exec_lo
	v_cmpx_ne_u32_e32 0, v3
	s_cbranch_execz .LBB4_5467
; %bb.5460:                             ;   in Loop: Header=BB4_4959 Depth=2
	v_bfe_u32 v3, v3, 23, 8
	v_or_b32_e32 v16, 0x800000, v36
	s_mov_b32 s42, exec_lo
	s_delay_alu instid0(VALU_DEP_2) | instskip(SKIP_1) | instid1(VALU_DEP_2)
	v_dual_mov_b32 v17, v37 :: v_dual_sub_nc_u32 v14, 0x71, v3
	v_cmp_gt_u32_e32 vcc_lo, 0x72, v3
	v_cndmask_b32_e32 v14, 0, v14, vcc_lo
	v_cmp_eq_u32_e32 vcc_lo, 0, v3
	s_delay_alu instid0(VALU_DEP_2) | instskip(SKIP_1) | instid1(VALU_DEP_2)
	v_cndmask_b32_e64 v20, v14, 0x70, vcc_lo
	v_cndmask_b32_e32 v16, v16, v36, vcc_lo
	v_dual_add_nc_u32 v14, 21, v20 :: v_dual_add_nc_u32 v21, 20, v20
	s_delay_alu instid0(VALU_DEP_1) | instskip(NEXT) | instid1(VALU_DEP_2)
	v_lshlrev_b64_e64 v[14:15], v14, -1
	v_lshlrev_b64_e64 v[24:25], v21, 1
	s_delay_alu instid0(VALU_DEP_2) | instskip(NEXT) | instid1(VALU_DEP_3)
	v_bfi_b32 v97, v15, 0, 0
	v_bfi_b32 v96, v14, 0, v16
	v_lshrrev_b64 v[14:15], v20, v[16:17]
	s_delay_alu instid0(VALU_DEP_1) | instskip(NEXT) | instid1(VALU_DEP_3)
	v_mov_b64_e32 v[16:17], v[14:15]
	v_cmpx_eq_u64_e64 v[96:97], v[24:25]
; %bb.5461:                             ;   in Loop: Header=BB4_4959 Depth=2
	v_bfe_u32 v16, v14, 21, 1
	v_mov_b32_e32 v17, v37
	s_delay_alu instid0(VALU_DEP_1) | instskip(NEXT) | instid1(VALU_DEP_1)
	v_add_nc_u64_e32 v[16:17], v[14:15], v[16:17]
	v_add_nc_u64_e32 v[16:17], -1, v[16:17]
; %bb.5462:                             ;   in Loop: Header=BB4_4959 Depth=2
	s_or_b32 exec_lo, exec_lo, s42
	v_add_nc_u32_e32 v3, 0xffffff81, v3
	v_lshrrev_b32_e32 v15, 23, v14
	s_mov_b32 s7, exec_lo
	s_delay_alu instid0(VALU_DEP_2) | instskip(NEXT) | instid1(VALU_DEP_1)
	v_cndmask_b32_e64 v3, v3, 0xffffff82, vcc_lo
	v_add3_u32 v17, v20, v3, v15
	v_and_b32_e32 v3, 0x1fffff, v16
	s_delay_alu instid0(VALU_DEP_1) | instskip(NEXT) | instid1(VALU_DEP_1)
	v_dual_add_nc_u32 v16, 14, v17 :: v_dual_add_nc_u32 v36, v3, v14
                                        ; implicit-def: $vgpr14_vgpr15
                                        ; implicit-def: $vgpr3
	v_cmpx_ne_u32_e32 0, v16
	s_xor_b32 s7, exec_lo, s7
; %bb.5463:                             ;   in Loop: Header=BB4_4959 Depth=2
	s_delay_alu instid0(VALU_DEP_2) | instskip(SKIP_2) | instid1(VALU_DEP_2)
	v_cmp_lt_u64_e32 vcc_lo, 0xffffff, v[36:37]
	v_add_nc_u32_e32 v3, 15, v17
	v_cndmask_b32_e64 v14, 0, 1, vcc_lo
	v_cndmask_b32_e32 v3, v16, v3, vcc_lo
	s_delay_alu instid0(VALU_DEP_2)
	v_lshrrev_b64 v[14:15], v14, v[36:37]
; %bb.5464:                             ;   in Loop: Header=BB4_4959 Depth=2
	s_and_not1_saveexec_b32 s7, s7
; %bb.5465:                             ;   in Loop: Header=BB4_4959 Depth=2
	v_mov_b64_e32 v[14:15], v[36:37]
	v_bfe_u32 v3, v36, 23, 1
; %bb.5466:                             ;   in Loop: Header=BB4_4959 Depth=2
	s_or_b32 exec_lo, exec_lo, s7
	s_delay_alu instid0(VALU_DEP_2) | instskip(NEXT) | instid1(VALU_DEP_2)
	v_lshrrev_b64 v[14:15], 21, v[14:15]
	v_cmp_gt_i32_e32 vcc_lo, 32, v3
	v_min_i32_e32 v16, 31, v3
	v_cmp_eq_u32_e64 s7, 0, v3
	s_delay_alu instid0(VALU_DEP_2) | instskip(SKIP_1) | instid1(VALU_DEP_2)
	v_dual_cndmask_b32 v14, 3, v14, vcc_lo :: v_dual_lshlrev_b32 v16, 2, v16
	v_cndmask_b32_e32 v15, 0, v15, vcc_lo
	v_and_b32_e32 v16, 0xfc, v16
	s_delay_alu instid0(VALU_DEP_2) | instskip(NEXT) | instid1(VALU_DEP_2)
	v_cmp_eq_u64_e32 vcc_lo, 0, v[14:15]
	v_and_or_b32 v3, v14, 3, v16
	s_and_b32 s7, s7, vcc_lo
	s_delay_alu instid0(VALU_DEP_1) | instid1(SALU_CYCLE_1)
	v_cndmask_b32_e64 v3, v3, 0, s7
	s_delay_alu instid0(VALU_DEP_1)
	v_or_b32_e32 v117, v3, v2
.LBB4_5467:                             ;   in Loop: Header=BB4_4959 Depth=2
	s_or_b32 exec_lo, exec_lo, s41
                                        ; implicit-def: $vgpr2
.LBB4_5468:                             ;   in Loop: Header=BB4_4959 Depth=2
	s_and_not1_saveexec_b32 s7, s40
; %bb.5469:                             ;   in Loop: Header=BB4_4959 Depth=2
	v_or_b32_e32 v117, 0x7b, v2
; %bb.5470:                             ;   in Loop: Header=BB4_4959 Depth=2
	s_or_b32 exec_lo, exec_lo, s7
                                        ; implicit-def: $vgpr3
                                        ; implicit-def: $vgpr2
.LBB4_5471:                             ;   in Loop: Header=BB4_4959 Depth=2
	s_and_not1_saveexec_b32 s7, s29
	s_cbranch_execz .LBB4_5477
; %bb.5472:                             ;   in Loop: Header=BB4_4959 Depth=2
	s_mov_b32 s29, exec_lo
                                        ; implicit-def: $vgpr117
	v_cmpx_ne_u64_e32 0, v[36:37]
	s_xor_b32 s29, exec_lo, s29
; %bb.5473:                             ;   in Loop: Header=BB4_4959 Depth=2
	v_or_b32_e32 v117, 0x7f, v2
                                        ; implicit-def: $vgpr3
; %bb.5474:                             ;   in Loop: Header=BB4_4959 Depth=2
	s_and_not1_saveexec_b32 s29, s29
; %bb.5475:                             ;   in Loop: Header=BB4_4959 Depth=2
	v_cmp_lt_i32_e32 vcc_lo, -1, v3
	v_cndmask_b32_e32 v117, 0xfc, v110, vcc_lo
; %bb.5476:                             ;   in Loop: Header=BB4_4959 Depth=2
	s_or_b32 exec_lo, exec_lo, s29
.LBB4_5477:                             ;   in Loop: Header=BB4_4959 Depth=2
	s_delay_alu instid0(SALU_CYCLE_1) | instskip(SKIP_3) | instid1(VALU_DEP_2)
	s_or_b32 exec_lo, exec_lo, s7
	v_lshrrev_b16 v14, 8, v10
	v_mov_b32_e32 v3, 0
	s_mov_b32 s7, exec_lo
	v_cmpx_ne_u16_e32 0, v14
	s_cbranch_execz .LBB4_5487
; %bb.5478:                             ;   in Loop: Header=BB4_4959 Depth=2
	v_bfrev_b32_e32 v3, 1
	s_mov_b32 s29, exec_lo
	v_cmpx_ne_u16_e32 0x80, v14
	s_cbranch_execz .LBB4_5486
; %bb.5479:                             ;   in Loop: Header=BB4_4959 Depth=2
	v_and_b32_e32 v15, 0xffff, v14
	s_delay_alu instid0(VALU_DEP_1) | instskip(SKIP_1) | instid1(VALU_DEP_2)
	v_and_b32_e32 v3, 0x7c, v15
	v_and_b32_e32 v2, 3, v15
	v_cmp_ne_u32_e32 vcc_lo, 0x7c, v3
                                        ; implicit-def: $vgpr3
	s_and_saveexec_b32 s40, vcc_lo
	s_delay_alu instid0(SALU_CYCLE_1)
	s_xor_b32 s40, exec_lo, s40
	s_cbranch_execz .LBB4_5483
; %bb.5480:                             ;   in Loop: Header=BB4_4959 Depth=2
	v_bfe_u32 v3, v15, 2, 5
	s_mov_b32 s41, exec_lo
	s_delay_alu instid0(VALU_DEP_1)
	v_cmpx_eq_u32_e32 0, v3
; %bb.5481:                             ;   in Loop: Header=BB4_4959 Depth=2
	v_clz_i32_u32_e32 v2, v2
	s_delay_alu instid0(VALU_DEP_1) | instskip(SKIP_1) | instid1(VALU_DEP_2)
	v_min_u32_e32 v16, 32, v2
	v_mov_b32_e32 v15, v37
	v_subrev_nc_u32_e32 v2, 29, v16
	s_delay_alu instid0(VALU_DEP_1) | instskip(NEXT) | instid1(VALU_DEP_1)
	v_lshlrev_b64_e32 v[2:3], v2, v[14:15]
	v_dual_sub_nc_u32 v3, 30, v16 :: v_dual_bitop2_b32 v2, 3, v2 bitop3:0x40
; %bb.5482:                             ;   in Loop: Header=BB4_4959 Depth=2
	s_or_b32 exec_lo, exec_lo, s41
	v_lshlrev_b32_e32 v14, 16, v10
	s_delay_alu instid0(VALU_DEP_1) | instskip(NEXT) | instid1(VALU_DEP_1)
	v_and_b32_e32 v14, 0x80000000, v14
	v_lshl_add_u32 v3, v3, 23, v14
	s_delay_alu instid0(VALU_DEP_1) | instskip(NEXT) | instid1(VALU_DEP_1)
	v_lshl_or_b32 v2, v2, 21, v3
	v_add_nc_u32_e32 v3, 0x38000000, v2
                                        ; implicit-def: $vgpr2
.LBB4_5483:                             ;   in Loop: Header=BB4_4959 Depth=2
	s_and_not1_saveexec_b32 s40, s40
; %bb.5484:                             ;   in Loop: Header=BB4_4959 Depth=2
	v_cmp_lt_i16_e32 vcc_lo, -1, v10
	v_cndmask_b32_e32 v3, 0xff800000, v109, vcc_lo
	v_cmp_eq_u32_e32 vcc_lo, 0, v2
	s_delay_alu instid0(VALU_DEP_2)
	v_cndmask_b32_e32 v3, 0x7f800001, v3, vcc_lo
; %bb.5485:                             ;   in Loop: Header=BB4_4959 Depth=2
	s_or_b32 exec_lo, exec_lo, s40
.LBB4_5486:                             ;   in Loop: Header=BB4_4959 Depth=2
	s_delay_alu instid0(SALU_CYCLE_1)
	s_or_b32 exec_lo, exec_lo, s29
.LBB4_5487:                             ;   in Loop: Header=BB4_4959 Depth=2
	s_delay_alu instid0(SALU_CYCLE_1) | instskip(NEXT) | instid1(VALU_DEP_1)
	s_or_b32 exec_lo, exec_lo, s7
	v_dual_mul_f32 v3, s28, v3 :: v_dual_mov_b32 v15, v37
                                        ; implicit-def: $vgpr43
	s_mov_b32 s7, exec_lo
	s_delay_alu instid0(VALU_DEP_1) | instskip(SKIP_2) | instid1(VALU_DEP_3)
	v_and_b32_e32 v14, 0x7f800000, v3
	v_and_b32_e32 v36, 0x7fffff, v3
	v_lshrrev_b32_e32 v2, 24, v3
	v_cmpx_ne_u64_e32 0x7f800000, v[14:15]
	s_xor_b32 s29, exec_lo, s7
	s_cbranch_execz .LBB4_5501
; %bb.5488:                             ;   in Loop: Header=BB4_4959 Depth=2
	v_and_b32_e32 v14, 0x7fffffff, v3
	v_mov_b32_e32 v15, v37
	v_and_b32_e32 v2, 0x80, v2
                                        ; implicit-def: $vgpr43
	s_mov_b32 s7, exec_lo
	s_delay_alu instid0(VALU_DEP_2)
	v_cmpx_gt_u64_e32 0x47600001, v[14:15]
	s_xor_b32 s40, exec_lo, s7
	s_cbranch_execz .LBB4_5498
; %bb.5489:                             ;   in Loop: Header=BB4_4959 Depth=2
	v_mov_b32_e32 v43, 0
	s_mov_b32 s41, exec_lo
	v_cmpx_ne_u32_e32 0, v3
	s_cbranch_execz .LBB4_5497
; %bb.5490:                             ;   in Loop: Header=BB4_4959 Depth=2
	v_bfe_u32 v3, v3, 23, 8
	v_or_b32_e32 v16, 0x800000, v36
	s_mov_b32 s42, exec_lo
	s_delay_alu instid0(VALU_DEP_2) | instskip(SKIP_1) | instid1(VALU_DEP_2)
	v_dual_mov_b32 v17, v37 :: v_dual_sub_nc_u32 v14, 0x71, v3
	v_cmp_gt_u32_e32 vcc_lo, 0x72, v3
	v_cndmask_b32_e32 v14, 0, v14, vcc_lo
	v_cmp_eq_u32_e32 vcc_lo, 0, v3
	s_delay_alu instid0(VALU_DEP_2) | instskip(SKIP_1) | instid1(VALU_DEP_2)
	v_cndmask_b32_e64 v20, v14, 0x70, vcc_lo
	v_cndmask_b32_e32 v16, v16, v36, vcc_lo
	v_dual_add_nc_u32 v14, 21, v20 :: v_dual_add_nc_u32 v21, 20, v20
	s_delay_alu instid0(VALU_DEP_1) | instskip(NEXT) | instid1(VALU_DEP_2)
	v_lshlrev_b64_e64 v[14:15], v14, -1
	v_lshlrev_b64_e64 v[24:25], v21, 1
	s_delay_alu instid0(VALU_DEP_2) | instskip(NEXT) | instid1(VALU_DEP_3)
	v_bfi_b32 v97, v15, 0, 0
	v_bfi_b32 v96, v14, 0, v16
	v_lshrrev_b64 v[14:15], v20, v[16:17]
	s_delay_alu instid0(VALU_DEP_1) | instskip(NEXT) | instid1(VALU_DEP_3)
	v_mov_b64_e32 v[16:17], v[14:15]
	v_cmpx_eq_u64_e64 v[96:97], v[24:25]
; %bb.5491:                             ;   in Loop: Header=BB4_4959 Depth=2
	v_bfe_u32 v16, v14, 21, 1
	v_mov_b32_e32 v17, v37
	s_delay_alu instid0(VALU_DEP_1) | instskip(NEXT) | instid1(VALU_DEP_1)
	v_add_nc_u64_e32 v[16:17], v[14:15], v[16:17]
	v_add_nc_u64_e32 v[16:17], -1, v[16:17]
; %bb.5492:                             ;   in Loop: Header=BB4_4959 Depth=2
	s_or_b32 exec_lo, exec_lo, s42
	v_add_nc_u32_e32 v3, 0xffffff81, v3
	v_lshrrev_b32_e32 v15, 23, v14
	s_mov_b32 s7, exec_lo
	s_delay_alu instid0(VALU_DEP_2) | instskip(NEXT) | instid1(VALU_DEP_1)
	v_cndmask_b32_e64 v3, v3, 0xffffff82, vcc_lo
	v_add3_u32 v17, v20, v3, v15
	v_and_b32_e32 v3, 0x1fffff, v16
	s_delay_alu instid0(VALU_DEP_1) | instskip(NEXT) | instid1(VALU_DEP_1)
	v_dual_add_nc_u32 v16, 14, v17 :: v_dual_add_nc_u32 v36, v3, v14
                                        ; implicit-def: $vgpr14_vgpr15
                                        ; implicit-def: $vgpr3
	v_cmpx_ne_u32_e32 0, v16
	s_xor_b32 s7, exec_lo, s7
; %bb.5493:                             ;   in Loop: Header=BB4_4959 Depth=2
	s_delay_alu instid0(VALU_DEP_2) | instskip(SKIP_2) | instid1(VALU_DEP_2)
	v_cmp_lt_u64_e32 vcc_lo, 0xffffff, v[36:37]
	v_add_nc_u32_e32 v3, 15, v17
	v_cndmask_b32_e64 v14, 0, 1, vcc_lo
	v_cndmask_b32_e32 v3, v16, v3, vcc_lo
	s_delay_alu instid0(VALU_DEP_2)
	v_lshrrev_b64 v[14:15], v14, v[36:37]
; %bb.5494:                             ;   in Loop: Header=BB4_4959 Depth=2
	s_and_not1_saveexec_b32 s7, s7
; %bb.5495:                             ;   in Loop: Header=BB4_4959 Depth=2
	v_mov_b64_e32 v[14:15], v[36:37]
	v_bfe_u32 v3, v36, 23, 1
; %bb.5496:                             ;   in Loop: Header=BB4_4959 Depth=2
	s_or_b32 exec_lo, exec_lo, s7
	s_delay_alu instid0(VALU_DEP_2) | instskip(NEXT) | instid1(VALU_DEP_2)
	v_lshrrev_b64 v[14:15], 21, v[14:15]
	v_cmp_gt_i32_e32 vcc_lo, 32, v3
	v_min_i32_e32 v16, 31, v3
	v_cmp_eq_u32_e64 s7, 0, v3
	s_delay_alu instid0(VALU_DEP_2) | instskip(SKIP_1) | instid1(VALU_DEP_2)
	v_dual_cndmask_b32 v14, 3, v14, vcc_lo :: v_dual_lshlrev_b32 v16, 2, v16
	v_cndmask_b32_e32 v15, 0, v15, vcc_lo
	v_and_b32_e32 v16, 0xfc, v16
	s_delay_alu instid0(VALU_DEP_2) | instskip(NEXT) | instid1(VALU_DEP_2)
	v_cmp_eq_u64_e32 vcc_lo, 0, v[14:15]
	v_and_or_b32 v3, v14, 3, v16
	s_and_b32 s7, s7, vcc_lo
	s_delay_alu instid0(VALU_DEP_1) | instid1(SALU_CYCLE_1)
	v_cndmask_b32_e64 v3, v3, 0, s7
	s_delay_alu instid0(VALU_DEP_1)
	v_or_b32_e32 v43, v3, v2
.LBB4_5497:                             ;   in Loop: Header=BB4_4959 Depth=2
	s_or_b32 exec_lo, exec_lo, s41
                                        ; implicit-def: $vgpr2
.LBB4_5498:                             ;   in Loop: Header=BB4_4959 Depth=2
	s_and_not1_saveexec_b32 s7, s40
; %bb.5499:                             ;   in Loop: Header=BB4_4959 Depth=2
	v_or_b32_e32 v43, 0x7b, v2
; %bb.5500:                             ;   in Loop: Header=BB4_4959 Depth=2
	s_or_b32 exec_lo, exec_lo, s7
                                        ; implicit-def: $vgpr3
                                        ; implicit-def: $vgpr2
.LBB4_5501:                             ;   in Loop: Header=BB4_4959 Depth=2
	s_and_not1_saveexec_b32 s7, s29
	s_cbranch_execz .LBB4_5507
; %bb.5502:                             ;   in Loop: Header=BB4_4959 Depth=2
	s_mov_b32 s29, exec_lo
                                        ; implicit-def: $vgpr43
	v_cmpx_ne_u64_e32 0, v[36:37]
	s_xor_b32 s29, exec_lo, s29
; %bb.5503:                             ;   in Loop: Header=BB4_4959 Depth=2
	v_or_b32_e32 v43, 0x7f, v2
                                        ; implicit-def: $vgpr3
; %bb.5504:                             ;   in Loop: Header=BB4_4959 Depth=2
	s_and_not1_saveexec_b32 s29, s29
; %bb.5505:                             ;   in Loop: Header=BB4_4959 Depth=2
	v_cmp_lt_i32_e32 vcc_lo, -1, v3
	v_cndmask_b32_e32 v43, 0xfc, v110, vcc_lo
; %bb.5506:                             ;   in Loop: Header=BB4_4959 Depth=2
	s_or_b32 exec_lo, exec_lo, s29
.LBB4_5507:                             ;   in Loop: Header=BB4_4959 Depth=2
	s_delay_alu instid0(SALU_CYCLE_1) | instskip(SKIP_2) | instid1(VALU_DEP_1)
	s_or_b32 exec_lo, exec_lo, s7
	v_dual_mov_b32 v3, 0 :: v_dual_lshrrev_b32 v14, 16, v10
	s_mov_b32 s7, exec_lo
	v_and_b32_e32 v2, 0xff, v14
	s_delay_alu instid0(VALU_DEP_1)
	v_cmpx_ne_u16_e32 0, v2
	s_cbranch_execz .LBB4_5517
; %bb.5508:                             ;   in Loop: Header=BB4_4959 Depth=2
	v_bfrev_b32_e32 v3, 1
	s_mov_b32 s29, exec_lo
	v_cmpx_ne_u16_e32 0x80, v2
	s_cbranch_execz .LBB4_5516
; %bb.5509:                             ;   in Loop: Header=BB4_4959 Depth=2
	v_and_b32_e32 v3, 0x7c0000, v10
	v_bfe_u32 v2, v10, 16, 2
	s_delay_alu instid0(VALU_DEP_2) | instskip(SKIP_1) | instid1(SALU_CYCLE_1)
	v_cmp_ne_u32_e32 vcc_lo, 0x7c0000, v3
                                        ; implicit-def: $vgpr3
	s_and_saveexec_b32 s40, vcc_lo
	s_xor_b32 s40, exec_lo, s40
	s_cbranch_execz .LBB4_5513
; %bb.5510:                             ;   in Loop: Header=BB4_4959 Depth=2
	v_bfe_u32 v3, v10, 18, 5
	s_mov_b32 s41, exec_lo
	s_delay_alu instid0(VALU_DEP_1)
	v_cmpx_eq_u32_e32 0, v3
; %bb.5511:                             ;   in Loop: Header=BB4_4959 Depth=2
	v_clz_i32_u32_e32 v2, v2
	s_delay_alu instid0(VALU_DEP_1) | instskip(NEXT) | instid1(VALU_DEP_1)
	v_min_u32_e32 v15, 32, v2
	v_subrev_nc_u32_e32 v2, 29, v15
	s_delay_alu instid0(VALU_DEP_1) | instskip(NEXT) | instid1(VALU_DEP_1)
	v_lshlrev_b64_e32 v[2:3], v2, v[14:15]
	v_dual_sub_nc_u32 v3, 30, v15 :: v_dual_bitop2_b32 v2, 3, v2 bitop3:0x40
; %bb.5512:                             ;   in Loop: Header=BB4_4959 Depth=2
	s_or_b32 exec_lo, exec_lo, s41
	v_lshlrev_b32_e32 v14, 24, v14
	s_delay_alu instid0(VALU_DEP_1) | instskip(NEXT) | instid1(VALU_DEP_1)
	v_and_b32_e32 v14, 0x80000000, v14
	v_lshl_add_u32 v3, v3, 23, v14
                                        ; implicit-def: $vgpr14
	s_delay_alu instid0(VALU_DEP_1) | instskip(NEXT) | instid1(VALU_DEP_1)
	v_lshl_or_b32 v2, v2, 21, v3
	v_add_nc_u32_e32 v3, 0x38000000, v2
                                        ; implicit-def: $vgpr2
.LBB4_5513:                             ;   in Loop: Header=BB4_4959 Depth=2
	s_and_not1_saveexec_b32 s40, s40
; %bb.5514:                             ;   in Loop: Header=BB4_4959 Depth=2
	v_bfe_i32 v3, v14, 0, 8
	s_delay_alu instid0(VALU_DEP_1) | instskip(SKIP_2) | instid1(VALU_DEP_2)
	v_cmp_lt_i16_e32 vcc_lo, -1, v3
	v_cndmask_b32_e32 v3, 0xff800000, v109, vcc_lo
	v_cmp_eq_u32_e32 vcc_lo, 0, v2
	v_cndmask_b32_e32 v3, 0x7f800001, v3, vcc_lo
; %bb.5515:                             ;   in Loop: Header=BB4_4959 Depth=2
	s_or_b32 exec_lo, exec_lo, s40
.LBB4_5516:                             ;   in Loop: Header=BB4_4959 Depth=2
	s_delay_alu instid0(SALU_CYCLE_1)
	s_or_b32 exec_lo, exec_lo, s29
.LBB4_5517:                             ;   in Loop: Header=BB4_4959 Depth=2
	s_delay_alu instid0(SALU_CYCLE_1) | instskip(NEXT) | instid1(VALU_DEP_1)
	s_or_b32 exec_lo, exec_lo, s7
	v_dual_mul_f32 v3, s28, v3 :: v_dual_mov_b32 v15, v37
                                        ; implicit-def: $vgpr45
	s_mov_b32 s7, exec_lo
	s_delay_alu instid0(VALU_DEP_1) | instskip(SKIP_2) | instid1(VALU_DEP_3)
	v_and_b32_e32 v14, 0x7f800000, v3
	v_and_b32_e32 v36, 0x7fffff, v3
	v_lshrrev_b32_e32 v2, 24, v3
	v_cmpx_ne_u64_e32 0x7f800000, v[14:15]
	s_xor_b32 s29, exec_lo, s7
	s_cbranch_execz .LBB4_5531
; %bb.5518:                             ;   in Loop: Header=BB4_4959 Depth=2
	v_and_b32_e32 v14, 0x7fffffff, v3
	v_mov_b32_e32 v15, v37
	v_and_b32_e32 v2, 0x80, v2
                                        ; implicit-def: $vgpr45
	s_mov_b32 s7, exec_lo
	s_delay_alu instid0(VALU_DEP_2)
	v_cmpx_gt_u64_e32 0x47600001, v[14:15]
	s_xor_b32 s40, exec_lo, s7
	s_cbranch_execz .LBB4_5528
; %bb.5519:                             ;   in Loop: Header=BB4_4959 Depth=2
	v_mov_b32_e32 v45, 0
	s_mov_b32 s41, exec_lo
	v_cmpx_ne_u32_e32 0, v3
	s_cbranch_execz .LBB4_5527
; %bb.5520:                             ;   in Loop: Header=BB4_4959 Depth=2
	v_bfe_u32 v3, v3, 23, 8
	v_or_b32_e32 v16, 0x800000, v36
	s_mov_b32 s42, exec_lo
	s_delay_alu instid0(VALU_DEP_2) | instskip(SKIP_1) | instid1(VALU_DEP_2)
	v_dual_mov_b32 v17, v37 :: v_dual_sub_nc_u32 v14, 0x71, v3
	v_cmp_gt_u32_e32 vcc_lo, 0x72, v3
	v_cndmask_b32_e32 v14, 0, v14, vcc_lo
	v_cmp_eq_u32_e32 vcc_lo, 0, v3
	s_delay_alu instid0(VALU_DEP_2) | instskip(SKIP_1) | instid1(VALU_DEP_2)
	v_cndmask_b32_e64 v20, v14, 0x70, vcc_lo
	v_cndmask_b32_e32 v16, v16, v36, vcc_lo
	v_dual_add_nc_u32 v14, 21, v20 :: v_dual_add_nc_u32 v21, 20, v20
	s_delay_alu instid0(VALU_DEP_1) | instskip(NEXT) | instid1(VALU_DEP_2)
	v_lshlrev_b64_e64 v[14:15], v14, -1
	v_lshlrev_b64_e64 v[24:25], v21, 1
	s_delay_alu instid0(VALU_DEP_2) | instskip(NEXT) | instid1(VALU_DEP_3)
	v_bfi_b32 v97, v15, 0, 0
	v_bfi_b32 v96, v14, 0, v16
	v_lshrrev_b64 v[14:15], v20, v[16:17]
	s_delay_alu instid0(VALU_DEP_1) | instskip(NEXT) | instid1(VALU_DEP_3)
	v_mov_b64_e32 v[16:17], v[14:15]
	v_cmpx_eq_u64_e64 v[96:97], v[24:25]
; %bb.5521:                             ;   in Loop: Header=BB4_4959 Depth=2
	v_bfe_u32 v16, v14, 21, 1
	v_mov_b32_e32 v17, v37
	s_delay_alu instid0(VALU_DEP_1) | instskip(NEXT) | instid1(VALU_DEP_1)
	v_add_nc_u64_e32 v[16:17], v[14:15], v[16:17]
	v_add_nc_u64_e32 v[16:17], -1, v[16:17]
; %bb.5522:                             ;   in Loop: Header=BB4_4959 Depth=2
	s_or_b32 exec_lo, exec_lo, s42
	v_add_nc_u32_e32 v3, 0xffffff81, v3
	v_lshrrev_b32_e32 v15, 23, v14
	s_mov_b32 s7, exec_lo
	s_delay_alu instid0(VALU_DEP_2) | instskip(NEXT) | instid1(VALU_DEP_1)
	v_cndmask_b32_e64 v3, v3, 0xffffff82, vcc_lo
	v_add3_u32 v17, v20, v3, v15
	v_and_b32_e32 v3, 0x1fffff, v16
	s_delay_alu instid0(VALU_DEP_1) | instskip(NEXT) | instid1(VALU_DEP_1)
	v_dual_add_nc_u32 v16, 14, v17 :: v_dual_add_nc_u32 v36, v3, v14
                                        ; implicit-def: $vgpr14_vgpr15
                                        ; implicit-def: $vgpr3
	v_cmpx_ne_u32_e32 0, v16
	s_xor_b32 s7, exec_lo, s7
; %bb.5523:                             ;   in Loop: Header=BB4_4959 Depth=2
	s_delay_alu instid0(VALU_DEP_2) | instskip(SKIP_2) | instid1(VALU_DEP_2)
	v_cmp_lt_u64_e32 vcc_lo, 0xffffff, v[36:37]
	v_add_nc_u32_e32 v3, 15, v17
	v_cndmask_b32_e64 v14, 0, 1, vcc_lo
	v_cndmask_b32_e32 v3, v16, v3, vcc_lo
	s_delay_alu instid0(VALU_DEP_2)
	v_lshrrev_b64 v[14:15], v14, v[36:37]
; %bb.5524:                             ;   in Loop: Header=BB4_4959 Depth=2
	s_and_not1_saveexec_b32 s7, s7
; %bb.5525:                             ;   in Loop: Header=BB4_4959 Depth=2
	v_mov_b64_e32 v[14:15], v[36:37]
	v_bfe_u32 v3, v36, 23, 1
; %bb.5526:                             ;   in Loop: Header=BB4_4959 Depth=2
	s_or_b32 exec_lo, exec_lo, s7
	s_delay_alu instid0(VALU_DEP_2) | instskip(NEXT) | instid1(VALU_DEP_2)
	v_lshrrev_b64 v[14:15], 21, v[14:15]
	v_cmp_gt_i32_e32 vcc_lo, 32, v3
	v_min_i32_e32 v16, 31, v3
	v_cmp_eq_u32_e64 s7, 0, v3
	s_delay_alu instid0(VALU_DEP_2) | instskip(SKIP_1) | instid1(VALU_DEP_2)
	v_dual_cndmask_b32 v14, 3, v14, vcc_lo :: v_dual_lshlrev_b32 v16, 2, v16
	v_cndmask_b32_e32 v15, 0, v15, vcc_lo
	v_and_b32_e32 v16, 0xfc, v16
	s_delay_alu instid0(VALU_DEP_2) | instskip(NEXT) | instid1(VALU_DEP_2)
	v_cmp_eq_u64_e32 vcc_lo, 0, v[14:15]
	v_and_or_b32 v3, v14, 3, v16
	s_and_b32 s7, s7, vcc_lo
	s_delay_alu instid0(VALU_DEP_1) | instid1(SALU_CYCLE_1)
	v_cndmask_b32_e64 v3, v3, 0, s7
	s_delay_alu instid0(VALU_DEP_1)
	v_or_b32_e32 v45, v3, v2
.LBB4_5527:                             ;   in Loop: Header=BB4_4959 Depth=2
	s_or_b32 exec_lo, exec_lo, s41
                                        ; implicit-def: $vgpr2
.LBB4_5528:                             ;   in Loop: Header=BB4_4959 Depth=2
	s_and_not1_saveexec_b32 s7, s40
; %bb.5529:                             ;   in Loop: Header=BB4_4959 Depth=2
	v_or_b32_e32 v45, 0x7b, v2
; %bb.5530:                             ;   in Loop: Header=BB4_4959 Depth=2
	s_or_b32 exec_lo, exec_lo, s7
                                        ; implicit-def: $vgpr3
                                        ; implicit-def: $vgpr2
.LBB4_5531:                             ;   in Loop: Header=BB4_4959 Depth=2
	s_and_not1_saveexec_b32 s7, s29
	s_cbranch_execz .LBB4_5537
; %bb.5532:                             ;   in Loop: Header=BB4_4959 Depth=2
	s_mov_b32 s29, exec_lo
                                        ; implicit-def: $vgpr45
	v_cmpx_ne_u64_e32 0, v[36:37]
	s_xor_b32 s29, exec_lo, s29
; %bb.5533:                             ;   in Loop: Header=BB4_4959 Depth=2
	v_or_b32_e32 v45, 0x7f, v2
                                        ; implicit-def: $vgpr3
; %bb.5534:                             ;   in Loop: Header=BB4_4959 Depth=2
	s_and_not1_saveexec_b32 s29, s29
; %bb.5535:                             ;   in Loop: Header=BB4_4959 Depth=2
	v_cmp_lt_i32_e32 vcc_lo, -1, v3
	v_cndmask_b32_e32 v45, 0xfc, v110, vcc_lo
; %bb.5536:                             ;   in Loop: Header=BB4_4959 Depth=2
	s_or_b32 exec_lo, exec_lo, s29
.LBB4_5537:                             ;   in Loop: Header=BB4_4959 Depth=2
	s_delay_alu instid0(SALU_CYCLE_1)
	s_or_b32 exec_lo, exec_lo, s7
	v_mov_b32_e32 v2, 0
	s_mov_b32 s7, exec_lo
	v_cmpx_lt_u32_e32 0xffffff, v10
	s_cbranch_execz .LBB4_5547
; %bb.5538:                             ;   in Loop: Header=BB4_4959 Depth=2
	v_lshrrev_b32_e32 v14, 24, v10
	v_bfrev_b32_e32 v2, 1
	s_mov_b32 s29, exec_lo
	s_delay_alu instid0(VALU_DEP_2)
	v_cmpx_ne_u32_e32 0x80, v14
	s_cbranch_execz .LBB4_5546
; %bb.5539:                             ;   in Loop: Header=BB4_4959 Depth=2
	v_and_b32_e32 v2, 0x7c000000, v10
	v_bfe_u32 v3, v10, 24, 2
	s_delay_alu instid0(VALU_DEP_2) | instskip(SKIP_1) | instid1(SALU_CYCLE_1)
	v_cmp_ne_u32_e32 vcc_lo, 0x7c000000, v2
                                        ; implicit-def: $vgpr2
	s_and_saveexec_b32 s40, vcc_lo
	s_xor_b32 s40, exec_lo, s40
	s_cbranch_execz .LBB4_5543
; %bb.5540:                             ;   in Loop: Header=BB4_4959 Depth=2
	v_bfe_u32 v2, v10, 26, 5
	s_mov_b32 s41, exec_lo
	s_delay_alu instid0(VALU_DEP_1)
	v_cmpx_eq_u32_e32 0, v2
; %bb.5541:                             ;   in Loop: Header=BB4_4959 Depth=2
	v_clz_i32_u32_e32 v2, v3
	s_delay_alu instid0(VALU_DEP_1) | instskip(NEXT) | instid1(VALU_DEP_1)
	v_min_u32_e32 v2, 32, v2
	v_subrev_nc_u32_e32 v3, 29, v2
	v_sub_nc_u32_e32 v2, 30, v2
	s_delay_alu instid0(VALU_DEP_2) | instskip(NEXT) | instid1(VALU_DEP_1)
	v_lshlrev_b64_e32 v[14:15], v3, v[14:15]
	v_and_b32_e32 v3, 3, v14
; %bb.5542:                             ;   in Loop: Header=BB4_4959 Depth=2
	s_or_b32 exec_lo, exec_lo, s41
	v_and_b32_e32 v14, 0x80000000, v10
	s_delay_alu instid0(VALU_DEP_1) | instskip(NEXT) | instid1(VALU_DEP_1)
	v_lshl_add_u32 v2, v2, 23, v14
	v_lshl_or_b32 v2, v3, 21, v2
                                        ; implicit-def: $vgpr3
	s_delay_alu instid0(VALU_DEP_1)
	v_add_nc_u32_e32 v2, 0x38000000, v2
.LBB4_5543:                             ;   in Loop: Header=BB4_4959 Depth=2
	s_and_not1_saveexec_b32 s40, s40
; %bb.5544:                             ;   in Loop: Header=BB4_4959 Depth=2
	v_cmp_lt_i32_e32 vcc_lo, -1, v10
	v_cndmask_b32_e32 v2, 0xff800000, v109, vcc_lo
	v_cmp_eq_u32_e32 vcc_lo, 0, v3
	s_delay_alu instid0(VALU_DEP_2)
	v_cndmask_b32_e32 v2, 0x7f800001, v2, vcc_lo
; %bb.5545:                             ;   in Loop: Header=BB4_4959 Depth=2
	s_or_b32 exec_lo, exec_lo, s40
.LBB4_5546:                             ;   in Loop: Header=BB4_4959 Depth=2
	s_delay_alu instid0(SALU_CYCLE_1)
	s_or_b32 exec_lo, exec_lo, s29
.LBB4_5547:                             ;   in Loop: Header=BB4_4959 Depth=2
	s_delay_alu instid0(SALU_CYCLE_1) | instskip(NEXT) | instid1(VALU_DEP_1)
	s_or_b32 exec_lo, exec_lo, s7
	v_dual_mul_f32 v3, s28, v2 :: v_dual_mov_b32 v15, v37
                                        ; implicit-def: $vgpr57
	s_mov_b32 s7, exec_lo
	s_delay_alu instid0(VALU_DEP_1) | instskip(SKIP_2) | instid1(VALU_DEP_3)
	v_and_b32_e32 v14, 0x7f800000, v3
	v_and_b32_e32 v36, 0x7fffff, v3
	v_lshrrev_b32_e32 v2, 24, v3
	v_cmpx_ne_u64_e32 0x7f800000, v[14:15]
	s_xor_b32 s29, exec_lo, s7
	s_cbranch_execz .LBB4_5561
; %bb.5548:                             ;   in Loop: Header=BB4_4959 Depth=2
	v_and_b32_e32 v14, 0x7fffffff, v3
	v_mov_b32_e32 v15, v37
	v_and_b32_e32 v2, 0x80, v2
                                        ; implicit-def: $vgpr57
	s_mov_b32 s7, exec_lo
	s_delay_alu instid0(VALU_DEP_2)
	v_cmpx_gt_u64_e32 0x47600001, v[14:15]
	s_xor_b32 s40, exec_lo, s7
	s_cbranch_execz .LBB4_5558
; %bb.5549:                             ;   in Loop: Header=BB4_4959 Depth=2
	v_mov_b32_e32 v57, 0
	s_mov_b32 s41, exec_lo
	v_cmpx_ne_u32_e32 0, v3
	s_cbranch_execz .LBB4_5557
; %bb.5550:                             ;   in Loop: Header=BB4_4959 Depth=2
	v_bfe_u32 v3, v3, 23, 8
	v_or_b32_e32 v16, 0x800000, v36
	s_mov_b32 s42, exec_lo
	s_delay_alu instid0(VALU_DEP_2) | instskip(SKIP_1) | instid1(VALU_DEP_2)
	v_dual_mov_b32 v17, v37 :: v_dual_sub_nc_u32 v14, 0x71, v3
	v_cmp_gt_u32_e32 vcc_lo, 0x72, v3
	v_cndmask_b32_e32 v14, 0, v14, vcc_lo
	v_cmp_eq_u32_e32 vcc_lo, 0, v3
	s_delay_alu instid0(VALU_DEP_2) | instskip(SKIP_1) | instid1(VALU_DEP_2)
	v_cndmask_b32_e64 v20, v14, 0x70, vcc_lo
	v_cndmask_b32_e32 v16, v16, v36, vcc_lo
	v_dual_add_nc_u32 v14, 21, v20 :: v_dual_add_nc_u32 v21, 20, v20
	s_delay_alu instid0(VALU_DEP_1) | instskip(NEXT) | instid1(VALU_DEP_2)
	v_lshlrev_b64_e64 v[14:15], v14, -1
	v_lshlrev_b64_e64 v[24:25], v21, 1
	s_delay_alu instid0(VALU_DEP_2) | instskip(NEXT) | instid1(VALU_DEP_3)
	v_bfi_b32 v97, v15, 0, 0
	v_bfi_b32 v96, v14, 0, v16
	v_lshrrev_b64 v[14:15], v20, v[16:17]
	s_delay_alu instid0(VALU_DEP_1) | instskip(NEXT) | instid1(VALU_DEP_3)
	v_mov_b64_e32 v[16:17], v[14:15]
	v_cmpx_eq_u64_e64 v[96:97], v[24:25]
; %bb.5551:                             ;   in Loop: Header=BB4_4959 Depth=2
	v_bfe_u32 v16, v14, 21, 1
	v_mov_b32_e32 v17, v37
	s_delay_alu instid0(VALU_DEP_1) | instskip(NEXT) | instid1(VALU_DEP_1)
	v_add_nc_u64_e32 v[16:17], v[14:15], v[16:17]
	v_add_nc_u64_e32 v[16:17], -1, v[16:17]
; %bb.5552:                             ;   in Loop: Header=BB4_4959 Depth=2
	s_or_b32 exec_lo, exec_lo, s42
	v_add_nc_u32_e32 v3, 0xffffff81, v3
	v_lshrrev_b32_e32 v15, 23, v14
	s_mov_b32 s7, exec_lo
	s_delay_alu instid0(VALU_DEP_2) | instskip(NEXT) | instid1(VALU_DEP_1)
	v_cndmask_b32_e64 v3, v3, 0xffffff82, vcc_lo
	v_add3_u32 v17, v20, v3, v15
	v_and_b32_e32 v3, 0x1fffff, v16
	s_delay_alu instid0(VALU_DEP_1) | instskip(NEXT) | instid1(VALU_DEP_1)
	v_dual_add_nc_u32 v16, 14, v17 :: v_dual_add_nc_u32 v36, v3, v14
                                        ; implicit-def: $vgpr14_vgpr15
                                        ; implicit-def: $vgpr3
	v_cmpx_ne_u32_e32 0, v16
	s_xor_b32 s7, exec_lo, s7
; %bb.5553:                             ;   in Loop: Header=BB4_4959 Depth=2
	s_delay_alu instid0(VALU_DEP_2) | instskip(SKIP_2) | instid1(VALU_DEP_2)
	v_cmp_lt_u64_e32 vcc_lo, 0xffffff, v[36:37]
	v_add_nc_u32_e32 v3, 15, v17
	v_cndmask_b32_e64 v14, 0, 1, vcc_lo
	v_cndmask_b32_e32 v3, v16, v3, vcc_lo
	s_delay_alu instid0(VALU_DEP_2)
	v_lshrrev_b64 v[14:15], v14, v[36:37]
; %bb.5554:                             ;   in Loop: Header=BB4_4959 Depth=2
	s_and_not1_saveexec_b32 s7, s7
; %bb.5555:                             ;   in Loop: Header=BB4_4959 Depth=2
	v_mov_b64_e32 v[14:15], v[36:37]
	v_bfe_u32 v3, v36, 23, 1
; %bb.5556:                             ;   in Loop: Header=BB4_4959 Depth=2
	s_or_b32 exec_lo, exec_lo, s7
	s_delay_alu instid0(VALU_DEP_2) | instskip(NEXT) | instid1(VALU_DEP_2)
	v_lshrrev_b64 v[14:15], 21, v[14:15]
	v_cmp_gt_i32_e32 vcc_lo, 32, v3
	v_min_i32_e32 v16, 31, v3
	v_cmp_eq_u32_e64 s7, 0, v3
	s_delay_alu instid0(VALU_DEP_2) | instskip(SKIP_1) | instid1(VALU_DEP_2)
	v_dual_cndmask_b32 v14, 3, v14, vcc_lo :: v_dual_lshlrev_b32 v16, 2, v16
	v_cndmask_b32_e32 v15, 0, v15, vcc_lo
	v_and_b32_e32 v16, 0xfc, v16
	s_delay_alu instid0(VALU_DEP_2) | instskip(NEXT) | instid1(VALU_DEP_2)
	v_cmp_eq_u64_e32 vcc_lo, 0, v[14:15]
	v_and_or_b32 v3, v14, 3, v16
	s_and_b32 s7, s7, vcc_lo
	s_delay_alu instid0(VALU_DEP_1) | instid1(SALU_CYCLE_1)
	v_cndmask_b32_e64 v3, v3, 0, s7
	s_delay_alu instid0(VALU_DEP_1)
	v_or_b32_e32 v57, v3, v2
.LBB4_5557:                             ;   in Loop: Header=BB4_4959 Depth=2
	s_or_b32 exec_lo, exec_lo, s41
                                        ; implicit-def: $vgpr2
.LBB4_5558:                             ;   in Loop: Header=BB4_4959 Depth=2
	s_and_not1_saveexec_b32 s7, s40
; %bb.5559:                             ;   in Loop: Header=BB4_4959 Depth=2
	v_or_b32_e32 v57, 0x7b, v2
; %bb.5560:                             ;   in Loop: Header=BB4_4959 Depth=2
	s_or_b32 exec_lo, exec_lo, s7
                                        ; implicit-def: $vgpr3
                                        ; implicit-def: $vgpr2
.LBB4_5561:                             ;   in Loop: Header=BB4_4959 Depth=2
	s_and_not1_saveexec_b32 s7, s29
	s_cbranch_execz .LBB4_5567
; %bb.5562:                             ;   in Loop: Header=BB4_4959 Depth=2
	s_mov_b32 s29, exec_lo
                                        ; implicit-def: $vgpr57
	v_cmpx_ne_u64_e32 0, v[36:37]
	s_xor_b32 s29, exec_lo, s29
; %bb.5563:                             ;   in Loop: Header=BB4_4959 Depth=2
	v_or_b32_e32 v57, 0x7f, v2
                                        ; implicit-def: $vgpr3
; %bb.5564:                             ;   in Loop: Header=BB4_4959 Depth=2
	s_and_not1_saveexec_b32 s29, s29
; %bb.5565:                             ;   in Loop: Header=BB4_4959 Depth=2
	v_cmp_lt_i32_e32 vcc_lo, -1, v3
	v_cndmask_b32_e32 v57, 0xfc, v110, vcc_lo
; %bb.5566:                             ;   in Loop: Header=BB4_4959 Depth=2
	s_or_b32 exec_lo, exec_lo, s29
.LBB4_5567:                             ;   in Loop: Header=BB4_4959 Depth=2
	s_delay_alu instid0(SALU_CYCLE_1) | instskip(SKIP_3) | instid1(VALU_DEP_2)
	s_or_b32 exec_lo, exec_lo, s7
	v_and_b32_e32 v2, 0xff, v11
	v_dual_mov_b32 v36, v11 :: v_dual_mov_b32 v3, 0
	s_mov_b32 s7, exec_lo
	v_cmpx_ne_u16_e32 0, v2
	s_cbranch_execz .LBB4_5577
; %bb.5568:                             ;   in Loop: Header=BB4_4959 Depth=2
	v_bfrev_b32_e32 v3, 1
	s_mov_b32 s29, exec_lo
	v_cmpx_ne_u16_e32 0x80, v2
	s_cbranch_execz .LBB4_5576
; %bb.5569:                             ;   in Loop: Header=BB4_4959 Depth=2
	v_and_b32_e32 v3, 0x7c, v11
	v_and_b32_e32 v2, 3, v11
	s_delay_alu instid0(VALU_DEP_2) | instskip(SKIP_1) | instid1(SALU_CYCLE_1)
	v_cmp_ne_u32_e32 vcc_lo, 0x7c, v3
                                        ; implicit-def: $vgpr3
	s_and_saveexec_b32 s40, vcc_lo
	s_xor_b32 s40, exec_lo, s40
	s_cbranch_execz .LBB4_5573
; %bb.5570:                             ;   in Loop: Header=BB4_4959 Depth=2
	v_bfe_u32 v3, v11, 2, 5
	s_mov_b32 s41, exec_lo
	s_delay_alu instid0(VALU_DEP_1)
	v_cmpx_eq_u32_e32 0, v3
; %bb.5571:                             ;   in Loop: Header=BB4_4959 Depth=2
	v_clz_i32_u32_e32 v2, v2
	s_delay_alu instid0(VALU_DEP_1) | instskip(NEXT) | instid1(VALU_DEP_1)
	v_min_u32_e32 v14, 32, v2
	v_subrev_nc_u32_e32 v2, 29, v14
	s_delay_alu instid0(VALU_DEP_1) | instskip(SKIP_1) | instid1(VALU_DEP_2)
	v_lshlrev_b64_e32 v[2:3], v2, v[36:37]
	v_sub_nc_u32_e32 v3, 30, v14
	v_and_b32_e32 v2, 3, v2
; %bb.5572:                             ;   in Loop: Header=BB4_4959 Depth=2
	s_or_b32 exec_lo, exec_lo, s41
	v_lshlrev_b32_e32 v14, 24, v11
	s_delay_alu instid0(VALU_DEP_1) | instskip(NEXT) | instid1(VALU_DEP_1)
	v_and_b32_e32 v14, 0x80000000, v14
	v_lshl_add_u32 v3, v3, 23, v14
	s_delay_alu instid0(VALU_DEP_1) | instskip(NEXT) | instid1(VALU_DEP_1)
	v_lshl_or_b32 v2, v2, 21, v3
	v_add_nc_u32_e32 v3, 0x38000000, v2
                                        ; implicit-def: $vgpr2
.LBB4_5573:                             ;   in Loop: Header=BB4_4959 Depth=2
	s_and_not1_saveexec_b32 s40, s40
; %bb.5574:                             ;   in Loop: Header=BB4_4959 Depth=2
	v_bfe_i32 v3, v11, 0, 8
	s_delay_alu instid0(VALU_DEP_1) | instskip(SKIP_2) | instid1(VALU_DEP_2)
	v_cmp_lt_i16_e32 vcc_lo, -1, v3
	v_cndmask_b32_e32 v3, 0xff800000, v109, vcc_lo
	v_cmp_eq_u32_e32 vcc_lo, 0, v2
	v_cndmask_b32_e32 v3, 0x7f800001, v3, vcc_lo
; %bb.5575:                             ;   in Loop: Header=BB4_4959 Depth=2
	s_or_b32 exec_lo, exec_lo, s40
.LBB4_5576:                             ;   in Loop: Header=BB4_4959 Depth=2
	s_delay_alu instid0(SALU_CYCLE_1)
	s_or_b32 exec_lo, exec_lo, s29
.LBB4_5577:                             ;   in Loop: Header=BB4_4959 Depth=2
	s_delay_alu instid0(SALU_CYCLE_1) | instskip(NEXT) | instid1(VALU_DEP_1)
	s_or_b32 exec_lo, exec_lo, s7
	v_dual_mul_f32 v3, s28, v3 :: v_dual_mov_b32 v17, v37
	v_mov_b32_e32 v15, v37
                                        ; implicit-def: $vgpr112
	s_mov_b32 s7, exec_lo
	s_delay_alu instid0(VALU_DEP_2) | instskip(SKIP_2) | instid1(VALU_DEP_3)
	v_and_b32_e32 v16, 0x7f800000, v3
	v_and_b32_e32 v14, 0x7fffff, v3
	v_lshrrev_b32_e32 v2, 24, v3
	v_cmpx_ne_u64_e32 0x7f800000, v[16:17]
	s_xor_b32 s29, exec_lo, s7
	s_cbranch_execz .LBB4_5591
; %bb.5578:                             ;   in Loop: Header=BB4_4959 Depth=2
	v_and_b32_e32 v16, 0x7fffffff, v3
	v_mov_b32_e32 v17, v37
	v_and_b32_e32 v2, 0x80, v2
                                        ; implicit-def: $vgpr112
	s_mov_b32 s7, exec_lo
	s_delay_alu instid0(VALU_DEP_2)
	v_cmpx_gt_u64_e32 0x47600001, v[16:17]
	s_xor_b32 s40, exec_lo, s7
	s_cbranch_execz .LBB4_5588
; %bb.5579:                             ;   in Loop: Header=BB4_4959 Depth=2
	v_mov_b32_e32 v112, 0
	s_mov_b32 s41, exec_lo
	v_cmpx_ne_u32_e32 0, v3
	s_cbranch_execz .LBB4_5587
; %bb.5580:                             ;   in Loop: Header=BB4_4959 Depth=2
	v_bfe_u32 v3, v3, 23, 8
	v_or_b32_e32 v21, 0x800000, v14
	s_delay_alu instid0(VALU_DEP_2) | instskip(SKIP_1) | instid1(VALU_DEP_2)
	v_sub_nc_u32_e32 v16, 0x71, v3
	v_cmp_gt_u32_e32 vcc_lo, 0x72, v3
	v_cndmask_b32_e32 v16, 0, v16, vcc_lo
	v_cmp_eq_u32_e32 vcc_lo, 0, v3
	v_cndmask_b32_e32 v14, v21, v14, vcc_lo
	s_delay_alu instid0(VALU_DEP_3) | instskip(NEXT) | instid1(VALU_DEP_1)
	v_cndmask_b32_e64 v20, v16, 0x70, vcc_lo
	v_dual_add_nc_u32 v16, 21, v20 :: v_dual_add_nc_u32 v24, 20, v20
	s_delay_alu instid0(VALU_DEP_1) | instskip(NEXT) | instid1(VALU_DEP_2)
	v_lshlrev_b64_e64 v[16:17], v16, -1
	v_lshlrev_b64_e64 v[24:25], v24, 1
	s_delay_alu instid0(VALU_DEP_2) | instskip(SKIP_1) | instid1(VALU_DEP_4)
	v_bfi_b32 v16, v16, 0, v14
	v_lshrrev_b64 v[14:15], v20, v[14:15]
	v_bfi_b32 v17, v17, 0, 0
	s_delay_alu instid0(VALU_DEP_1) | instskip(NEXT) | instid1(VALU_DEP_3)
	v_cmp_eq_u64_e64 s7, v[16:17], v[24:25]
	v_mov_b64_e32 v[16:17], v[14:15]
	s_and_saveexec_b32 s42, s7
; %bb.5581:                             ;   in Loop: Header=BB4_4959 Depth=2
	v_bfe_u32 v16, v14, 21, 1
	v_mov_b32_e32 v17, v37
	s_delay_alu instid0(VALU_DEP_1) | instskip(NEXT) | instid1(VALU_DEP_1)
	v_add_nc_u64_e32 v[16:17], v[14:15], v[16:17]
	v_add_nc_u64_e32 v[16:17], -1, v[16:17]
; %bb.5582:                             ;   in Loop: Header=BB4_4959 Depth=2
	s_or_b32 exec_lo, exec_lo, s42
	v_add_nc_u32_e32 v3, 0xffffff81, v3
	v_lshrrev_b32_e32 v15, 23, v14
	s_mov_b32 s7, exec_lo
	s_delay_alu instid0(VALU_DEP_2) | instskip(NEXT) | instid1(VALU_DEP_1)
	v_cndmask_b32_e64 v3, v3, 0xffffff82, vcc_lo
	v_add3_u32 v17, v20, v3, v15
	v_and_b32_e32 v3, 0x1fffff, v16
	s_delay_alu instid0(VALU_DEP_2) | instskip(NEXT) | instid1(VALU_DEP_2)
	v_dual_mov_b32 v15, v37 :: v_dual_add_nc_u32 v16, 14, v17
	v_add_nc_u32_e32 v14, v3, v14
                                        ; implicit-def: $vgpr3
	s_delay_alu instid0(VALU_DEP_2)
	v_cmpx_ne_u32_e32 0, v16
	s_xor_b32 s7, exec_lo, s7
; %bb.5583:                             ;   in Loop: Header=BB4_4959 Depth=2
	s_delay_alu instid0(VALU_DEP_2) | instskip(SKIP_1) | instid1(VALU_DEP_1)
	v_cmp_lt_u64_e32 vcc_lo, 0xffffff, v[14:15]
	v_add_nc_u32_e32 v3, 15, v17
	v_cndmask_b32_e32 v3, v16, v3, vcc_lo
	v_cndmask_b32_e64 v16, 0, 1, vcc_lo
	s_delay_alu instid0(VALU_DEP_1)
	v_lshrrev_b64 v[14:15], v16, v[14:15]
; %bb.5584:                             ;   in Loop: Header=BB4_4959 Depth=2
	s_and_not1_saveexec_b32 s7, s7
; %bb.5585:                             ;   in Loop: Header=BB4_4959 Depth=2
	s_delay_alu instid0(VALU_DEP_1)
	v_bfe_u32 v3, v14, 23, 1
; %bb.5586:                             ;   in Loop: Header=BB4_4959 Depth=2
	s_or_b32 exec_lo, exec_lo, s7
	s_delay_alu instid0(VALU_DEP_2) | instskip(NEXT) | instid1(VALU_DEP_2)
	v_lshrrev_b64 v[14:15], 21, v[14:15]
	v_cmp_gt_i32_e32 vcc_lo, 32, v3
	v_min_i32_e32 v16, 31, v3
	v_cmp_eq_u32_e64 s7, 0, v3
	s_delay_alu instid0(VALU_DEP_2) | instskip(SKIP_1) | instid1(VALU_DEP_2)
	v_dual_cndmask_b32 v14, 3, v14, vcc_lo :: v_dual_lshlrev_b32 v16, 2, v16
	v_cndmask_b32_e32 v15, 0, v15, vcc_lo
	v_and_b32_e32 v16, 0xfc, v16
	s_delay_alu instid0(VALU_DEP_2) | instskip(NEXT) | instid1(VALU_DEP_2)
	v_cmp_eq_u64_e32 vcc_lo, 0, v[14:15]
	v_and_or_b32 v3, v14, 3, v16
	s_and_b32 s7, s7, vcc_lo
	s_delay_alu instid0(VALU_DEP_1) | instid1(SALU_CYCLE_1)
	v_cndmask_b32_e64 v3, v3, 0, s7
	s_delay_alu instid0(VALU_DEP_1)
	v_or_b32_e32 v112, v3, v2
.LBB4_5587:                             ;   in Loop: Header=BB4_4959 Depth=2
	s_or_b32 exec_lo, exec_lo, s41
                                        ; implicit-def: $vgpr2
.LBB4_5588:                             ;   in Loop: Header=BB4_4959 Depth=2
	s_and_not1_saveexec_b32 s7, s40
; %bb.5589:                             ;   in Loop: Header=BB4_4959 Depth=2
	v_or_b32_e32 v112, 0x7b, v2
; %bb.5590:                             ;   in Loop: Header=BB4_4959 Depth=2
	s_or_b32 exec_lo, exec_lo, s7
                                        ; implicit-def: $vgpr3
                                        ; implicit-def: $vgpr14_vgpr15
                                        ; implicit-def: $vgpr2
.LBB4_5591:                             ;   in Loop: Header=BB4_4959 Depth=2
	s_and_not1_saveexec_b32 s7, s29
	s_cbranch_execz .LBB4_5597
; %bb.5592:                             ;   in Loop: Header=BB4_4959 Depth=2
	s_mov_b32 s29, exec_lo
                                        ; implicit-def: $vgpr112
	v_cmpx_ne_u64_e32 0, v[14:15]
	s_xor_b32 s29, exec_lo, s29
; %bb.5593:                             ;   in Loop: Header=BB4_4959 Depth=2
	v_or_b32_e32 v112, 0x7f, v2
                                        ; implicit-def: $vgpr3
; %bb.5594:                             ;   in Loop: Header=BB4_4959 Depth=2
	s_and_not1_saveexec_b32 s29, s29
; %bb.5595:                             ;   in Loop: Header=BB4_4959 Depth=2
	v_cmp_lt_i32_e32 vcc_lo, -1, v3
	v_cndmask_b32_e32 v112, 0xfc, v110, vcc_lo
; %bb.5596:                             ;   in Loop: Header=BB4_4959 Depth=2
	s_or_b32 exec_lo, exec_lo, s29
.LBB4_5597:                             ;   in Loop: Header=BB4_4959 Depth=2
	s_delay_alu instid0(SALU_CYCLE_1) | instskip(SKIP_3) | instid1(VALU_DEP_2)
	s_or_b32 exec_lo, exec_lo, s7
	v_lshrrev_b16 v14, 8, v36
	v_mov_b32_e32 v3, 0
	s_mov_b32 s7, exec_lo
	v_cmpx_ne_u16_e32 0, v14
	s_cbranch_execz .LBB4_5607
; %bb.5598:                             ;   in Loop: Header=BB4_4959 Depth=2
	v_bfrev_b32_e32 v3, 1
	s_mov_b32 s29, exec_lo
	v_cmpx_ne_u16_e32 0x80, v14
	s_cbranch_execz .LBB4_5606
; %bb.5599:                             ;   in Loop: Header=BB4_4959 Depth=2
	v_and_b32_e32 v15, 0xffff, v14
	s_delay_alu instid0(VALU_DEP_1) | instskip(SKIP_1) | instid1(VALU_DEP_2)
	v_and_b32_e32 v3, 0x7c, v15
	v_and_b32_e32 v2, 3, v15
	v_cmp_ne_u32_e32 vcc_lo, 0x7c, v3
                                        ; implicit-def: $vgpr3
	s_and_saveexec_b32 s40, vcc_lo
	s_delay_alu instid0(SALU_CYCLE_1)
	s_xor_b32 s40, exec_lo, s40
	s_cbranch_execz .LBB4_5603
; %bb.5600:                             ;   in Loop: Header=BB4_4959 Depth=2
	v_bfe_u32 v3, v15, 2, 5
	s_mov_b32 s41, exec_lo
	s_delay_alu instid0(VALU_DEP_1)
	v_cmpx_eq_u32_e32 0, v3
; %bb.5601:                             ;   in Loop: Header=BB4_4959 Depth=2
	v_clz_i32_u32_e32 v2, v2
	s_delay_alu instid0(VALU_DEP_1) | instskip(SKIP_1) | instid1(VALU_DEP_2)
	v_min_u32_e32 v16, 32, v2
	v_mov_b32_e32 v15, v37
	v_subrev_nc_u32_e32 v2, 29, v16
	s_delay_alu instid0(VALU_DEP_1) | instskip(NEXT) | instid1(VALU_DEP_1)
	v_lshlrev_b64_e32 v[2:3], v2, v[14:15]
	v_dual_sub_nc_u32 v3, 30, v16 :: v_dual_bitop2_b32 v2, 3, v2 bitop3:0x40
; %bb.5602:                             ;   in Loop: Header=BB4_4959 Depth=2
	s_or_b32 exec_lo, exec_lo, s41
	v_lshlrev_b32_e32 v14, 16, v36
	s_delay_alu instid0(VALU_DEP_1) | instskip(NEXT) | instid1(VALU_DEP_1)
	v_and_b32_e32 v14, 0x80000000, v14
	v_lshl_add_u32 v3, v3, 23, v14
	s_delay_alu instid0(VALU_DEP_1) | instskip(NEXT) | instid1(VALU_DEP_1)
	v_lshl_or_b32 v2, v2, 21, v3
	v_add_nc_u32_e32 v3, 0x38000000, v2
                                        ; implicit-def: $vgpr2
.LBB4_5603:                             ;   in Loop: Header=BB4_4959 Depth=2
	s_and_not1_saveexec_b32 s40, s40
; %bb.5604:                             ;   in Loop: Header=BB4_4959 Depth=2
	v_cmp_lt_i16_e32 vcc_lo, -1, v36
	v_cndmask_b32_e32 v3, 0xff800000, v109, vcc_lo
	v_cmp_eq_u32_e32 vcc_lo, 0, v2
	s_delay_alu instid0(VALU_DEP_2)
	v_cndmask_b32_e32 v3, 0x7f800001, v3, vcc_lo
; %bb.5605:                             ;   in Loop: Header=BB4_4959 Depth=2
	s_or_b32 exec_lo, exec_lo, s40
.LBB4_5606:                             ;   in Loop: Header=BB4_4959 Depth=2
	s_delay_alu instid0(SALU_CYCLE_1)
	s_or_b32 exec_lo, exec_lo, s29
.LBB4_5607:                             ;   in Loop: Header=BB4_4959 Depth=2
	s_delay_alu instid0(SALU_CYCLE_1) | instskip(NEXT) | instid1(VALU_DEP_1)
	s_or_b32 exec_lo, exec_lo, s7
	v_dual_mul_f32 v3, s28, v3 :: v_dual_mov_b32 v15, v37
                                        ; implicit-def: $vgpr118
	s_mov_b32 s7, exec_lo
	s_delay_alu instid0(VALU_DEP_1) | instskip(SKIP_2) | instid1(VALU_DEP_3)
	v_and_b32_e32 v14, 0x7f800000, v3
	v_and_b32_e32 v36, 0x7fffff, v3
	v_lshrrev_b32_e32 v2, 24, v3
	v_cmpx_ne_u64_e32 0x7f800000, v[14:15]
	s_xor_b32 s29, exec_lo, s7
	s_cbranch_execz .LBB4_5621
; %bb.5608:                             ;   in Loop: Header=BB4_4959 Depth=2
	v_and_b32_e32 v14, 0x7fffffff, v3
	v_mov_b32_e32 v15, v37
	v_and_b32_e32 v2, 0x80, v2
                                        ; implicit-def: $vgpr118
	s_mov_b32 s7, exec_lo
	s_delay_alu instid0(VALU_DEP_2)
	v_cmpx_gt_u64_e32 0x47600001, v[14:15]
	s_xor_b32 s40, exec_lo, s7
	s_cbranch_execz .LBB4_5618
; %bb.5609:                             ;   in Loop: Header=BB4_4959 Depth=2
	v_mov_b32_e32 v118, 0
	s_mov_b32 s41, exec_lo
	v_cmpx_ne_u32_e32 0, v3
	s_cbranch_execz .LBB4_5617
; %bb.5610:                             ;   in Loop: Header=BB4_4959 Depth=2
	v_bfe_u32 v3, v3, 23, 8
	v_or_b32_e32 v16, 0x800000, v36
	s_mov_b32 s42, exec_lo
	s_delay_alu instid0(VALU_DEP_2) | instskip(SKIP_1) | instid1(VALU_DEP_2)
	v_dual_mov_b32 v17, v37 :: v_dual_sub_nc_u32 v14, 0x71, v3
	v_cmp_gt_u32_e32 vcc_lo, 0x72, v3
	v_cndmask_b32_e32 v14, 0, v14, vcc_lo
	v_cmp_eq_u32_e32 vcc_lo, 0, v3
	s_delay_alu instid0(VALU_DEP_2) | instskip(SKIP_1) | instid1(VALU_DEP_2)
	v_cndmask_b32_e64 v20, v14, 0x70, vcc_lo
	v_cndmask_b32_e32 v16, v16, v36, vcc_lo
	v_dual_add_nc_u32 v14, 21, v20 :: v_dual_add_nc_u32 v21, 20, v20
	s_delay_alu instid0(VALU_DEP_1) | instskip(NEXT) | instid1(VALU_DEP_2)
	v_lshlrev_b64_e64 v[14:15], v14, -1
	v_lshlrev_b64_e64 v[24:25], v21, 1
	s_delay_alu instid0(VALU_DEP_2) | instskip(NEXT) | instid1(VALU_DEP_3)
	v_bfi_b32 v97, v15, 0, 0
	v_bfi_b32 v96, v14, 0, v16
	v_lshrrev_b64 v[14:15], v20, v[16:17]
	s_delay_alu instid0(VALU_DEP_1) | instskip(NEXT) | instid1(VALU_DEP_3)
	v_mov_b64_e32 v[16:17], v[14:15]
	v_cmpx_eq_u64_e64 v[96:97], v[24:25]
; %bb.5611:                             ;   in Loop: Header=BB4_4959 Depth=2
	v_bfe_u32 v16, v14, 21, 1
	v_mov_b32_e32 v17, v37
	s_delay_alu instid0(VALU_DEP_1) | instskip(NEXT) | instid1(VALU_DEP_1)
	v_add_nc_u64_e32 v[16:17], v[14:15], v[16:17]
	v_add_nc_u64_e32 v[16:17], -1, v[16:17]
; %bb.5612:                             ;   in Loop: Header=BB4_4959 Depth=2
	s_or_b32 exec_lo, exec_lo, s42
	v_add_nc_u32_e32 v3, 0xffffff81, v3
	v_lshrrev_b32_e32 v15, 23, v14
	s_mov_b32 s7, exec_lo
	s_delay_alu instid0(VALU_DEP_2) | instskip(NEXT) | instid1(VALU_DEP_1)
	v_cndmask_b32_e64 v3, v3, 0xffffff82, vcc_lo
	v_add3_u32 v17, v20, v3, v15
	v_and_b32_e32 v3, 0x1fffff, v16
	s_delay_alu instid0(VALU_DEP_1) | instskip(NEXT) | instid1(VALU_DEP_1)
	v_dual_add_nc_u32 v16, 14, v17 :: v_dual_add_nc_u32 v36, v3, v14
                                        ; implicit-def: $vgpr14_vgpr15
                                        ; implicit-def: $vgpr3
	v_cmpx_ne_u32_e32 0, v16
	s_xor_b32 s7, exec_lo, s7
; %bb.5613:                             ;   in Loop: Header=BB4_4959 Depth=2
	s_delay_alu instid0(VALU_DEP_2) | instskip(SKIP_2) | instid1(VALU_DEP_2)
	v_cmp_lt_u64_e32 vcc_lo, 0xffffff, v[36:37]
	v_add_nc_u32_e32 v3, 15, v17
	v_cndmask_b32_e64 v14, 0, 1, vcc_lo
	v_cndmask_b32_e32 v3, v16, v3, vcc_lo
	s_delay_alu instid0(VALU_DEP_2)
	v_lshrrev_b64 v[14:15], v14, v[36:37]
; %bb.5614:                             ;   in Loop: Header=BB4_4959 Depth=2
	s_and_not1_saveexec_b32 s7, s7
; %bb.5615:                             ;   in Loop: Header=BB4_4959 Depth=2
	v_mov_b64_e32 v[14:15], v[36:37]
	v_bfe_u32 v3, v36, 23, 1
; %bb.5616:                             ;   in Loop: Header=BB4_4959 Depth=2
	s_or_b32 exec_lo, exec_lo, s7
	s_delay_alu instid0(VALU_DEP_2) | instskip(NEXT) | instid1(VALU_DEP_2)
	v_lshrrev_b64 v[14:15], 21, v[14:15]
	v_cmp_gt_i32_e32 vcc_lo, 32, v3
	v_min_i32_e32 v16, 31, v3
	v_cmp_eq_u32_e64 s7, 0, v3
	s_delay_alu instid0(VALU_DEP_2) | instskip(SKIP_1) | instid1(VALU_DEP_2)
	v_dual_cndmask_b32 v14, 3, v14, vcc_lo :: v_dual_lshlrev_b32 v16, 2, v16
	v_cndmask_b32_e32 v15, 0, v15, vcc_lo
	v_and_b32_e32 v16, 0xfc, v16
	s_delay_alu instid0(VALU_DEP_2) | instskip(NEXT) | instid1(VALU_DEP_2)
	v_cmp_eq_u64_e32 vcc_lo, 0, v[14:15]
	v_and_or_b32 v3, v14, 3, v16
	s_and_b32 s7, s7, vcc_lo
	s_delay_alu instid0(VALU_DEP_1) | instid1(SALU_CYCLE_1)
	v_cndmask_b32_e64 v3, v3, 0, s7
	s_delay_alu instid0(VALU_DEP_1)
	v_or_b32_e32 v118, v3, v2
.LBB4_5617:                             ;   in Loop: Header=BB4_4959 Depth=2
	s_or_b32 exec_lo, exec_lo, s41
                                        ; implicit-def: $vgpr2
.LBB4_5618:                             ;   in Loop: Header=BB4_4959 Depth=2
	s_and_not1_saveexec_b32 s7, s40
; %bb.5619:                             ;   in Loop: Header=BB4_4959 Depth=2
	v_or_b32_e32 v118, 0x7b, v2
; %bb.5620:                             ;   in Loop: Header=BB4_4959 Depth=2
	s_or_b32 exec_lo, exec_lo, s7
                                        ; implicit-def: $vgpr3
                                        ; implicit-def: $vgpr2
.LBB4_5621:                             ;   in Loop: Header=BB4_4959 Depth=2
	s_and_not1_saveexec_b32 s7, s29
	s_cbranch_execz .LBB4_5627
; %bb.5622:                             ;   in Loop: Header=BB4_4959 Depth=2
	s_mov_b32 s29, exec_lo
                                        ; implicit-def: $vgpr118
	v_cmpx_ne_u64_e32 0, v[36:37]
	s_xor_b32 s29, exec_lo, s29
; %bb.5623:                             ;   in Loop: Header=BB4_4959 Depth=2
	v_or_b32_e32 v118, 0x7f, v2
                                        ; implicit-def: $vgpr3
; %bb.5624:                             ;   in Loop: Header=BB4_4959 Depth=2
	s_and_not1_saveexec_b32 s29, s29
; %bb.5625:                             ;   in Loop: Header=BB4_4959 Depth=2
	v_cmp_lt_i32_e32 vcc_lo, -1, v3
	v_cndmask_b32_e32 v118, 0xfc, v110, vcc_lo
; %bb.5626:                             ;   in Loop: Header=BB4_4959 Depth=2
	s_or_b32 exec_lo, exec_lo, s29
.LBB4_5627:                             ;   in Loop: Header=BB4_4959 Depth=2
	s_delay_alu instid0(SALU_CYCLE_1) | instskip(SKIP_2) | instid1(VALU_DEP_1)
	s_or_b32 exec_lo, exec_lo, s7
	v_dual_mov_b32 v3, 0 :: v_dual_lshrrev_b32 v14, 16, v11
	s_mov_b32 s7, exec_lo
	v_and_b32_e32 v2, 0xff, v14
	s_delay_alu instid0(VALU_DEP_1)
	v_cmpx_ne_u16_e32 0, v2
	s_cbranch_execz .LBB4_5637
; %bb.5628:                             ;   in Loop: Header=BB4_4959 Depth=2
	v_bfrev_b32_e32 v3, 1
	s_mov_b32 s29, exec_lo
	v_cmpx_ne_u16_e32 0x80, v2
	s_cbranch_execz .LBB4_5636
; %bb.5629:                             ;   in Loop: Header=BB4_4959 Depth=2
	v_and_b32_e32 v3, 0x7c0000, v11
	v_bfe_u32 v2, v11, 16, 2
	s_delay_alu instid0(VALU_DEP_2) | instskip(SKIP_1) | instid1(SALU_CYCLE_1)
	v_cmp_ne_u32_e32 vcc_lo, 0x7c0000, v3
                                        ; implicit-def: $vgpr3
	s_and_saveexec_b32 s40, vcc_lo
	s_xor_b32 s40, exec_lo, s40
	s_cbranch_execz .LBB4_5633
; %bb.5630:                             ;   in Loop: Header=BB4_4959 Depth=2
	v_bfe_u32 v3, v11, 18, 5
	s_mov_b32 s41, exec_lo
	s_delay_alu instid0(VALU_DEP_1)
	v_cmpx_eq_u32_e32 0, v3
; %bb.5631:                             ;   in Loop: Header=BB4_4959 Depth=2
	v_clz_i32_u32_e32 v2, v2
	s_delay_alu instid0(VALU_DEP_1) | instskip(NEXT) | instid1(VALU_DEP_1)
	v_min_u32_e32 v15, 32, v2
	v_subrev_nc_u32_e32 v2, 29, v15
	s_delay_alu instid0(VALU_DEP_1) | instskip(NEXT) | instid1(VALU_DEP_1)
	v_lshlrev_b64_e32 v[2:3], v2, v[14:15]
	v_dual_sub_nc_u32 v3, 30, v15 :: v_dual_bitop2_b32 v2, 3, v2 bitop3:0x40
; %bb.5632:                             ;   in Loop: Header=BB4_4959 Depth=2
	s_or_b32 exec_lo, exec_lo, s41
	v_lshlrev_b32_e32 v14, 24, v14
	s_delay_alu instid0(VALU_DEP_1) | instskip(NEXT) | instid1(VALU_DEP_1)
	v_and_b32_e32 v14, 0x80000000, v14
	v_lshl_add_u32 v3, v3, 23, v14
                                        ; implicit-def: $vgpr14
	s_delay_alu instid0(VALU_DEP_1) | instskip(NEXT) | instid1(VALU_DEP_1)
	v_lshl_or_b32 v2, v2, 21, v3
	v_add_nc_u32_e32 v3, 0x38000000, v2
                                        ; implicit-def: $vgpr2
.LBB4_5633:                             ;   in Loop: Header=BB4_4959 Depth=2
	s_and_not1_saveexec_b32 s40, s40
; %bb.5634:                             ;   in Loop: Header=BB4_4959 Depth=2
	v_bfe_i32 v3, v14, 0, 8
	s_delay_alu instid0(VALU_DEP_1) | instskip(SKIP_2) | instid1(VALU_DEP_2)
	v_cmp_lt_i16_e32 vcc_lo, -1, v3
	v_cndmask_b32_e32 v3, 0xff800000, v109, vcc_lo
	v_cmp_eq_u32_e32 vcc_lo, 0, v2
	v_cndmask_b32_e32 v3, 0x7f800001, v3, vcc_lo
; %bb.5635:                             ;   in Loop: Header=BB4_4959 Depth=2
	s_or_b32 exec_lo, exec_lo, s40
.LBB4_5636:                             ;   in Loop: Header=BB4_4959 Depth=2
	s_delay_alu instid0(SALU_CYCLE_1)
	s_or_b32 exec_lo, exec_lo, s29
.LBB4_5637:                             ;   in Loop: Header=BB4_4959 Depth=2
	s_delay_alu instid0(SALU_CYCLE_1) | instskip(NEXT) | instid1(VALU_DEP_1)
	s_or_b32 exec_lo, exec_lo, s7
	v_dual_mul_f32 v3, s28, v3 :: v_dual_mov_b32 v15, v37
                                        ; implicit-def: $vgpr40
	s_mov_b32 s7, exec_lo
	s_delay_alu instid0(VALU_DEP_1) | instskip(SKIP_2) | instid1(VALU_DEP_3)
	v_and_b32_e32 v14, 0x7f800000, v3
	v_and_b32_e32 v36, 0x7fffff, v3
	v_lshrrev_b32_e32 v2, 24, v3
	v_cmpx_ne_u64_e32 0x7f800000, v[14:15]
	s_xor_b32 s29, exec_lo, s7
	s_cbranch_execz .LBB4_5651
; %bb.5638:                             ;   in Loop: Header=BB4_4959 Depth=2
	v_and_b32_e32 v14, 0x7fffffff, v3
	v_mov_b32_e32 v15, v37
	v_and_b32_e32 v2, 0x80, v2
                                        ; implicit-def: $vgpr40
	s_mov_b32 s7, exec_lo
	s_delay_alu instid0(VALU_DEP_2)
	v_cmpx_gt_u64_e32 0x47600001, v[14:15]
	s_xor_b32 s40, exec_lo, s7
	s_cbranch_execz .LBB4_5648
; %bb.5639:                             ;   in Loop: Header=BB4_4959 Depth=2
	v_mov_b32_e32 v40, 0
	s_mov_b32 s41, exec_lo
	v_cmpx_ne_u32_e32 0, v3
	s_cbranch_execz .LBB4_5647
; %bb.5640:                             ;   in Loop: Header=BB4_4959 Depth=2
	v_bfe_u32 v3, v3, 23, 8
	v_or_b32_e32 v16, 0x800000, v36
	s_mov_b32 s42, exec_lo
	s_delay_alu instid0(VALU_DEP_2) | instskip(SKIP_1) | instid1(VALU_DEP_2)
	v_dual_mov_b32 v17, v37 :: v_dual_sub_nc_u32 v14, 0x71, v3
	v_cmp_gt_u32_e32 vcc_lo, 0x72, v3
	v_cndmask_b32_e32 v14, 0, v14, vcc_lo
	v_cmp_eq_u32_e32 vcc_lo, 0, v3
	s_delay_alu instid0(VALU_DEP_2) | instskip(SKIP_1) | instid1(VALU_DEP_2)
	v_cndmask_b32_e64 v20, v14, 0x70, vcc_lo
	v_cndmask_b32_e32 v16, v16, v36, vcc_lo
	v_dual_add_nc_u32 v14, 21, v20 :: v_dual_add_nc_u32 v21, 20, v20
	s_delay_alu instid0(VALU_DEP_1) | instskip(NEXT) | instid1(VALU_DEP_2)
	v_lshlrev_b64_e64 v[14:15], v14, -1
	v_lshlrev_b64_e64 v[24:25], v21, 1
	s_delay_alu instid0(VALU_DEP_2) | instskip(NEXT) | instid1(VALU_DEP_3)
	v_bfi_b32 v97, v15, 0, 0
	v_bfi_b32 v96, v14, 0, v16
	v_lshrrev_b64 v[14:15], v20, v[16:17]
	s_delay_alu instid0(VALU_DEP_1) | instskip(NEXT) | instid1(VALU_DEP_3)
	v_mov_b64_e32 v[16:17], v[14:15]
	v_cmpx_eq_u64_e64 v[96:97], v[24:25]
; %bb.5641:                             ;   in Loop: Header=BB4_4959 Depth=2
	v_bfe_u32 v16, v14, 21, 1
	v_mov_b32_e32 v17, v37
	s_delay_alu instid0(VALU_DEP_1) | instskip(NEXT) | instid1(VALU_DEP_1)
	v_add_nc_u64_e32 v[16:17], v[14:15], v[16:17]
	v_add_nc_u64_e32 v[16:17], -1, v[16:17]
; %bb.5642:                             ;   in Loop: Header=BB4_4959 Depth=2
	s_or_b32 exec_lo, exec_lo, s42
	v_add_nc_u32_e32 v3, 0xffffff81, v3
	v_lshrrev_b32_e32 v15, 23, v14
	s_mov_b32 s7, exec_lo
	s_delay_alu instid0(VALU_DEP_2) | instskip(NEXT) | instid1(VALU_DEP_1)
	v_cndmask_b32_e64 v3, v3, 0xffffff82, vcc_lo
	v_add3_u32 v17, v20, v3, v15
	v_and_b32_e32 v3, 0x1fffff, v16
	s_delay_alu instid0(VALU_DEP_1) | instskip(NEXT) | instid1(VALU_DEP_1)
	v_dual_add_nc_u32 v16, 14, v17 :: v_dual_add_nc_u32 v36, v3, v14
                                        ; implicit-def: $vgpr14_vgpr15
                                        ; implicit-def: $vgpr3
	v_cmpx_ne_u32_e32 0, v16
	s_xor_b32 s7, exec_lo, s7
; %bb.5643:                             ;   in Loop: Header=BB4_4959 Depth=2
	s_delay_alu instid0(VALU_DEP_2) | instskip(SKIP_2) | instid1(VALU_DEP_2)
	v_cmp_lt_u64_e32 vcc_lo, 0xffffff, v[36:37]
	v_add_nc_u32_e32 v3, 15, v17
	v_cndmask_b32_e64 v14, 0, 1, vcc_lo
	v_cndmask_b32_e32 v3, v16, v3, vcc_lo
	s_delay_alu instid0(VALU_DEP_2)
	v_lshrrev_b64 v[14:15], v14, v[36:37]
; %bb.5644:                             ;   in Loop: Header=BB4_4959 Depth=2
	s_and_not1_saveexec_b32 s7, s7
; %bb.5645:                             ;   in Loop: Header=BB4_4959 Depth=2
	v_mov_b64_e32 v[14:15], v[36:37]
	v_bfe_u32 v3, v36, 23, 1
; %bb.5646:                             ;   in Loop: Header=BB4_4959 Depth=2
	s_or_b32 exec_lo, exec_lo, s7
	s_delay_alu instid0(VALU_DEP_2) | instskip(NEXT) | instid1(VALU_DEP_2)
	v_lshrrev_b64 v[14:15], 21, v[14:15]
	v_cmp_gt_i32_e32 vcc_lo, 32, v3
	v_min_i32_e32 v16, 31, v3
	v_cmp_eq_u32_e64 s7, 0, v3
	s_delay_alu instid0(VALU_DEP_2) | instskip(SKIP_1) | instid1(VALU_DEP_2)
	v_dual_cndmask_b32 v14, 3, v14, vcc_lo :: v_dual_lshlrev_b32 v16, 2, v16
	v_cndmask_b32_e32 v15, 0, v15, vcc_lo
	v_and_b32_e32 v16, 0xfc, v16
	s_delay_alu instid0(VALU_DEP_2) | instskip(NEXT) | instid1(VALU_DEP_2)
	v_cmp_eq_u64_e32 vcc_lo, 0, v[14:15]
	v_and_or_b32 v3, v14, 3, v16
	s_and_b32 s7, s7, vcc_lo
	s_delay_alu instid0(VALU_DEP_1) | instid1(SALU_CYCLE_1)
	v_cndmask_b32_e64 v3, v3, 0, s7
	s_delay_alu instid0(VALU_DEP_1)
	v_or_b32_e32 v40, v3, v2
.LBB4_5647:                             ;   in Loop: Header=BB4_4959 Depth=2
	s_or_b32 exec_lo, exec_lo, s41
                                        ; implicit-def: $vgpr2
.LBB4_5648:                             ;   in Loop: Header=BB4_4959 Depth=2
	s_and_not1_saveexec_b32 s7, s40
; %bb.5649:                             ;   in Loop: Header=BB4_4959 Depth=2
	v_or_b32_e32 v40, 0x7b, v2
; %bb.5650:                             ;   in Loop: Header=BB4_4959 Depth=2
	s_or_b32 exec_lo, exec_lo, s7
                                        ; implicit-def: $vgpr3
                                        ; implicit-def: $vgpr2
.LBB4_5651:                             ;   in Loop: Header=BB4_4959 Depth=2
	s_and_not1_saveexec_b32 s7, s29
	s_cbranch_execz .LBB4_5657
; %bb.5652:                             ;   in Loop: Header=BB4_4959 Depth=2
	s_mov_b32 s29, exec_lo
                                        ; implicit-def: $vgpr40
	v_cmpx_ne_u64_e32 0, v[36:37]
	s_xor_b32 s29, exec_lo, s29
; %bb.5653:                             ;   in Loop: Header=BB4_4959 Depth=2
	v_or_b32_e32 v40, 0x7f, v2
                                        ; implicit-def: $vgpr3
; %bb.5654:                             ;   in Loop: Header=BB4_4959 Depth=2
	s_and_not1_saveexec_b32 s29, s29
; %bb.5655:                             ;   in Loop: Header=BB4_4959 Depth=2
	v_cmp_lt_i32_e32 vcc_lo, -1, v3
	v_cndmask_b32_e32 v40, 0xfc, v110, vcc_lo
; %bb.5656:                             ;   in Loop: Header=BB4_4959 Depth=2
	s_or_b32 exec_lo, exec_lo, s29
.LBB4_5657:                             ;   in Loop: Header=BB4_4959 Depth=2
	s_delay_alu instid0(SALU_CYCLE_1)
	s_or_b32 exec_lo, exec_lo, s7
	v_mov_b32_e32 v2, 0
	s_mov_b32 s7, exec_lo
	v_cmpx_lt_u64_e64 s[12:13], v[10:11]
	s_cbranch_execz .LBB4_5667
; %bb.5658:                             ;   in Loop: Header=BB4_4959 Depth=2
	v_lshrrev_b32_e32 v14, 24, v11
	v_bfrev_b32_e32 v2, 1
	s_mov_b32 s29, exec_lo
	s_delay_alu instid0(VALU_DEP_2)
	v_cmpx_ne_u32_e32 0x80, v14
	s_cbranch_execz .LBB4_5666
; %bb.5659:                             ;   in Loop: Header=BB4_4959 Depth=2
	v_and_b32_e32 v2, 0x7c000000, v11
	v_bfe_u32 v3, v11, 24, 2
	s_delay_alu instid0(VALU_DEP_2) | instskip(SKIP_1) | instid1(SALU_CYCLE_1)
	v_cmp_ne_u32_e32 vcc_lo, 0x7c000000, v2
                                        ; implicit-def: $vgpr2
	s_and_saveexec_b32 s40, vcc_lo
	s_xor_b32 s40, exec_lo, s40
	s_cbranch_execz .LBB4_5663
; %bb.5660:                             ;   in Loop: Header=BB4_4959 Depth=2
	v_bfe_u32 v2, v11, 26, 5
	s_mov_b32 s41, exec_lo
	s_delay_alu instid0(VALU_DEP_1)
	v_cmpx_eq_u32_e32 0, v2
; %bb.5661:                             ;   in Loop: Header=BB4_4959 Depth=2
	v_clz_i32_u32_e32 v2, v3
	s_delay_alu instid0(VALU_DEP_1) | instskip(NEXT) | instid1(VALU_DEP_1)
	v_min_u32_e32 v2, 32, v2
	v_subrev_nc_u32_e32 v3, 29, v2
	v_sub_nc_u32_e32 v2, 30, v2
	s_delay_alu instid0(VALU_DEP_2) | instskip(NEXT) | instid1(VALU_DEP_1)
	v_lshlrev_b64_e32 v[14:15], v3, v[14:15]
	v_and_b32_e32 v3, 3, v14
; %bb.5662:                             ;   in Loop: Header=BB4_4959 Depth=2
	s_or_b32 exec_lo, exec_lo, s41
	v_and_b32_e32 v14, 0x80000000, v11
	s_delay_alu instid0(VALU_DEP_1) | instskip(NEXT) | instid1(VALU_DEP_1)
	v_lshl_add_u32 v2, v2, 23, v14
	v_lshl_or_b32 v2, v3, 21, v2
                                        ; implicit-def: $vgpr3
	s_delay_alu instid0(VALU_DEP_1)
	v_add_nc_u32_e32 v2, 0x38000000, v2
.LBB4_5663:                             ;   in Loop: Header=BB4_4959 Depth=2
	s_and_not1_saveexec_b32 s40, s40
; %bb.5664:                             ;   in Loop: Header=BB4_4959 Depth=2
	v_cmp_lt_i64_e32 vcc_lo, -1, v[10:11]
	v_cndmask_b32_e32 v2, 0xff800000, v109, vcc_lo
	v_cmp_eq_u32_e32 vcc_lo, 0, v3
	s_delay_alu instid0(VALU_DEP_2)
	v_cndmask_b32_e32 v2, 0x7f800001, v2, vcc_lo
; %bb.5665:                             ;   in Loop: Header=BB4_4959 Depth=2
	s_or_b32 exec_lo, exec_lo, s40
.LBB4_5666:                             ;   in Loop: Header=BB4_4959 Depth=2
	s_delay_alu instid0(SALU_CYCLE_1)
	s_or_b32 exec_lo, exec_lo, s29
.LBB4_5667:                             ;   in Loop: Header=BB4_4959 Depth=2
	s_delay_alu instid0(SALU_CYCLE_1) | instskip(NEXT) | instid1(VALU_DEP_1)
	s_or_b32 exec_lo, exec_lo, s7
	v_dual_mul_f32 v3, s28, v2 :: v_dual_mov_b32 v11, v37
                                        ; implicit-def: $vgpr44
	s_mov_b32 s7, exec_lo
	s_delay_alu instid0(VALU_DEP_1) | instskip(SKIP_2) | instid1(VALU_DEP_3)
	v_and_b32_e32 v10, 0x7f800000, v3
	v_and_b32_e32 v36, 0x7fffff, v3
	v_lshrrev_b32_e32 v2, 24, v3
	v_cmpx_ne_u64_e32 0x7f800000, v[10:11]
	s_xor_b32 s29, exec_lo, s7
	s_cbranch_execz .LBB4_5681
; %bb.5668:                             ;   in Loop: Header=BB4_4959 Depth=2
	v_and_b32_e32 v10, 0x7fffffff, v3
	v_mov_b32_e32 v11, v37
	v_and_b32_e32 v2, 0x80, v2
                                        ; implicit-def: $vgpr44
	s_mov_b32 s7, exec_lo
	s_delay_alu instid0(VALU_DEP_2)
	v_cmpx_gt_u64_e32 0x47600001, v[10:11]
	s_xor_b32 s40, exec_lo, s7
	s_cbranch_execz .LBB4_5678
; %bb.5669:                             ;   in Loop: Header=BB4_4959 Depth=2
	v_mov_b32_e32 v44, 0
	s_mov_b32 s41, exec_lo
	v_cmpx_ne_u32_e32 0, v3
	s_cbranch_execz .LBB4_5677
; %bb.5670:                             ;   in Loop: Header=BB4_4959 Depth=2
	v_bfe_u32 v3, v3, 23, 8
	v_or_b32_e32 v14, 0x800000, v36
	s_mov_b32 s42, exec_lo
	s_delay_alu instid0(VALU_DEP_2) | instskip(SKIP_1) | instid1(VALU_DEP_2)
	v_dual_mov_b32 v15, v37 :: v_dual_sub_nc_u32 v10, 0x71, v3
	v_cmp_gt_u32_e32 vcc_lo, 0x72, v3
	v_cndmask_b32_e32 v10, 0, v10, vcc_lo
	v_cmp_eq_u32_e32 vcc_lo, 0, v3
	s_delay_alu instid0(VALU_DEP_2) | instskip(SKIP_1) | instid1(VALU_DEP_2)
	v_cndmask_b32_e64 v16, v10, 0x70, vcc_lo
	v_cndmask_b32_e32 v14, v14, v36, vcc_lo
	v_dual_add_nc_u32 v10, 21, v16 :: v_dual_add_nc_u32 v17, 20, v16
	s_delay_alu instid0(VALU_DEP_1) | instskip(NEXT) | instid1(VALU_DEP_2)
	v_lshlrev_b64_e64 v[10:11], v10, -1
	v_lshlrev_b64_e64 v[20:21], v17, 1
	s_delay_alu instid0(VALU_DEP_2) | instskip(NEXT) | instid1(VALU_DEP_3)
	v_bfi_b32 v25, v11, 0, 0
	v_bfi_b32 v24, v10, 0, v14
	v_lshrrev_b64 v[10:11], v16, v[14:15]
	s_delay_alu instid0(VALU_DEP_1) | instskip(NEXT) | instid1(VALU_DEP_3)
	v_mov_b64_e32 v[14:15], v[10:11]
	v_cmpx_eq_u64_e64 v[24:25], v[20:21]
; %bb.5671:                             ;   in Loop: Header=BB4_4959 Depth=2
	v_bfe_u32 v14, v10, 21, 1
	v_mov_b32_e32 v15, v37
	s_delay_alu instid0(VALU_DEP_1) | instskip(NEXT) | instid1(VALU_DEP_1)
	v_add_nc_u64_e32 v[14:15], v[10:11], v[14:15]
	v_add_nc_u64_e32 v[14:15], -1, v[14:15]
; %bb.5672:                             ;   in Loop: Header=BB4_4959 Depth=2
	s_or_b32 exec_lo, exec_lo, s42
	v_add_nc_u32_e32 v3, 0xffffff81, v3
	v_lshrrev_b32_e32 v11, 23, v10
	s_mov_b32 s7, exec_lo
	s_delay_alu instid0(VALU_DEP_2) | instskip(NEXT) | instid1(VALU_DEP_1)
	v_cndmask_b32_e64 v3, v3, 0xffffff82, vcc_lo
	v_add3_u32 v15, v16, v3, v11
	v_and_b32_e32 v3, 0x1fffff, v14
	s_delay_alu instid0(VALU_DEP_1) | instskip(NEXT) | instid1(VALU_DEP_1)
	v_dual_add_nc_u32 v14, 14, v15 :: v_dual_add_nc_u32 v36, v3, v10
                                        ; implicit-def: $vgpr10_vgpr11
                                        ; implicit-def: $vgpr3
	v_cmpx_ne_u32_e32 0, v14
	s_xor_b32 s7, exec_lo, s7
; %bb.5673:                             ;   in Loop: Header=BB4_4959 Depth=2
	s_delay_alu instid0(VALU_DEP_2) | instskip(SKIP_2) | instid1(VALU_DEP_2)
	v_cmp_lt_u64_e32 vcc_lo, 0xffffff, v[36:37]
	v_add_nc_u32_e32 v3, 15, v15
	v_cndmask_b32_e64 v10, 0, 1, vcc_lo
	v_cndmask_b32_e32 v3, v14, v3, vcc_lo
	s_delay_alu instid0(VALU_DEP_2)
	v_lshrrev_b64 v[10:11], v10, v[36:37]
; %bb.5674:                             ;   in Loop: Header=BB4_4959 Depth=2
	s_and_not1_saveexec_b32 s7, s7
; %bb.5675:                             ;   in Loop: Header=BB4_4959 Depth=2
	v_mov_b64_e32 v[10:11], v[36:37]
	v_bfe_u32 v3, v36, 23, 1
; %bb.5676:                             ;   in Loop: Header=BB4_4959 Depth=2
	s_or_b32 exec_lo, exec_lo, s7
	s_delay_alu instid0(VALU_DEP_2) | instskip(NEXT) | instid1(VALU_DEP_2)
	v_lshrrev_b64 v[10:11], 21, v[10:11]
	v_cmp_gt_i32_e32 vcc_lo, 32, v3
	v_min_i32_e32 v14, 31, v3
	v_cmp_eq_u32_e64 s7, 0, v3
	s_delay_alu instid0(VALU_DEP_4) | instskip(NEXT) | instid1(VALU_DEP_3)
	v_cndmask_b32_e32 v10, 3, v10, vcc_lo
	v_dual_cndmask_b32 v11, 0, v11 :: v_dual_lshlrev_b32 v14, 2, v14
	s_delay_alu instid0(VALU_DEP_1) | instskip(NEXT) | instid1(VALU_DEP_2)
	v_and_b32_e32 v14, 0xfc, v14
	v_cmp_eq_u64_e32 vcc_lo, 0, v[10:11]
	s_delay_alu instid0(VALU_DEP_2)
	v_and_or_b32 v3, v10, 3, v14
	s_and_b32 s7, s7, vcc_lo
	s_delay_alu instid0(VALU_DEP_1) | instid1(SALU_CYCLE_1)
	v_cndmask_b32_e64 v3, v3, 0, s7
	s_delay_alu instid0(VALU_DEP_1)
	v_or_b32_e32 v44, v3, v2
.LBB4_5677:                             ;   in Loop: Header=BB4_4959 Depth=2
	s_or_b32 exec_lo, exec_lo, s41
                                        ; implicit-def: $vgpr2
.LBB4_5678:                             ;   in Loop: Header=BB4_4959 Depth=2
	s_and_not1_saveexec_b32 s7, s40
; %bb.5679:                             ;   in Loop: Header=BB4_4959 Depth=2
	v_or_b32_e32 v44, 0x7b, v2
; %bb.5680:                             ;   in Loop: Header=BB4_4959 Depth=2
	s_or_b32 exec_lo, exec_lo, s7
                                        ; implicit-def: $vgpr3
                                        ; implicit-def: $vgpr2
.LBB4_5681:                             ;   in Loop: Header=BB4_4959 Depth=2
	s_and_not1_saveexec_b32 s7, s29
	s_cbranch_execz .LBB4_5687
; %bb.5682:                             ;   in Loop: Header=BB4_4959 Depth=2
	s_mov_b32 s29, exec_lo
                                        ; implicit-def: $vgpr44
	v_cmpx_ne_u64_e32 0, v[36:37]
	s_xor_b32 s29, exec_lo, s29
; %bb.5683:                             ;   in Loop: Header=BB4_4959 Depth=2
	v_or_b32_e32 v44, 0x7f, v2
                                        ; implicit-def: $vgpr3
; %bb.5684:                             ;   in Loop: Header=BB4_4959 Depth=2
	s_and_not1_saveexec_b32 s29, s29
; %bb.5685:                             ;   in Loop: Header=BB4_4959 Depth=2
	v_cmp_lt_i32_e32 vcc_lo, -1, v3
	v_cndmask_b32_e32 v44, 0xfc, v110, vcc_lo
; %bb.5686:                             ;   in Loop: Header=BB4_4959 Depth=2
	s_or_b32 exec_lo, exec_lo, s29
.LBB4_5687:                             ;   in Loop: Header=BB4_4959 Depth=2
	s_delay_alu instid0(SALU_CYCLE_1) | instskip(SKIP_1) | instid1(VALU_DEP_1)
	s_or_b32 exec_lo, exec_lo, s7
	v_and_b32_e32 v2, 0xff, v12
	v_cmp_ne_u16_e32 vcc_lo, 0, v2
	v_mov_b32_e32 v2, 0
	s_and_saveexec_b32 s7, vcc_lo
	s_cbranch_execz .LBB4_5697
; %bb.5688:                             ;   in Loop: Header=BB4_4959 Depth=2
	v_bfe_i32 v10, v12, 0, 8
	v_bfrev_b32_e32 v2, 1
	s_mov_b32 s29, exec_lo
	s_delay_alu instid0(VALU_DEP_2)
	v_cmpx_ne_u16_e32 0xff80, v10
	s_cbranch_execz .LBB4_5696
; %bb.5689:                             ;   in Loop: Header=BB4_4959 Depth=2
	v_and_b32_e32 v2, 0x7c, v12
	v_and_b32_e32 v3, 3, v12
	s_delay_alu instid0(VALU_DEP_2) | instskip(SKIP_1) | instid1(SALU_CYCLE_1)
	v_cmp_ne_u32_e32 vcc_lo, 0x7c, v2
                                        ; implicit-def: $vgpr2
	s_and_saveexec_b32 s40, vcc_lo
	s_xor_b32 s40, exec_lo, s40
	s_cbranch_execz .LBB4_5693
; %bb.5690:                             ;   in Loop: Header=BB4_4959 Depth=2
	v_bfe_u32 v2, v12, 2, 5
	s_mov_b32 s41, exec_lo
	s_delay_alu instid0(VALU_DEP_1)
	v_cmpx_eq_u32_e32 0, v2
; %bb.5691:                             ;   in Loop: Header=BB4_4959 Depth=2
	v_clz_i32_u32_e32 v2, v3
	s_delay_alu instid0(VALU_DEP_1) | instskip(NEXT) | instid1(VALU_DEP_1)
	v_min_u32_e32 v2, 32, v2
	v_subrev_nc_u32_e32 v3, 29, v2
	v_sub_nc_u32_e32 v2, 30, v2
	s_delay_alu instid0(VALU_DEP_2) | instskip(NEXT) | instid1(VALU_DEP_1)
	v_lshlrev_b64_e32 v[10:11], v3, v[12:13]
	v_and_b32_e32 v3, 3, v10
; %bb.5692:                             ;   in Loop: Header=BB4_4959 Depth=2
	s_or_b32 exec_lo, exec_lo, s41
	v_lshlrev_b32_e32 v10, 24, v12
	s_delay_alu instid0(VALU_DEP_1) | instskip(NEXT) | instid1(VALU_DEP_1)
	v_and_b32_e32 v10, 0x80000000, v10
	v_lshl_add_u32 v2, v2, 23, v10
                                        ; implicit-def: $vgpr10
	s_delay_alu instid0(VALU_DEP_1) | instskip(NEXT) | instid1(VALU_DEP_1)
	v_lshl_or_b32 v2, v3, 21, v2
                                        ; implicit-def: $vgpr3
	v_add_nc_u32_e32 v2, 0x38000000, v2
.LBB4_5693:                             ;   in Loop: Header=BB4_4959 Depth=2
	s_and_not1_saveexec_b32 s40, s40
; %bb.5694:                             ;   in Loop: Header=BB4_4959 Depth=2
	v_cmp_lt_i16_e32 vcc_lo, -1, v10
	v_cndmask_b32_e32 v2, 0xff800000, v109, vcc_lo
	v_cmp_eq_u32_e32 vcc_lo, 0, v3
	s_delay_alu instid0(VALU_DEP_2)
	v_cndmask_b32_e32 v2, 0x7f800001, v2, vcc_lo
; %bb.5695:                             ;   in Loop: Header=BB4_4959 Depth=2
	s_or_b32 exec_lo, exec_lo, s40
.LBB4_5696:                             ;   in Loop: Header=BB4_4959 Depth=2
	s_delay_alu instid0(SALU_CYCLE_1)
	s_or_b32 exec_lo, exec_lo, s29
.LBB4_5697:                             ;   in Loop: Header=BB4_4959 Depth=2
	s_delay_alu instid0(SALU_CYCLE_1) | instskip(NEXT) | instid1(VALU_DEP_1)
	s_or_b32 exec_lo, exec_lo, s7
	v_dual_mul_f32 v10, s28, v2 :: v_dual_mov_b32 v3, v37
	s_delay_alu instid0(VALU_DEP_1) | instskip(SKIP_1) | instid1(VALU_DEP_2)
	v_and_b32_e32 v2, 0x7f800000, v10
	v_and_b32_e32 v36, 0x7fffff, v10
	v_cmp_ne_u64_e32 vcc_lo, 0x7f800000, v[2:3]
	v_lshrrev_b32_e32 v2, 24, v10
                                        ; implicit-def: $vgpr3
	s_and_saveexec_b32 s7, vcc_lo
	s_delay_alu instid0(SALU_CYCLE_1)
	s_xor_b32 s29, exec_lo, s7
	s_cbranch_execz .LBB4_5711
; %bb.5698:                             ;   in Loop: Header=BB4_4959 Depth=2
	v_and_b32_e32 v14, 0x7fffffff, v10
	v_mov_b32_e32 v15, v37
	v_and_b32_e32 v2, 0x80, v2
                                        ; implicit-def: $vgpr3
	s_mov_b32 s7, exec_lo
	s_delay_alu instid0(VALU_DEP_2)
	v_cmpx_gt_u64_e32 0x47600001, v[14:15]
	s_xor_b32 s40, exec_lo, s7
	s_cbranch_execz .LBB4_5708
; %bb.5699:                             ;   in Loop: Header=BB4_4959 Depth=2
	v_mov_b32_e32 v3, 0
	s_mov_b32 s41, exec_lo
	v_cmpx_ne_u32_e32 0, v10
	s_cbranch_execz .LBB4_5707
; %bb.5700:                             ;   in Loop: Header=BB4_4959 Depth=2
	v_bfe_u32 v3, v10, 23, 8
	v_or_b32_e32 v14, 0x800000, v36
	s_mov_b32 s42, exec_lo
	s_delay_alu instid0(VALU_DEP_2) | instskip(SKIP_1) | instid1(VALU_DEP_2)
	v_dual_mov_b32 v15, v37 :: v_dual_sub_nc_u32 v10, 0x71, v3
	v_cmp_gt_u32_e32 vcc_lo, 0x72, v3
	v_cndmask_b32_e32 v10, 0, v10, vcc_lo
	v_cmp_eq_u32_e32 vcc_lo, 0, v3
	s_delay_alu instid0(VALU_DEP_2) | instskip(SKIP_1) | instid1(VALU_DEP_2)
	v_cndmask_b32_e64 v16, v10, 0x70, vcc_lo
	v_cndmask_b32_e32 v14, v14, v36, vcc_lo
	v_dual_add_nc_u32 v10, 21, v16 :: v_dual_add_nc_u32 v17, 20, v16
	s_delay_alu instid0(VALU_DEP_1) | instskip(NEXT) | instid1(VALU_DEP_2)
	v_lshlrev_b64_e64 v[10:11], v10, -1
	v_lshlrev_b64_e64 v[20:21], v17, 1
	s_delay_alu instid0(VALU_DEP_2) | instskip(NEXT) | instid1(VALU_DEP_3)
	v_bfi_b32 v25, v11, 0, 0
	v_bfi_b32 v24, v10, 0, v14
	v_lshrrev_b64 v[10:11], v16, v[14:15]
	s_delay_alu instid0(VALU_DEP_1) | instskip(NEXT) | instid1(VALU_DEP_3)
	v_mov_b64_e32 v[14:15], v[10:11]
	v_cmpx_eq_u64_e64 v[24:25], v[20:21]
; %bb.5701:                             ;   in Loop: Header=BB4_4959 Depth=2
	v_bfe_u32 v14, v10, 21, 1
	v_mov_b32_e32 v15, v37
	s_delay_alu instid0(VALU_DEP_1) | instskip(NEXT) | instid1(VALU_DEP_1)
	v_add_nc_u64_e32 v[14:15], v[10:11], v[14:15]
	v_add_nc_u64_e32 v[14:15], -1, v[14:15]
; %bb.5702:                             ;   in Loop: Header=BB4_4959 Depth=2
	s_or_b32 exec_lo, exec_lo, s42
	v_add_nc_u32_e32 v3, 0xffffff81, v3
	v_lshrrev_b32_e32 v11, 23, v10
	s_mov_b32 s7, exec_lo
	s_delay_alu instid0(VALU_DEP_2) | instskip(NEXT) | instid1(VALU_DEP_1)
	v_cndmask_b32_e64 v3, v3, 0xffffff82, vcc_lo
	v_add3_u32 v15, v16, v3, v11
	v_and_b32_e32 v3, 0x1fffff, v14
	s_delay_alu instid0(VALU_DEP_1) | instskip(NEXT) | instid1(VALU_DEP_1)
	v_dual_add_nc_u32 v14, 14, v15 :: v_dual_add_nc_u32 v36, v3, v10
                                        ; implicit-def: $vgpr10_vgpr11
                                        ; implicit-def: $vgpr3
	v_cmpx_ne_u32_e32 0, v14
	s_xor_b32 s7, exec_lo, s7
; %bb.5703:                             ;   in Loop: Header=BB4_4959 Depth=2
	s_delay_alu instid0(VALU_DEP_2) | instskip(SKIP_2) | instid1(VALU_DEP_2)
	v_cmp_lt_u64_e32 vcc_lo, 0xffffff, v[36:37]
	v_add_nc_u32_e32 v3, 15, v15
	v_cndmask_b32_e64 v10, 0, 1, vcc_lo
	v_cndmask_b32_e32 v3, v14, v3, vcc_lo
	s_delay_alu instid0(VALU_DEP_2)
	v_lshrrev_b64 v[10:11], v10, v[36:37]
; %bb.5704:                             ;   in Loop: Header=BB4_4959 Depth=2
	s_and_not1_saveexec_b32 s7, s7
; %bb.5705:                             ;   in Loop: Header=BB4_4959 Depth=2
	v_mov_b64_e32 v[10:11], v[36:37]
	v_bfe_u32 v3, v36, 23, 1
; %bb.5706:                             ;   in Loop: Header=BB4_4959 Depth=2
	s_or_b32 exec_lo, exec_lo, s7
	s_delay_alu instid0(VALU_DEP_2) | instskip(NEXT) | instid1(VALU_DEP_2)
	v_lshrrev_b64 v[10:11], 21, v[10:11]
	v_cmp_gt_i32_e32 vcc_lo, 32, v3
	v_min_i32_e32 v14, 31, v3
	v_cmp_eq_u32_e64 s7, 0, v3
	s_delay_alu instid0(VALU_DEP_4) | instskip(NEXT) | instid1(VALU_DEP_3)
	v_cndmask_b32_e32 v10, 3, v10, vcc_lo
	v_dual_cndmask_b32 v11, 0, v11 :: v_dual_lshlrev_b32 v14, 2, v14
	s_delay_alu instid0(VALU_DEP_1) | instskip(NEXT) | instid1(VALU_DEP_2)
	v_and_b32_e32 v14, 0xfc, v14
	v_cmp_eq_u64_e32 vcc_lo, 0, v[10:11]
	s_delay_alu instid0(VALU_DEP_2)
	v_and_or_b32 v3, v10, 3, v14
	s_and_b32 s7, s7, vcc_lo
	s_delay_alu instid0(VALU_DEP_1) | instid1(SALU_CYCLE_1)
	v_cndmask_b32_e64 v3, v3, 0, s7
	s_delay_alu instid0(VALU_DEP_1)
	v_or_b32_e32 v3, v3, v2
.LBB4_5707:                             ;   in Loop: Header=BB4_4959 Depth=2
	s_or_b32 exec_lo, exec_lo, s41
                                        ; implicit-def: $vgpr2
.LBB4_5708:                             ;   in Loop: Header=BB4_4959 Depth=2
	s_and_not1_saveexec_b32 s7, s40
; %bb.5709:                             ;   in Loop: Header=BB4_4959 Depth=2
	v_or_b32_e32 v3, 0x7b, v2
; %bb.5710:                             ;   in Loop: Header=BB4_4959 Depth=2
	s_or_b32 exec_lo, exec_lo, s7
                                        ; implicit-def: $vgpr10
                                        ; implicit-def: $vgpr2
.LBB4_5711:                             ;   in Loop: Header=BB4_4959 Depth=2
	s_and_not1_saveexec_b32 s7, s29
	s_cbranch_execz .LBB4_5717
; %bb.5712:                             ;   in Loop: Header=BB4_4959 Depth=2
	s_mov_b32 s29, exec_lo
                                        ; implicit-def: $vgpr3
	v_cmpx_ne_u64_e32 0, v[36:37]
	s_xor_b32 s29, exec_lo, s29
; %bb.5713:                             ;   in Loop: Header=BB4_4959 Depth=2
	v_or_b32_e32 v3, 0x7f, v2
                                        ; implicit-def: $vgpr10
; %bb.5714:                             ;   in Loop: Header=BB4_4959 Depth=2
	s_and_not1_saveexec_b32 s29, s29
; %bb.5715:                             ;   in Loop: Header=BB4_4959 Depth=2
	v_cmp_lt_i32_e32 vcc_lo, -1, v10
	v_cndmask_b32_e32 v3, 0xfc, v110, vcc_lo
; %bb.5716:                             ;   in Loop: Header=BB4_4959 Depth=2
	s_or_b32 exec_lo, exec_lo, s29
.LBB4_5717:                             ;   in Loop: Header=BB4_4959 Depth=2
	s_delay_alu instid0(SALU_CYCLE_1) | instskip(SKIP_3) | instid1(VALU_DEP_2)
	s_or_b32 exec_lo, exec_lo, s7
	v_lshrrev_b16 v10, 8, v12
	v_mov_b32_e32 v11, 0
	s_mov_b32 s7, exec_lo
	v_cmpx_ne_u16_e32 0, v10
	s_cbranch_execz .LBB4_5727
; %bb.5718:                             ;   in Loop: Header=BB4_4959 Depth=2
	v_bfrev_b32_e32 v11, 1
	s_mov_b32 s29, exec_lo
	v_cmpx_ne_u16_e32 0x80, v10
	s_cbranch_execz .LBB4_5726
; %bb.5719:                             ;   in Loop: Header=BB4_4959 Depth=2
	v_and_b32_e32 v14, 0xffff, v10
	s_delay_alu instid0(VALU_DEP_1) | instskip(SKIP_1) | instid1(VALU_DEP_2)
	v_and_b32_e32 v11, 0x7c, v14
	v_and_b32_e32 v2, 3, v14
	v_cmp_ne_u32_e32 vcc_lo, 0x7c, v11
                                        ; implicit-def: $vgpr11
	s_and_saveexec_b32 s40, vcc_lo
	s_delay_alu instid0(SALU_CYCLE_1)
	s_xor_b32 s40, exec_lo, s40
	s_cbranch_execz .LBB4_5723
; %bb.5720:                             ;   in Loop: Header=BB4_4959 Depth=2
	v_bfe_u32 v11, v14, 2, 5
	s_mov_b32 s41, exec_lo
	s_delay_alu instid0(VALU_DEP_1)
	v_cmpx_eq_u32_e32 0, v11
	s_cbranch_execz .LBB4_5722
; %bb.5721:                             ;   in Loop: Header=BB4_4959 Depth=2
	v_clz_i32_u32_e32 v2, v2
	v_mov_b32_e32 v11, v37
	s_delay_alu instid0(VALU_DEP_2) | instskip(NEXT) | instid1(VALU_DEP_1)
	v_min_u32_e32 v2, 32, v2
	v_subrev_nc_u32_e32 v14, 29, v2
	s_delay_alu instid0(VALU_DEP_1) | instskip(SKIP_1) | instid1(VALU_DEP_2)
	v_lshlrev_b64_e32 v[10:11], v14, v[10:11]
	v_sub_nc_u32_e32 v11, 30, v2
	v_and_b32_e32 v2, 3, v10
.LBB4_5722:                             ;   in Loop: Header=BB4_4959 Depth=2
	s_or_b32 exec_lo, exec_lo, s41
	v_lshlrev_b32_e32 v10, 16, v12
	s_delay_alu instid0(VALU_DEP_1) | instskip(NEXT) | instid1(VALU_DEP_1)
	v_and_b32_e32 v10, 0x80000000, v10
	v_lshl_add_u32 v10, v11, 23, v10
	s_delay_alu instid0(VALU_DEP_1) | instskip(NEXT) | instid1(VALU_DEP_1)
	v_lshl_or_b32 v2, v2, 21, v10
	v_add_nc_u32_e32 v11, 0x38000000, v2
                                        ; implicit-def: $vgpr2
.LBB4_5723:                             ;   in Loop: Header=BB4_4959 Depth=2
	s_and_not1_saveexec_b32 s40, s40
; %bb.5724:                             ;   in Loop: Header=BB4_4959 Depth=2
	v_cmp_lt_i16_e32 vcc_lo, -1, v12
	v_cndmask_b32_e32 v10, 0xff800000, v109, vcc_lo
	v_cmp_eq_u32_e32 vcc_lo, 0, v2
	s_delay_alu instid0(VALU_DEP_2)
	v_cndmask_b32_e32 v11, 0x7f800001, v10, vcc_lo
; %bb.5725:                             ;   in Loop: Header=BB4_4959 Depth=2
	s_or_b32 exec_lo, exec_lo, s40
.LBB4_5726:                             ;   in Loop: Header=BB4_4959 Depth=2
	s_delay_alu instid0(SALU_CYCLE_1)
	s_or_b32 exec_lo, exec_lo, s29
.LBB4_5727:                             ;   in Loop: Header=BB4_4959 Depth=2
	s_delay_alu instid0(SALU_CYCLE_1) | instskip(NEXT) | instid1(VALU_DEP_1)
	s_or_b32 exec_lo, exec_lo, s7
	v_dual_mul_f32 v10, s28, v11 :: v_dual_mov_b32 v15, v37
                                        ; implicit-def: $vgpr113
	s_mov_b32 s7, exec_lo
	s_delay_alu instid0(VALU_DEP_1) | instskip(SKIP_2) | instid1(VALU_DEP_3)
	v_and_b32_e32 v14, 0x7f800000, v10
	v_and_b32_e32 v36, 0x7fffff, v10
	v_lshrrev_b32_e32 v2, 24, v10
	v_cmpx_ne_u64_e32 0x7f800000, v[14:15]
	s_xor_b32 s29, exec_lo, s7
	s_cbranch_execz .LBB4_5741
; %bb.5728:                             ;   in Loop: Header=BB4_4959 Depth=2
	v_and_b32_e32 v14, 0x7fffffff, v10
	v_mov_b32_e32 v15, v37
	v_and_b32_e32 v2, 0x80, v2
                                        ; implicit-def: $vgpr113
	s_mov_b32 s7, exec_lo
	s_delay_alu instid0(VALU_DEP_2)
	v_cmpx_gt_u64_e32 0x47600001, v[14:15]
	s_xor_b32 s40, exec_lo, s7
	s_cbranch_execz .LBB4_5738
; %bb.5729:                             ;   in Loop: Header=BB4_4959 Depth=2
	v_mov_b32_e32 v113, 0
	s_mov_b32 s41, exec_lo
	v_cmpx_ne_u32_e32 0, v10
	s_cbranch_execz .LBB4_5737
; %bb.5730:                             ;   in Loop: Header=BB4_4959 Depth=2
	v_bfe_u32 v16, v10, 23, 8
	v_or_b32_e32 v14, 0x800000, v36
	s_mov_b32 s42, exec_lo
	s_delay_alu instid0(VALU_DEP_2) | instskip(SKIP_1) | instid1(VALU_DEP_2)
	v_dual_mov_b32 v15, v37 :: v_dual_sub_nc_u32 v10, 0x71, v16
	v_cmp_gt_u32_e32 vcc_lo, 0x72, v16
	v_cndmask_b32_e32 v10, 0, v10, vcc_lo
	v_cmp_eq_u32_e32 vcc_lo, 0, v16
	s_delay_alu instid0(VALU_DEP_2) | instskip(NEXT) | instid1(VALU_DEP_1)
	v_cndmask_b32_e64 v17, v10, 0x70, vcc_lo
	v_dual_cndmask_b32 v14, v14, v36, vcc_lo :: v_dual_add_nc_u32 v10, 21, v17
	v_add_nc_u32_e32 v20, 20, v17
	s_delay_alu instid0(VALU_DEP_2) | instskip(NEXT) | instid1(VALU_DEP_2)
	v_lshlrev_b64_e64 v[10:11], v10, -1
	v_lshlrev_b64_e64 v[20:21], v20, 1
	s_delay_alu instid0(VALU_DEP_2) | instskip(NEXT) | instid1(VALU_DEP_3)
	v_bfi_b32 v25, v11, 0, 0
	v_bfi_b32 v24, v10, 0, v14
	v_lshrrev_b64 v[10:11], v17, v[14:15]
	s_delay_alu instid0(VALU_DEP_1) | instskip(NEXT) | instid1(VALU_DEP_3)
	v_mov_b64_e32 v[14:15], v[10:11]
	v_cmpx_eq_u64_e64 v[24:25], v[20:21]
; %bb.5731:                             ;   in Loop: Header=BB4_4959 Depth=2
	v_bfe_u32 v14, v10, 21, 1
	v_mov_b32_e32 v15, v37
	s_delay_alu instid0(VALU_DEP_1) | instskip(NEXT) | instid1(VALU_DEP_1)
	v_add_nc_u64_e32 v[14:15], v[10:11], v[14:15]
	v_add_nc_u64_e32 v[14:15], -1, v[14:15]
; %bb.5732:                             ;   in Loop: Header=BB4_4959 Depth=2
	s_or_b32 exec_lo, exec_lo, s42
	v_add_nc_u32_e32 v11, 0xffffff81, v16
	v_lshrrev_b32_e32 v15, 23, v10
	s_mov_b32 s7, exec_lo
	s_delay_alu instid0(VALU_DEP_2) | instskip(NEXT) | instid1(VALU_DEP_1)
	v_cndmask_b32_e64 v11, v11, 0xffffff82, vcc_lo
	v_add3_u32 v15, v17, v11, v15
	v_and_b32_e32 v11, 0x1fffff, v14
                                        ; implicit-def: $vgpr14
	s_delay_alu instid0(VALU_DEP_1) | instskip(NEXT) | instid1(VALU_DEP_1)
	v_dual_add_nc_u32 v16, 14, v15 :: v_dual_add_nc_u32 v36, v11, v10
                                        ; implicit-def: $vgpr10_vgpr11
	v_cmpx_ne_u32_e32 0, v16
	s_xor_b32 s7, exec_lo, s7
; %bb.5733:                             ;   in Loop: Header=BB4_4959 Depth=2
	s_delay_alu instid0(VALU_DEP_2) | instskip(SKIP_1) | instid1(VALU_DEP_1)
	v_cmp_lt_u64_e32 vcc_lo, 0xffffff, v[36:37]
	v_add_nc_u32_e32 v10, 15, v15
	v_cndmask_b32_e32 v14, v16, v10, vcc_lo
	v_cndmask_b32_e64 v10, 0, 1, vcc_lo
	s_delay_alu instid0(VALU_DEP_1)
	v_lshrrev_b64 v[10:11], v10, v[36:37]
; %bb.5734:                             ;   in Loop: Header=BB4_4959 Depth=2
	s_and_not1_saveexec_b32 s7, s7
; %bb.5735:                             ;   in Loop: Header=BB4_4959 Depth=2
	v_mov_b64_e32 v[10:11], v[36:37]
	v_bfe_u32 v14, v36, 23, 1
; %bb.5736:                             ;   in Loop: Header=BB4_4959 Depth=2
	s_or_b32 exec_lo, exec_lo, s7
	s_delay_alu instid0(VALU_DEP_2) | instskip(NEXT) | instid1(VALU_DEP_2)
	v_lshrrev_b64 v[10:11], 21, v[10:11]
	v_cmp_gt_i32_e32 vcc_lo, 32, v14
	v_min_i32_e32 v15, 31, v14
	v_cmp_eq_u32_e64 s7, 0, v14
	s_delay_alu instid0(VALU_DEP_4) | instskip(NEXT) | instid1(VALU_DEP_3)
	v_cndmask_b32_e32 v11, 0, v11, vcc_lo
	v_dual_cndmask_b32 v10, 3, v10 :: v_dual_lshlrev_b32 v15, 2, v15
	s_delay_alu instid0(VALU_DEP_1) | instskip(NEXT) | instid1(VALU_DEP_2)
	v_and_b32_e32 v15, 0xfc, v15
	v_cmp_eq_u64_e32 vcc_lo, 0, v[10:11]
	s_delay_alu instid0(VALU_DEP_2)
	v_and_or_b32 v10, v10, 3, v15
	s_and_b32 s7, s7, vcc_lo
	s_delay_alu instid0(VALU_DEP_1) | instid1(SALU_CYCLE_1)
	v_cndmask_b32_e64 v10, v10, 0, s7
	s_delay_alu instid0(VALU_DEP_1)
	v_or_b32_e32 v113, v10, v2
.LBB4_5737:                             ;   in Loop: Header=BB4_4959 Depth=2
	s_or_b32 exec_lo, exec_lo, s41
                                        ; implicit-def: $vgpr2
.LBB4_5738:                             ;   in Loop: Header=BB4_4959 Depth=2
	s_and_not1_saveexec_b32 s7, s40
; %bb.5739:                             ;   in Loop: Header=BB4_4959 Depth=2
	v_or_b32_e32 v113, 0x7b, v2
; %bb.5740:                             ;   in Loop: Header=BB4_4959 Depth=2
	s_or_b32 exec_lo, exec_lo, s7
                                        ; implicit-def: $vgpr10
                                        ; implicit-def: $vgpr2
.LBB4_5741:                             ;   in Loop: Header=BB4_4959 Depth=2
	s_and_not1_saveexec_b32 s7, s29
	s_cbranch_execz .LBB4_5747
; %bb.5742:                             ;   in Loop: Header=BB4_4959 Depth=2
	s_mov_b32 s29, exec_lo
                                        ; implicit-def: $vgpr113
	v_cmpx_ne_u64_e32 0, v[36:37]
	s_xor_b32 s29, exec_lo, s29
; %bb.5743:                             ;   in Loop: Header=BB4_4959 Depth=2
	v_or_b32_e32 v113, 0x7f, v2
                                        ; implicit-def: $vgpr10
; %bb.5744:                             ;   in Loop: Header=BB4_4959 Depth=2
	s_and_not1_saveexec_b32 s29, s29
; %bb.5745:                             ;   in Loop: Header=BB4_4959 Depth=2
	v_cmp_lt_i32_e32 vcc_lo, -1, v10
	v_cndmask_b32_e32 v113, 0xfc, v110, vcc_lo
; %bb.5746:                             ;   in Loop: Header=BB4_4959 Depth=2
	s_or_b32 exec_lo, exec_lo, s29
.LBB4_5747:                             ;   in Loop: Header=BB4_4959 Depth=2
	s_delay_alu instid0(SALU_CYCLE_1) | instskip(SKIP_2) | instid1(VALU_DEP_1)
	s_or_b32 exec_lo, exec_lo, s7
	v_dual_mov_b32 v11, 0 :: v_dual_lshrrev_b32 v10, 16, v12
	s_mov_b32 s7, exec_lo
	v_and_b32_e32 v2, 0xff, v10
	s_delay_alu instid0(VALU_DEP_1)
	v_cmpx_ne_u16_e32 0, v2
	s_cbranch_execz .LBB4_5757
; %bb.5748:                             ;   in Loop: Header=BB4_4959 Depth=2
	v_bfrev_b32_e32 v11, 1
	s_mov_b32 s29, exec_lo
	v_cmpx_ne_u16_e32 0x80, v2
	s_cbranch_execz .LBB4_5756
; %bb.5749:                             ;   in Loop: Header=BB4_4959 Depth=2
	v_and_b32_e32 v11, 0x7c0000, v12
	v_bfe_u32 v2, v12, 16, 2
	s_delay_alu instid0(VALU_DEP_2) | instskip(SKIP_1) | instid1(SALU_CYCLE_1)
	v_cmp_ne_u32_e32 vcc_lo, 0x7c0000, v11
                                        ; implicit-def: $vgpr11
	s_and_saveexec_b32 s40, vcc_lo
	s_xor_b32 s40, exec_lo, s40
	s_cbranch_execz .LBB4_5753
; %bb.5750:                             ;   in Loop: Header=BB4_4959 Depth=2
	v_bfe_u32 v11, v12, 18, 5
	s_mov_b32 s41, exec_lo
	s_delay_alu instid0(VALU_DEP_1)
	v_cmpx_eq_u32_e32 0, v11
; %bb.5751:                             ;   in Loop: Header=BB4_4959 Depth=2
	v_clz_i32_u32_e32 v2, v2
	s_delay_alu instid0(VALU_DEP_1) | instskip(NEXT) | instid1(VALU_DEP_1)
	v_min_u32_e32 v2, 32, v2
	v_subrev_nc_u32_e32 v11, 29, v2
	s_delay_alu instid0(VALU_DEP_1) | instskip(SKIP_1) | instid1(VALU_DEP_2)
	v_lshlrev_b64_e32 v[14:15], v11, v[10:11]
	v_sub_nc_u32_e32 v11, 30, v2
	v_and_b32_e32 v2, 3, v14
; %bb.5752:                             ;   in Loop: Header=BB4_4959 Depth=2
	s_or_b32 exec_lo, exec_lo, s41
	v_lshlrev_b32_e32 v10, 24, v10
	s_delay_alu instid0(VALU_DEP_1) | instskip(NEXT) | instid1(VALU_DEP_1)
	v_and_b32_e32 v10, 0x80000000, v10
	v_lshl_add_u32 v10, v11, 23, v10
	s_delay_alu instid0(VALU_DEP_1) | instskip(NEXT) | instid1(VALU_DEP_1)
	v_lshl_or_b32 v2, v2, 21, v10
                                        ; implicit-def: $vgpr10
	v_add_nc_u32_e32 v11, 0x38000000, v2
                                        ; implicit-def: $vgpr2
.LBB4_5753:                             ;   in Loop: Header=BB4_4959 Depth=2
	s_and_not1_saveexec_b32 s40, s40
; %bb.5754:                             ;   in Loop: Header=BB4_4959 Depth=2
	v_bfe_i32 v10, v10, 0, 8
	s_delay_alu instid0(VALU_DEP_1) | instskip(SKIP_2) | instid1(VALU_DEP_2)
	v_cmp_lt_i16_e32 vcc_lo, -1, v10
	v_cndmask_b32_e32 v10, 0xff800000, v109, vcc_lo
	v_cmp_eq_u32_e32 vcc_lo, 0, v2
	v_cndmask_b32_e32 v11, 0x7f800001, v10, vcc_lo
; %bb.5755:                             ;   in Loop: Header=BB4_4959 Depth=2
	s_or_b32 exec_lo, exec_lo, s40
.LBB4_5756:                             ;   in Loop: Header=BB4_4959 Depth=2
	s_delay_alu instid0(SALU_CYCLE_1)
	s_or_b32 exec_lo, exec_lo, s29
.LBB4_5757:                             ;   in Loop: Header=BB4_4959 Depth=2
	s_delay_alu instid0(SALU_CYCLE_1) | instskip(NEXT) | instid1(VALU_DEP_1)
	s_or_b32 exec_lo, exec_lo, s7
	v_dual_mul_f32 v10, s28, v11 :: v_dual_mov_b32 v15, v37
                                        ; implicit-def: $vgpr116
	s_mov_b32 s7, exec_lo
	s_delay_alu instid0(VALU_DEP_1) | instskip(SKIP_2) | instid1(VALU_DEP_3)
	v_and_b32_e32 v14, 0x7f800000, v10
	v_and_b32_e32 v36, 0x7fffff, v10
	v_lshrrev_b32_e32 v2, 24, v10
	v_cmpx_ne_u64_e32 0x7f800000, v[14:15]
	s_xor_b32 s29, exec_lo, s7
	s_cbranch_execz .LBB4_5771
; %bb.5758:                             ;   in Loop: Header=BB4_4959 Depth=2
	v_and_b32_e32 v14, 0x7fffffff, v10
	v_mov_b32_e32 v15, v37
	v_and_b32_e32 v2, 0x80, v2
                                        ; implicit-def: $vgpr116
	s_mov_b32 s7, exec_lo
	s_delay_alu instid0(VALU_DEP_2)
	v_cmpx_gt_u64_e32 0x47600001, v[14:15]
	s_xor_b32 s40, exec_lo, s7
	s_cbranch_execz .LBB4_5768
; %bb.5759:                             ;   in Loop: Header=BB4_4959 Depth=2
	v_mov_b32_e32 v116, 0
	s_mov_b32 s41, exec_lo
	v_cmpx_ne_u32_e32 0, v10
	s_cbranch_execz .LBB4_5767
; %bb.5760:                             ;   in Loop: Header=BB4_4959 Depth=2
	v_bfe_u32 v16, v10, 23, 8
	v_or_b32_e32 v14, 0x800000, v36
	s_mov_b32 s42, exec_lo
	s_delay_alu instid0(VALU_DEP_2) | instskip(SKIP_1) | instid1(VALU_DEP_2)
	v_dual_mov_b32 v15, v37 :: v_dual_sub_nc_u32 v10, 0x71, v16
	v_cmp_gt_u32_e32 vcc_lo, 0x72, v16
	v_cndmask_b32_e32 v10, 0, v10, vcc_lo
	v_cmp_eq_u32_e32 vcc_lo, 0, v16
	s_delay_alu instid0(VALU_DEP_2) | instskip(NEXT) | instid1(VALU_DEP_1)
	v_cndmask_b32_e64 v17, v10, 0x70, vcc_lo
	v_dual_cndmask_b32 v14, v14, v36, vcc_lo :: v_dual_add_nc_u32 v10, 21, v17
	v_add_nc_u32_e32 v20, 20, v17
	s_delay_alu instid0(VALU_DEP_2) | instskip(NEXT) | instid1(VALU_DEP_2)
	v_lshlrev_b64_e64 v[10:11], v10, -1
	v_lshlrev_b64_e64 v[20:21], v20, 1
	s_delay_alu instid0(VALU_DEP_2) | instskip(NEXT) | instid1(VALU_DEP_3)
	v_bfi_b32 v25, v11, 0, 0
	v_bfi_b32 v24, v10, 0, v14
	v_lshrrev_b64 v[10:11], v17, v[14:15]
	s_delay_alu instid0(VALU_DEP_1) | instskip(NEXT) | instid1(VALU_DEP_3)
	v_mov_b64_e32 v[14:15], v[10:11]
	v_cmpx_eq_u64_e64 v[24:25], v[20:21]
; %bb.5761:                             ;   in Loop: Header=BB4_4959 Depth=2
	v_bfe_u32 v14, v10, 21, 1
	v_mov_b32_e32 v15, v37
	s_delay_alu instid0(VALU_DEP_1) | instskip(NEXT) | instid1(VALU_DEP_1)
	v_add_nc_u64_e32 v[14:15], v[10:11], v[14:15]
	v_add_nc_u64_e32 v[14:15], -1, v[14:15]
; %bb.5762:                             ;   in Loop: Header=BB4_4959 Depth=2
	s_or_b32 exec_lo, exec_lo, s42
	v_add_nc_u32_e32 v11, 0xffffff81, v16
	v_lshrrev_b32_e32 v15, 23, v10
	s_mov_b32 s7, exec_lo
	s_delay_alu instid0(VALU_DEP_2) | instskip(NEXT) | instid1(VALU_DEP_1)
	v_cndmask_b32_e64 v11, v11, 0xffffff82, vcc_lo
	v_add3_u32 v15, v17, v11, v15
	v_and_b32_e32 v11, 0x1fffff, v14
                                        ; implicit-def: $vgpr14
	s_delay_alu instid0(VALU_DEP_1) | instskip(NEXT) | instid1(VALU_DEP_1)
	v_dual_add_nc_u32 v16, 14, v15 :: v_dual_add_nc_u32 v36, v11, v10
                                        ; implicit-def: $vgpr10_vgpr11
	v_cmpx_ne_u32_e32 0, v16
	s_xor_b32 s7, exec_lo, s7
; %bb.5763:                             ;   in Loop: Header=BB4_4959 Depth=2
	s_delay_alu instid0(VALU_DEP_2) | instskip(SKIP_1) | instid1(VALU_DEP_1)
	v_cmp_lt_u64_e32 vcc_lo, 0xffffff, v[36:37]
	v_add_nc_u32_e32 v10, 15, v15
	v_cndmask_b32_e32 v14, v16, v10, vcc_lo
	v_cndmask_b32_e64 v10, 0, 1, vcc_lo
	s_delay_alu instid0(VALU_DEP_1)
	v_lshrrev_b64 v[10:11], v10, v[36:37]
; %bb.5764:                             ;   in Loop: Header=BB4_4959 Depth=2
	s_and_not1_saveexec_b32 s7, s7
; %bb.5765:                             ;   in Loop: Header=BB4_4959 Depth=2
	v_mov_b64_e32 v[10:11], v[36:37]
	v_bfe_u32 v14, v36, 23, 1
; %bb.5766:                             ;   in Loop: Header=BB4_4959 Depth=2
	s_or_b32 exec_lo, exec_lo, s7
	s_delay_alu instid0(VALU_DEP_2) | instskip(NEXT) | instid1(VALU_DEP_2)
	v_lshrrev_b64 v[10:11], 21, v[10:11]
	v_cmp_gt_i32_e32 vcc_lo, 32, v14
	v_min_i32_e32 v15, 31, v14
	v_cmp_eq_u32_e64 s7, 0, v14
	s_delay_alu instid0(VALU_DEP_4) | instskip(NEXT) | instid1(VALU_DEP_3)
	v_cndmask_b32_e32 v11, 0, v11, vcc_lo
	v_dual_cndmask_b32 v10, 3, v10 :: v_dual_lshlrev_b32 v15, 2, v15
	s_delay_alu instid0(VALU_DEP_1) | instskip(NEXT) | instid1(VALU_DEP_2)
	v_and_b32_e32 v15, 0xfc, v15
	v_cmp_eq_u64_e32 vcc_lo, 0, v[10:11]
	s_delay_alu instid0(VALU_DEP_2)
	v_and_or_b32 v10, v10, 3, v15
	s_and_b32 s7, s7, vcc_lo
	s_delay_alu instid0(VALU_DEP_1) | instid1(SALU_CYCLE_1)
	v_cndmask_b32_e64 v10, v10, 0, s7
	s_delay_alu instid0(VALU_DEP_1)
	v_or_b32_e32 v116, v10, v2
.LBB4_5767:                             ;   in Loop: Header=BB4_4959 Depth=2
	s_or_b32 exec_lo, exec_lo, s41
                                        ; implicit-def: $vgpr2
.LBB4_5768:                             ;   in Loop: Header=BB4_4959 Depth=2
	s_and_not1_saveexec_b32 s7, s40
; %bb.5769:                             ;   in Loop: Header=BB4_4959 Depth=2
	v_or_b32_e32 v116, 0x7b, v2
; %bb.5770:                             ;   in Loop: Header=BB4_4959 Depth=2
	s_or_b32 exec_lo, exec_lo, s7
                                        ; implicit-def: $vgpr10
                                        ; implicit-def: $vgpr2
.LBB4_5771:                             ;   in Loop: Header=BB4_4959 Depth=2
	s_and_not1_saveexec_b32 s7, s29
	s_cbranch_execz .LBB4_5777
; %bb.5772:                             ;   in Loop: Header=BB4_4959 Depth=2
	s_mov_b32 s29, exec_lo
                                        ; implicit-def: $vgpr116
	v_cmpx_ne_u64_e32 0, v[36:37]
	s_xor_b32 s29, exec_lo, s29
; %bb.5773:                             ;   in Loop: Header=BB4_4959 Depth=2
	v_or_b32_e32 v116, 0x7f, v2
                                        ; implicit-def: $vgpr10
; %bb.5774:                             ;   in Loop: Header=BB4_4959 Depth=2
	s_and_not1_saveexec_b32 s29, s29
; %bb.5775:                             ;   in Loop: Header=BB4_4959 Depth=2
	v_cmp_lt_i32_e32 vcc_lo, -1, v10
	v_cndmask_b32_e32 v116, 0xfc, v110, vcc_lo
; %bb.5776:                             ;   in Loop: Header=BB4_4959 Depth=2
	s_or_b32 exec_lo, exec_lo, s29
.LBB4_5777:                             ;   in Loop: Header=BB4_4959 Depth=2
	s_delay_alu instid0(SALU_CYCLE_1)
	s_or_b32 exec_lo, exec_lo, s7
	v_mov_b32_e32 v2, 0
	s_mov_b32 s7, exec_lo
	v_cmpx_lt_u32_e32 0xffffff, v12
	s_cbranch_execz .LBB4_5787
; %bb.5778:                             ;   in Loop: Header=BB4_4959 Depth=2
	v_lshrrev_b32_e32 v10, 24, v12
	v_bfrev_b32_e32 v2, 1
	s_mov_b32 s29, exec_lo
	s_delay_alu instid0(VALU_DEP_2)
	v_cmpx_ne_u32_e32 0x80, v10
	s_cbranch_execz .LBB4_5786
; %bb.5779:                             ;   in Loop: Header=BB4_4959 Depth=2
	v_and_b32_e32 v2, 0x7c000000, v12
	v_bfe_u32 v11, v12, 24, 2
	s_delay_alu instid0(VALU_DEP_2) | instskip(SKIP_1) | instid1(SALU_CYCLE_1)
	v_cmp_ne_u32_e32 vcc_lo, 0x7c000000, v2
                                        ; implicit-def: $vgpr2
	s_and_saveexec_b32 s40, vcc_lo
	s_xor_b32 s40, exec_lo, s40
	s_cbranch_execz .LBB4_5783
; %bb.5780:                             ;   in Loop: Header=BB4_4959 Depth=2
	v_bfe_u32 v2, v12, 26, 5
	s_mov_b32 s41, exec_lo
	s_delay_alu instid0(VALU_DEP_1)
	v_cmpx_eq_u32_e32 0, v2
; %bb.5781:                             ;   in Loop: Header=BB4_4959 Depth=2
	v_clz_i32_u32_e32 v2, v11
	s_delay_alu instid0(VALU_DEP_1) | instskip(NEXT) | instid1(VALU_DEP_1)
	v_min_u32_e32 v2, 32, v2
	v_subrev_nc_u32_e32 v11, 29, v2
	v_sub_nc_u32_e32 v2, 30, v2
	s_delay_alu instid0(VALU_DEP_2) | instskip(NEXT) | instid1(VALU_DEP_1)
	v_lshlrev_b64_e32 v[10:11], v11, v[10:11]
	v_and_b32_e32 v11, 3, v10
; %bb.5782:                             ;   in Loop: Header=BB4_4959 Depth=2
	s_or_b32 exec_lo, exec_lo, s41
	v_and_b32_e32 v10, 0x80000000, v12
	s_delay_alu instid0(VALU_DEP_1) | instskip(NEXT) | instid1(VALU_DEP_1)
	v_lshl_add_u32 v2, v2, 23, v10
	v_lshl_or_b32 v2, v11, 21, v2
                                        ; implicit-def: $vgpr11
	s_delay_alu instid0(VALU_DEP_1)
	v_add_nc_u32_e32 v2, 0x38000000, v2
.LBB4_5783:                             ;   in Loop: Header=BB4_4959 Depth=2
	s_and_not1_saveexec_b32 s40, s40
; %bb.5784:                             ;   in Loop: Header=BB4_4959 Depth=2
	v_cmp_lt_i32_e32 vcc_lo, -1, v12
	v_cndmask_b32_e32 v2, 0xff800000, v109, vcc_lo
	v_cmp_eq_u32_e32 vcc_lo, 0, v11
	s_delay_alu instid0(VALU_DEP_2)
	v_cndmask_b32_e32 v2, 0x7f800001, v2, vcc_lo
; %bb.5785:                             ;   in Loop: Header=BB4_4959 Depth=2
	s_or_b32 exec_lo, exec_lo, s40
.LBB4_5786:                             ;   in Loop: Header=BB4_4959 Depth=2
	s_delay_alu instid0(SALU_CYCLE_1)
	s_or_b32 exec_lo, exec_lo, s29
.LBB4_5787:                             ;   in Loop: Header=BB4_4959 Depth=2
	s_delay_alu instid0(SALU_CYCLE_1) | instskip(NEXT) | instid1(VALU_DEP_1)
	s_or_b32 exec_lo, exec_lo, s7
	v_dual_mul_f32 v10, s28, v2 :: v_dual_mov_b32 v15, v37
                                        ; implicit-def: $vgpr119
	s_mov_b32 s7, exec_lo
	s_delay_alu instid0(VALU_DEP_1) | instskip(SKIP_2) | instid1(VALU_DEP_3)
	v_and_b32_e32 v14, 0x7f800000, v10
	v_and_b32_e32 v36, 0x7fffff, v10
	v_lshrrev_b32_e32 v2, 24, v10
	v_cmpx_ne_u64_e32 0x7f800000, v[14:15]
	s_xor_b32 s29, exec_lo, s7
	s_cbranch_execz .LBB4_5801
; %bb.5788:                             ;   in Loop: Header=BB4_4959 Depth=2
	v_and_b32_e32 v14, 0x7fffffff, v10
	v_mov_b32_e32 v15, v37
	v_and_b32_e32 v2, 0x80, v2
                                        ; implicit-def: $vgpr119
	s_mov_b32 s7, exec_lo
	s_delay_alu instid0(VALU_DEP_2)
	v_cmpx_gt_u64_e32 0x47600001, v[14:15]
	s_xor_b32 s40, exec_lo, s7
	s_cbranch_execz .LBB4_5798
; %bb.5789:                             ;   in Loop: Header=BB4_4959 Depth=2
	v_mov_b32_e32 v119, 0
	s_mov_b32 s41, exec_lo
	v_cmpx_ne_u32_e32 0, v10
	s_cbranch_execz .LBB4_5797
; %bb.5790:                             ;   in Loop: Header=BB4_4959 Depth=2
	v_bfe_u32 v16, v10, 23, 8
	v_or_b32_e32 v14, 0x800000, v36
	s_mov_b32 s42, exec_lo
	s_delay_alu instid0(VALU_DEP_2) | instskip(SKIP_1) | instid1(VALU_DEP_2)
	v_dual_mov_b32 v15, v37 :: v_dual_sub_nc_u32 v10, 0x71, v16
	v_cmp_gt_u32_e32 vcc_lo, 0x72, v16
	v_cndmask_b32_e32 v10, 0, v10, vcc_lo
	v_cmp_eq_u32_e32 vcc_lo, 0, v16
	s_delay_alu instid0(VALU_DEP_2) | instskip(NEXT) | instid1(VALU_DEP_1)
	v_cndmask_b32_e64 v17, v10, 0x70, vcc_lo
	v_dual_cndmask_b32 v14, v14, v36, vcc_lo :: v_dual_add_nc_u32 v10, 21, v17
	v_add_nc_u32_e32 v20, 20, v17
	s_delay_alu instid0(VALU_DEP_2) | instskip(NEXT) | instid1(VALU_DEP_2)
	v_lshlrev_b64_e64 v[10:11], v10, -1
	v_lshlrev_b64_e64 v[20:21], v20, 1
	s_delay_alu instid0(VALU_DEP_2) | instskip(NEXT) | instid1(VALU_DEP_3)
	v_bfi_b32 v25, v11, 0, 0
	v_bfi_b32 v24, v10, 0, v14
	v_lshrrev_b64 v[10:11], v17, v[14:15]
	s_delay_alu instid0(VALU_DEP_1) | instskip(NEXT) | instid1(VALU_DEP_3)
	v_mov_b64_e32 v[14:15], v[10:11]
	v_cmpx_eq_u64_e64 v[24:25], v[20:21]
; %bb.5791:                             ;   in Loop: Header=BB4_4959 Depth=2
	v_bfe_u32 v14, v10, 21, 1
	v_mov_b32_e32 v15, v37
	s_delay_alu instid0(VALU_DEP_1) | instskip(NEXT) | instid1(VALU_DEP_1)
	v_add_nc_u64_e32 v[14:15], v[10:11], v[14:15]
	v_add_nc_u64_e32 v[14:15], -1, v[14:15]
; %bb.5792:                             ;   in Loop: Header=BB4_4959 Depth=2
	s_or_b32 exec_lo, exec_lo, s42
	v_add_nc_u32_e32 v11, 0xffffff81, v16
	v_lshrrev_b32_e32 v15, 23, v10
	s_mov_b32 s7, exec_lo
	s_delay_alu instid0(VALU_DEP_2) | instskip(NEXT) | instid1(VALU_DEP_1)
	v_cndmask_b32_e64 v11, v11, 0xffffff82, vcc_lo
	v_add3_u32 v15, v17, v11, v15
	v_and_b32_e32 v11, 0x1fffff, v14
                                        ; implicit-def: $vgpr14
	s_delay_alu instid0(VALU_DEP_1) | instskip(NEXT) | instid1(VALU_DEP_1)
	v_dual_add_nc_u32 v16, 14, v15 :: v_dual_add_nc_u32 v36, v11, v10
                                        ; implicit-def: $vgpr10_vgpr11
	v_cmpx_ne_u32_e32 0, v16
	s_xor_b32 s7, exec_lo, s7
; %bb.5793:                             ;   in Loop: Header=BB4_4959 Depth=2
	s_delay_alu instid0(VALU_DEP_2) | instskip(SKIP_1) | instid1(VALU_DEP_1)
	v_cmp_lt_u64_e32 vcc_lo, 0xffffff, v[36:37]
	v_add_nc_u32_e32 v10, 15, v15
	v_cndmask_b32_e32 v14, v16, v10, vcc_lo
	v_cndmask_b32_e64 v10, 0, 1, vcc_lo
	s_delay_alu instid0(VALU_DEP_1)
	v_lshrrev_b64 v[10:11], v10, v[36:37]
; %bb.5794:                             ;   in Loop: Header=BB4_4959 Depth=2
	s_and_not1_saveexec_b32 s7, s7
; %bb.5795:                             ;   in Loop: Header=BB4_4959 Depth=2
	v_mov_b64_e32 v[10:11], v[36:37]
	v_bfe_u32 v14, v36, 23, 1
; %bb.5796:                             ;   in Loop: Header=BB4_4959 Depth=2
	s_or_b32 exec_lo, exec_lo, s7
	s_delay_alu instid0(VALU_DEP_2) | instskip(NEXT) | instid1(VALU_DEP_2)
	v_lshrrev_b64 v[10:11], 21, v[10:11]
	v_cmp_gt_i32_e32 vcc_lo, 32, v14
	v_min_i32_e32 v15, 31, v14
	v_cmp_eq_u32_e64 s7, 0, v14
	s_delay_alu instid0(VALU_DEP_4) | instskip(NEXT) | instid1(VALU_DEP_3)
	v_cndmask_b32_e32 v11, 0, v11, vcc_lo
	v_dual_cndmask_b32 v10, 3, v10 :: v_dual_lshlrev_b32 v15, 2, v15
	s_delay_alu instid0(VALU_DEP_1) | instskip(NEXT) | instid1(VALU_DEP_2)
	v_and_b32_e32 v15, 0xfc, v15
	v_cmp_eq_u64_e32 vcc_lo, 0, v[10:11]
	s_delay_alu instid0(VALU_DEP_2)
	v_and_or_b32 v10, v10, 3, v15
	s_and_b32 s7, s7, vcc_lo
	s_delay_alu instid0(VALU_DEP_1) | instid1(SALU_CYCLE_1)
	v_cndmask_b32_e64 v10, v10, 0, s7
	s_delay_alu instid0(VALU_DEP_1)
	v_or_b32_e32 v119, v10, v2
.LBB4_5797:                             ;   in Loop: Header=BB4_4959 Depth=2
	s_or_b32 exec_lo, exec_lo, s41
                                        ; implicit-def: $vgpr2
.LBB4_5798:                             ;   in Loop: Header=BB4_4959 Depth=2
	s_and_not1_saveexec_b32 s7, s40
; %bb.5799:                             ;   in Loop: Header=BB4_4959 Depth=2
	v_or_b32_e32 v119, 0x7b, v2
; %bb.5800:                             ;   in Loop: Header=BB4_4959 Depth=2
	s_or_b32 exec_lo, exec_lo, s7
                                        ; implicit-def: $vgpr10
                                        ; implicit-def: $vgpr2
.LBB4_5801:                             ;   in Loop: Header=BB4_4959 Depth=2
	s_and_not1_saveexec_b32 s7, s29
	s_cbranch_execz .LBB4_5807
; %bb.5802:                             ;   in Loop: Header=BB4_4959 Depth=2
	s_mov_b32 s29, exec_lo
                                        ; implicit-def: $vgpr119
	v_cmpx_ne_u64_e32 0, v[36:37]
	s_xor_b32 s29, exec_lo, s29
; %bb.5803:                             ;   in Loop: Header=BB4_4959 Depth=2
	v_or_b32_e32 v119, 0x7f, v2
                                        ; implicit-def: $vgpr10
; %bb.5804:                             ;   in Loop: Header=BB4_4959 Depth=2
	s_and_not1_saveexec_b32 s29, s29
; %bb.5805:                             ;   in Loop: Header=BB4_4959 Depth=2
	v_cmp_lt_i32_e32 vcc_lo, -1, v10
	v_cndmask_b32_e32 v119, 0xfc, v110, vcc_lo
; %bb.5806:                             ;   in Loop: Header=BB4_4959 Depth=2
	s_or_b32 exec_lo, exec_lo, s29
.LBB4_5807:                             ;   in Loop: Header=BB4_4959 Depth=2
	s_delay_alu instid0(SALU_CYCLE_1) | instskip(SKIP_3) | instid1(VALU_DEP_2)
	s_or_b32 exec_lo, exec_lo, s7
	v_and_b32_e32 v2, 0xff, v13
	v_dual_mov_b32 v36, v13 :: v_dual_mov_b32 v10, 0
	s_mov_b32 s7, exec_lo
	v_cmpx_ne_u16_e32 0, v2
	s_cbranch_execz .LBB4_5817
; %bb.5808:                             ;   in Loop: Header=BB4_4959 Depth=2
	v_bfrev_b32_e32 v10, 1
	s_mov_b32 s29, exec_lo
	v_cmpx_ne_u16_e32 0x80, v2
	s_cbranch_execz .LBB4_5816
; %bb.5809:                             ;   in Loop: Header=BB4_4959 Depth=2
	v_and_b32_e32 v10, 0x7c, v13
	v_and_b32_e32 v2, 3, v13
	s_delay_alu instid0(VALU_DEP_2) | instskip(SKIP_1) | instid1(SALU_CYCLE_1)
	v_cmp_ne_u32_e32 vcc_lo, 0x7c, v10
                                        ; implicit-def: $vgpr10
	s_and_saveexec_b32 s40, vcc_lo
	s_xor_b32 s40, exec_lo, s40
	s_cbranch_execz .LBB4_5813
; %bb.5810:                             ;   in Loop: Header=BB4_4959 Depth=2
	v_bfe_u32 v10, v13, 2, 5
	s_mov_b32 s41, exec_lo
	s_delay_alu instid0(VALU_DEP_1)
	v_cmpx_eq_u32_e32 0, v10
; %bb.5811:                             ;   in Loop: Header=BB4_4959 Depth=2
	v_clz_i32_u32_e32 v2, v2
	s_delay_alu instid0(VALU_DEP_1) | instskip(NEXT) | instid1(VALU_DEP_1)
	v_min_u32_e32 v2, 32, v2
	v_subrev_nc_u32_e32 v10, 29, v2
	s_delay_alu instid0(VALU_DEP_1) | instskip(SKIP_1) | instid1(VALU_DEP_2)
	v_lshlrev_b64_e32 v[14:15], v10, v[36:37]
	v_sub_nc_u32_e32 v10, 30, v2
	v_and_b32_e32 v2, 3, v14
; %bb.5812:                             ;   in Loop: Header=BB4_4959 Depth=2
	s_or_b32 exec_lo, exec_lo, s41
	v_lshlrev_b32_e32 v11, 24, v13
	s_delay_alu instid0(VALU_DEP_1) | instskip(NEXT) | instid1(VALU_DEP_1)
	v_and_b32_e32 v11, 0x80000000, v11
	v_lshl_add_u32 v10, v10, 23, v11
	s_delay_alu instid0(VALU_DEP_1) | instskip(NEXT) | instid1(VALU_DEP_1)
	v_lshl_or_b32 v2, v2, 21, v10
	v_add_nc_u32_e32 v10, 0x38000000, v2
                                        ; implicit-def: $vgpr2
.LBB4_5813:                             ;   in Loop: Header=BB4_4959 Depth=2
	s_and_not1_saveexec_b32 s40, s40
; %bb.5814:                             ;   in Loop: Header=BB4_4959 Depth=2
	v_bfe_i32 v10, v13, 0, 8
	s_delay_alu instid0(VALU_DEP_1) | instskip(SKIP_2) | instid1(VALU_DEP_2)
	v_cmp_lt_i16_e32 vcc_lo, -1, v10
	v_cndmask_b32_e32 v10, 0xff800000, v109, vcc_lo
	v_cmp_eq_u32_e32 vcc_lo, 0, v2
	v_cndmask_b32_e32 v10, 0x7f800001, v10, vcc_lo
; %bb.5815:                             ;   in Loop: Header=BB4_4959 Depth=2
	s_or_b32 exec_lo, exec_lo, s40
.LBB4_5816:                             ;   in Loop: Header=BB4_4959 Depth=2
	s_delay_alu instid0(SALU_CYCLE_1)
	s_or_b32 exec_lo, exec_lo, s29
.LBB4_5817:                             ;   in Loop: Header=BB4_4959 Depth=2
	s_delay_alu instid0(SALU_CYCLE_1) | instskip(NEXT) | instid1(VALU_DEP_1)
	s_or_b32 exec_lo, exec_lo, s7
	v_dual_mul_f32 v14, s28, v10 :: v_dual_mov_b32 v17, v37
	v_mov_b32_e32 v11, v37
                                        ; implicit-def: $vgpr100
	s_mov_b32 s7, exec_lo
	s_delay_alu instid0(VALU_DEP_2) | instskip(SKIP_2) | instid1(VALU_DEP_3)
	v_and_b32_e32 v16, 0x7f800000, v14
	v_and_b32_e32 v10, 0x7fffff, v14
	v_lshrrev_b32_e32 v2, 24, v14
	v_cmpx_ne_u64_e32 0x7f800000, v[16:17]
	s_xor_b32 s29, exec_lo, s7
	s_cbranch_execz .LBB4_5831
; %bb.5818:                             ;   in Loop: Header=BB4_4959 Depth=2
	v_and_b32_e32 v16, 0x7fffffff, v14
	v_mov_b32_e32 v17, v37
	v_and_b32_e32 v2, 0x80, v2
                                        ; implicit-def: $vgpr100
	s_mov_b32 s7, exec_lo
	s_delay_alu instid0(VALU_DEP_2)
	v_cmpx_gt_u64_e32 0x47600001, v[16:17]
	s_xor_b32 s40, exec_lo, s7
	s_cbranch_execz .LBB4_5828
; %bb.5819:                             ;   in Loop: Header=BB4_4959 Depth=2
	v_mov_b32_e32 v100, 0
	s_mov_b32 s41, exec_lo
	v_cmpx_ne_u32_e32 0, v14
	s_cbranch_execz .LBB4_5827
; %bb.5820:                             ;   in Loop: Header=BB4_4959 Depth=2
	v_bfe_u32 v16, v14, 23, 8
	v_or_b32_e32 v20, 0x800000, v10
	s_delay_alu instid0(VALU_DEP_2) | instskip(SKIP_1) | instid1(VALU_DEP_2)
	v_sub_nc_u32_e32 v14, 0x71, v16
	v_cmp_gt_u32_e32 vcc_lo, 0x72, v16
	v_cndmask_b32_e32 v14, 0, v14, vcc_lo
	v_cmp_eq_u32_e32 vcc_lo, 0, v16
	s_delay_alu instid0(VALU_DEP_2) | instskip(NEXT) | instid1(VALU_DEP_1)
	v_cndmask_b32_e64 v17, v14, 0x70, vcc_lo
	v_dual_cndmask_b32 v10, v20, v10, vcc_lo :: v_dual_add_nc_u32 v14, 21, v17
	v_add_nc_u32_e32 v21, 20, v17
	s_delay_alu instid0(VALU_DEP_2) | instskip(NEXT) | instid1(VALU_DEP_2)
	v_lshlrev_b64_e64 v[14:15], v14, -1
	v_lshlrev_b64_e64 v[20:21], v21, 1
	s_delay_alu instid0(VALU_DEP_2) | instskip(SKIP_1) | instid1(VALU_DEP_4)
	v_bfi_b32 v14, v14, 0, v10
	v_lshrrev_b64 v[10:11], v17, v[10:11]
	v_bfi_b32 v15, v15, 0, 0
	s_delay_alu instid0(VALU_DEP_1) | instskip(NEXT) | instid1(VALU_DEP_3)
	v_cmp_eq_u64_e64 s7, v[14:15], v[20:21]
	v_mov_b64_e32 v[14:15], v[10:11]
	s_and_saveexec_b32 s42, s7
; %bb.5821:                             ;   in Loop: Header=BB4_4959 Depth=2
	v_bfe_u32 v14, v10, 21, 1
	v_mov_b32_e32 v15, v37
	s_delay_alu instid0(VALU_DEP_1) | instskip(NEXT) | instid1(VALU_DEP_1)
	v_add_nc_u64_e32 v[14:15], v[10:11], v[14:15]
	v_add_nc_u64_e32 v[14:15], -1, v[14:15]
; %bb.5822:                             ;   in Loop: Header=BB4_4959 Depth=2
	s_or_b32 exec_lo, exec_lo, s42
	v_add_nc_u32_e32 v11, 0xffffff81, v16
	v_lshrrev_b32_e32 v15, 23, v10
	s_mov_b32 s7, exec_lo
	s_delay_alu instid0(VALU_DEP_2) | instskip(NEXT) | instid1(VALU_DEP_1)
	v_cndmask_b32_e64 v11, v11, 0xffffff82, vcc_lo
	v_add3_u32 v15, v17, v11, v15
	v_and_b32_e32 v11, 0x1fffff, v14
                                        ; implicit-def: $vgpr14
	s_delay_alu instid0(VALU_DEP_1) | instskip(SKIP_1) | instid1(VALU_DEP_2)
	v_dual_add_nc_u32 v16, 14, v15 :: v_dual_add_nc_u32 v10, v11, v10
	v_mov_b32_e32 v11, v37
	v_cmpx_ne_u32_e32 0, v16
	s_xor_b32 s7, exec_lo, s7
; %bb.5823:                             ;   in Loop: Header=BB4_4959 Depth=2
	s_delay_alu instid0(VALU_DEP_2) | instskip(SKIP_2) | instid1(VALU_DEP_2)
	v_cmp_lt_u64_e32 vcc_lo, 0xffffff, v[10:11]
	v_add_nc_u32_e32 v14, 15, v15
	v_cndmask_b32_e64 v15, 0, 1, vcc_lo
	v_cndmask_b32_e32 v14, v16, v14, vcc_lo
	s_delay_alu instid0(VALU_DEP_2)
	v_lshrrev_b64 v[10:11], v15, v[10:11]
; %bb.5824:                             ;   in Loop: Header=BB4_4959 Depth=2
	s_and_not1_saveexec_b32 s7, s7
; %bb.5825:                             ;   in Loop: Header=BB4_4959 Depth=2
	s_delay_alu instid0(VALU_DEP_1)
	v_bfe_u32 v14, v10, 23, 1
; %bb.5826:                             ;   in Loop: Header=BB4_4959 Depth=2
	s_or_b32 exec_lo, exec_lo, s7
	s_delay_alu instid0(VALU_DEP_2) | instskip(NEXT) | instid1(VALU_DEP_2)
	v_lshrrev_b64 v[10:11], 21, v[10:11]
	v_cmp_gt_i32_e32 vcc_lo, 32, v14
	v_min_i32_e32 v15, 31, v14
	v_cmp_eq_u32_e64 s7, 0, v14
	s_delay_alu instid0(VALU_DEP_4) | instskip(NEXT) | instid1(VALU_DEP_3)
	v_cndmask_b32_e32 v11, 0, v11, vcc_lo
	v_dual_cndmask_b32 v10, 3, v10 :: v_dual_lshlrev_b32 v15, 2, v15
	s_delay_alu instid0(VALU_DEP_1) | instskip(NEXT) | instid1(VALU_DEP_2)
	v_and_b32_e32 v15, 0xfc, v15
	v_cmp_eq_u64_e32 vcc_lo, 0, v[10:11]
	s_delay_alu instid0(VALU_DEP_2)
	v_and_or_b32 v10, v10, 3, v15
	s_and_b32 s7, s7, vcc_lo
	s_delay_alu instid0(VALU_DEP_1) | instid1(SALU_CYCLE_1)
	v_cndmask_b32_e64 v10, v10, 0, s7
	s_delay_alu instid0(VALU_DEP_1)
	v_or_b32_e32 v100, v10, v2
.LBB4_5827:                             ;   in Loop: Header=BB4_4959 Depth=2
	s_or_b32 exec_lo, exec_lo, s41
                                        ; implicit-def: $vgpr2
.LBB4_5828:                             ;   in Loop: Header=BB4_4959 Depth=2
	s_and_not1_saveexec_b32 s7, s40
; %bb.5829:                             ;   in Loop: Header=BB4_4959 Depth=2
	v_or_b32_e32 v100, 0x7b, v2
; %bb.5830:                             ;   in Loop: Header=BB4_4959 Depth=2
	s_or_b32 exec_lo, exec_lo, s7
                                        ; implicit-def: $vgpr14
                                        ; implicit-def: $vgpr10_vgpr11
                                        ; implicit-def: $vgpr2
.LBB4_5831:                             ;   in Loop: Header=BB4_4959 Depth=2
	s_and_not1_saveexec_b32 s7, s29
	s_cbranch_execz .LBB4_5837
; %bb.5832:                             ;   in Loop: Header=BB4_4959 Depth=2
	s_mov_b32 s29, exec_lo
                                        ; implicit-def: $vgpr100
	v_cmpx_ne_u64_e32 0, v[10:11]
	s_xor_b32 s29, exec_lo, s29
; %bb.5833:                             ;   in Loop: Header=BB4_4959 Depth=2
	v_or_b32_e32 v100, 0x7f, v2
                                        ; implicit-def: $vgpr14
; %bb.5834:                             ;   in Loop: Header=BB4_4959 Depth=2
	s_and_not1_saveexec_b32 s29, s29
; %bb.5835:                             ;   in Loop: Header=BB4_4959 Depth=2
	v_cmp_lt_i32_e32 vcc_lo, -1, v14
	v_cndmask_b32_e32 v100, 0xfc, v110, vcc_lo
; %bb.5836:                             ;   in Loop: Header=BB4_4959 Depth=2
	s_or_b32 exec_lo, exec_lo, s29
.LBB4_5837:                             ;   in Loop: Header=BB4_4959 Depth=2
	s_delay_alu instid0(SALU_CYCLE_1) | instskip(SKIP_3) | instid1(VALU_DEP_2)
	s_or_b32 exec_lo, exec_lo, s7
	v_lshrrev_b16 v10, 8, v36
	v_mov_b32_e32 v11, 0
	s_mov_b32 s7, exec_lo
	v_cmpx_ne_u16_e32 0, v10
	s_cbranch_execz .LBB4_5847
; %bb.5838:                             ;   in Loop: Header=BB4_4959 Depth=2
	v_bfrev_b32_e32 v11, 1
	s_mov_b32 s29, exec_lo
	v_cmpx_ne_u16_e32 0x80, v10
	s_cbranch_execz .LBB4_5846
; %bb.5839:                             ;   in Loop: Header=BB4_4959 Depth=2
	v_and_b32_e32 v14, 0xffff, v10
	s_delay_alu instid0(VALU_DEP_1) | instskip(SKIP_1) | instid1(VALU_DEP_2)
	v_and_b32_e32 v11, 0x7c, v14
	v_and_b32_e32 v2, 3, v14
	v_cmp_ne_u32_e32 vcc_lo, 0x7c, v11
                                        ; implicit-def: $vgpr11
	s_and_saveexec_b32 s40, vcc_lo
	s_delay_alu instid0(SALU_CYCLE_1)
	s_xor_b32 s40, exec_lo, s40
	s_cbranch_execz .LBB4_5843
; %bb.5840:                             ;   in Loop: Header=BB4_4959 Depth=2
	v_bfe_u32 v11, v14, 2, 5
	s_mov_b32 s41, exec_lo
	s_delay_alu instid0(VALU_DEP_1)
	v_cmpx_eq_u32_e32 0, v11
	s_cbranch_execz .LBB4_5842
; %bb.5841:                             ;   in Loop: Header=BB4_4959 Depth=2
	v_clz_i32_u32_e32 v2, v2
	v_mov_b32_e32 v11, v37
	s_delay_alu instid0(VALU_DEP_2) | instskip(NEXT) | instid1(VALU_DEP_1)
	v_min_u32_e32 v2, 32, v2
	v_subrev_nc_u32_e32 v14, 29, v2
	s_delay_alu instid0(VALU_DEP_1) | instskip(SKIP_1) | instid1(VALU_DEP_2)
	v_lshlrev_b64_e32 v[10:11], v14, v[10:11]
	v_sub_nc_u32_e32 v11, 30, v2
	v_and_b32_e32 v2, 3, v10
.LBB4_5842:                             ;   in Loop: Header=BB4_4959 Depth=2
	s_or_b32 exec_lo, exec_lo, s41
	v_lshlrev_b32_e32 v10, 16, v36
	s_delay_alu instid0(VALU_DEP_1) | instskip(NEXT) | instid1(VALU_DEP_1)
	v_and_b32_e32 v10, 0x80000000, v10
	v_lshl_add_u32 v10, v11, 23, v10
	s_delay_alu instid0(VALU_DEP_1) | instskip(NEXT) | instid1(VALU_DEP_1)
	v_lshl_or_b32 v2, v2, 21, v10
	v_add_nc_u32_e32 v11, 0x38000000, v2
                                        ; implicit-def: $vgpr2
.LBB4_5843:                             ;   in Loop: Header=BB4_4959 Depth=2
	s_and_not1_saveexec_b32 s40, s40
; %bb.5844:                             ;   in Loop: Header=BB4_4959 Depth=2
	v_cmp_lt_i16_e32 vcc_lo, -1, v36
	v_cndmask_b32_e32 v10, 0xff800000, v109, vcc_lo
	v_cmp_eq_u32_e32 vcc_lo, 0, v2
	s_delay_alu instid0(VALU_DEP_2)
	v_cndmask_b32_e32 v11, 0x7f800001, v10, vcc_lo
; %bb.5845:                             ;   in Loop: Header=BB4_4959 Depth=2
	s_or_b32 exec_lo, exec_lo, s40
.LBB4_5846:                             ;   in Loop: Header=BB4_4959 Depth=2
	s_delay_alu instid0(SALU_CYCLE_1)
	s_or_b32 exec_lo, exec_lo, s29
.LBB4_5847:                             ;   in Loop: Header=BB4_4959 Depth=2
	s_delay_alu instid0(SALU_CYCLE_1) | instskip(NEXT) | instid1(VALU_DEP_1)
	s_or_b32 exec_lo, exec_lo, s7
	v_dual_mul_f32 v10, s28, v11 :: v_dual_mov_b32 v15, v37
                                        ; implicit-def: $vgpr101
	s_mov_b32 s7, exec_lo
	s_delay_alu instid0(VALU_DEP_1) | instskip(SKIP_2) | instid1(VALU_DEP_3)
	v_and_b32_e32 v14, 0x7f800000, v10
	v_and_b32_e32 v36, 0x7fffff, v10
	v_lshrrev_b32_e32 v2, 24, v10
	v_cmpx_ne_u64_e32 0x7f800000, v[14:15]
	s_xor_b32 s29, exec_lo, s7
	s_cbranch_execz .LBB4_5861
; %bb.5848:                             ;   in Loop: Header=BB4_4959 Depth=2
	v_and_b32_e32 v14, 0x7fffffff, v10
	v_mov_b32_e32 v15, v37
	v_and_b32_e32 v2, 0x80, v2
                                        ; implicit-def: $vgpr101
	s_mov_b32 s7, exec_lo
	s_delay_alu instid0(VALU_DEP_2)
	v_cmpx_gt_u64_e32 0x47600001, v[14:15]
	s_xor_b32 s40, exec_lo, s7
	s_cbranch_execz .LBB4_5858
; %bb.5849:                             ;   in Loop: Header=BB4_4959 Depth=2
	v_mov_b32_e32 v101, 0
	s_mov_b32 s41, exec_lo
	v_cmpx_ne_u32_e32 0, v10
	s_cbranch_execz .LBB4_5857
; %bb.5850:                             ;   in Loop: Header=BB4_4959 Depth=2
	v_bfe_u32 v16, v10, 23, 8
	v_or_b32_e32 v14, 0x800000, v36
	s_mov_b32 s42, exec_lo
	s_delay_alu instid0(VALU_DEP_2) | instskip(SKIP_1) | instid1(VALU_DEP_2)
	v_dual_mov_b32 v15, v37 :: v_dual_sub_nc_u32 v10, 0x71, v16
	v_cmp_gt_u32_e32 vcc_lo, 0x72, v16
	v_cndmask_b32_e32 v10, 0, v10, vcc_lo
	v_cmp_eq_u32_e32 vcc_lo, 0, v16
	s_delay_alu instid0(VALU_DEP_2) | instskip(NEXT) | instid1(VALU_DEP_1)
	v_cndmask_b32_e64 v17, v10, 0x70, vcc_lo
	v_dual_cndmask_b32 v14, v14, v36, vcc_lo :: v_dual_add_nc_u32 v10, 21, v17
	v_add_nc_u32_e32 v20, 20, v17
	s_delay_alu instid0(VALU_DEP_2) | instskip(NEXT) | instid1(VALU_DEP_2)
	v_lshlrev_b64_e64 v[10:11], v10, -1
	v_lshlrev_b64_e64 v[20:21], v20, 1
	s_delay_alu instid0(VALU_DEP_2) | instskip(NEXT) | instid1(VALU_DEP_3)
	v_bfi_b32 v25, v11, 0, 0
	v_bfi_b32 v24, v10, 0, v14
	v_lshrrev_b64 v[10:11], v17, v[14:15]
	s_delay_alu instid0(VALU_DEP_1) | instskip(NEXT) | instid1(VALU_DEP_3)
	v_mov_b64_e32 v[14:15], v[10:11]
	v_cmpx_eq_u64_e64 v[24:25], v[20:21]
; %bb.5851:                             ;   in Loop: Header=BB4_4959 Depth=2
	v_bfe_u32 v14, v10, 21, 1
	v_mov_b32_e32 v15, v37
	s_delay_alu instid0(VALU_DEP_1) | instskip(NEXT) | instid1(VALU_DEP_1)
	v_add_nc_u64_e32 v[14:15], v[10:11], v[14:15]
	v_add_nc_u64_e32 v[14:15], -1, v[14:15]
; %bb.5852:                             ;   in Loop: Header=BB4_4959 Depth=2
	s_or_b32 exec_lo, exec_lo, s42
	v_add_nc_u32_e32 v11, 0xffffff81, v16
	v_lshrrev_b32_e32 v15, 23, v10
	s_mov_b32 s7, exec_lo
	s_delay_alu instid0(VALU_DEP_2) | instskip(NEXT) | instid1(VALU_DEP_1)
	v_cndmask_b32_e64 v11, v11, 0xffffff82, vcc_lo
	v_add3_u32 v15, v17, v11, v15
	v_and_b32_e32 v11, 0x1fffff, v14
                                        ; implicit-def: $vgpr14
	s_delay_alu instid0(VALU_DEP_1) | instskip(NEXT) | instid1(VALU_DEP_1)
	v_dual_add_nc_u32 v16, 14, v15 :: v_dual_add_nc_u32 v36, v11, v10
                                        ; implicit-def: $vgpr10_vgpr11
	v_cmpx_ne_u32_e32 0, v16
	s_xor_b32 s7, exec_lo, s7
; %bb.5853:                             ;   in Loop: Header=BB4_4959 Depth=2
	s_delay_alu instid0(VALU_DEP_2) | instskip(SKIP_1) | instid1(VALU_DEP_1)
	v_cmp_lt_u64_e32 vcc_lo, 0xffffff, v[36:37]
	v_add_nc_u32_e32 v10, 15, v15
	v_cndmask_b32_e32 v14, v16, v10, vcc_lo
	v_cndmask_b32_e64 v10, 0, 1, vcc_lo
	s_delay_alu instid0(VALU_DEP_1)
	v_lshrrev_b64 v[10:11], v10, v[36:37]
; %bb.5854:                             ;   in Loop: Header=BB4_4959 Depth=2
	s_and_not1_saveexec_b32 s7, s7
; %bb.5855:                             ;   in Loop: Header=BB4_4959 Depth=2
	v_mov_b64_e32 v[10:11], v[36:37]
	v_bfe_u32 v14, v36, 23, 1
; %bb.5856:                             ;   in Loop: Header=BB4_4959 Depth=2
	s_or_b32 exec_lo, exec_lo, s7
	s_delay_alu instid0(VALU_DEP_2) | instskip(NEXT) | instid1(VALU_DEP_2)
	v_lshrrev_b64 v[10:11], 21, v[10:11]
	v_cmp_gt_i32_e32 vcc_lo, 32, v14
	v_min_i32_e32 v15, 31, v14
	v_cmp_eq_u32_e64 s7, 0, v14
	s_delay_alu instid0(VALU_DEP_4) | instskip(NEXT) | instid1(VALU_DEP_3)
	v_cndmask_b32_e32 v11, 0, v11, vcc_lo
	v_dual_cndmask_b32 v10, 3, v10 :: v_dual_lshlrev_b32 v15, 2, v15
	s_delay_alu instid0(VALU_DEP_1) | instskip(NEXT) | instid1(VALU_DEP_2)
	v_and_b32_e32 v15, 0xfc, v15
	v_cmp_eq_u64_e32 vcc_lo, 0, v[10:11]
	s_delay_alu instid0(VALU_DEP_2)
	v_and_or_b32 v10, v10, 3, v15
	s_and_b32 s7, s7, vcc_lo
	s_delay_alu instid0(VALU_DEP_1) | instid1(SALU_CYCLE_1)
	v_cndmask_b32_e64 v10, v10, 0, s7
	s_delay_alu instid0(VALU_DEP_1)
	v_or_b32_e32 v101, v10, v2
.LBB4_5857:                             ;   in Loop: Header=BB4_4959 Depth=2
	s_or_b32 exec_lo, exec_lo, s41
                                        ; implicit-def: $vgpr2
.LBB4_5858:                             ;   in Loop: Header=BB4_4959 Depth=2
	s_and_not1_saveexec_b32 s7, s40
; %bb.5859:                             ;   in Loop: Header=BB4_4959 Depth=2
	v_or_b32_e32 v101, 0x7b, v2
; %bb.5860:                             ;   in Loop: Header=BB4_4959 Depth=2
	s_or_b32 exec_lo, exec_lo, s7
                                        ; implicit-def: $vgpr10
                                        ; implicit-def: $vgpr2
.LBB4_5861:                             ;   in Loop: Header=BB4_4959 Depth=2
	s_and_not1_saveexec_b32 s7, s29
	s_cbranch_execz .LBB4_5867
; %bb.5862:                             ;   in Loop: Header=BB4_4959 Depth=2
	s_mov_b32 s29, exec_lo
                                        ; implicit-def: $vgpr101
	v_cmpx_ne_u64_e32 0, v[36:37]
	s_xor_b32 s29, exec_lo, s29
; %bb.5863:                             ;   in Loop: Header=BB4_4959 Depth=2
	v_or_b32_e32 v101, 0x7f, v2
                                        ; implicit-def: $vgpr10
; %bb.5864:                             ;   in Loop: Header=BB4_4959 Depth=2
	s_and_not1_saveexec_b32 s29, s29
; %bb.5865:                             ;   in Loop: Header=BB4_4959 Depth=2
	v_cmp_lt_i32_e32 vcc_lo, -1, v10
	v_cndmask_b32_e32 v101, 0xfc, v110, vcc_lo
; %bb.5866:                             ;   in Loop: Header=BB4_4959 Depth=2
	s_or_b32 exec_lo, exec_lo, s29
.LBB4_5867:                             ;   in Loop: Header=BB4_4959 Depth=2
	s_delay_alu instid0(SALU_CYCLE_1) | instskip(SKIP_2) | instid1(VALU_DEP_1)
	s_or_b32 exec_lo, exec_lo, s7
	v_dual_mov_b32 v11, 0 :: v_dual_lshrrev_b32 v10, 16, v13
	s_mov_b32 s7, exec_lo
	v_and_b32_e32 v2, 0xff, v10
	s_delay_alu instid0(VALU_DEP_1)
	v_cmpx_ne_u16_e32 0, v2
	s_cbranch_execz .LBB4_5877
; %bb.5868:                             ;   in Loop: Header=BB4_4959 Depth=2
	v_bfrev_b32_e32 v11, 1
	s_mov_b32 s29, exec_lo
	v_cmpx_ne_u16_e32 0x80, v2
	s_cbranch_execz .LBB4_5876
; %bb.5869:                             ;   in Loop: Header=BB4_4959 Depth=2
	v_and_b32_e32 v11, 0x7c0000, v13
	v_bfe_u32 v2, v13, 16, 2
	s_delay_alu instid0(VALU_DEP_2) | instskip(SKIP_1) | instid1(SALU_CYCLE_1)
	v_cmp_ne_u32_e32 vcc_lo, 0x7c0000, v11
                                        ; implicit-def: $vgpr11
	s_and_saveexec_b32 s40, vcc_lo
	s_xor_b32 s40, exec_lo, s40
	s_cbranch_execz .LBB4_5873
; %bb.5870:                             ;   in Loop: Header=BB4_4959 Depth=2
	v_bfe_u32 v11, v13, 18, 5
	s_mov_b32 s41, exec_lo
	s_delay_alu instid0(VALU_DEP_1)
	v_cmpx_eq_u32_e32 0, v11
; %bb.5871:                             ;   in Loop: Header=BB4_4959 Depth=2
	v_clz_i32_u32_e32 v2, v2
	s_delay_alu instid0(VALU_DEP_1) | instskip(NEXT) | instid1(VALU_DEP_1)
	v_min_u32_e32 v2, 32, v2
	v_subrev_nc_u32_e32 v11, 29, v2
	s_delay_alu instid0(VALU_DEP_1) | instskip(SKIP_1) | instid1(VALU_DEP_2)
	v_lshlrev_b64_e32 v[14:15], v11, v[10:11]
	v_sub_nc_u32_e32 v11, 30, v2
	v_and_b32_e32 v2, 3, v14
; %bb.5872:                             ;   in Loop: Header=BB4_4959 Depth=2
	s_or_b32 exec_lo, exec_lo, s41
	v_lshlrev_b32_e32 v10, 24, v10
	s_delay_alu instid0(VALU_DEP_1) | instskip(NEXT) | instid1(VALU_DEP_1)
	v_and_b32_e32 v10, 0x80000000, v10
	v_lshl_add_u32 v10, v11, 23, v10
	s_delay_alu instid0(VALU_DEP_1) | instskip(NEXT) | instid1(VALU_DEP_1)
	v_lshl_or_b32 v2, v2, 21, v10
                                        ; implicit-def: $vgpr10
	v_add_nc_u32_e32 v11, 0x38000000, v2
                                        ; implicit-def: $vgpr2
.LBB4_5873:                             ;   in Loop: Header=BB4_4959 Depth=2
	s_and_not1_saveexec_b32 s40, s40
; %bb.5874:                             ;   in Loop: Header=BB4_4959 Depth=2
	v_bfe_i32 v10, v10, 0, 8
	s_delay_alu instid0(VALU_DEP_1) | instskip(SKIP_2) | instid1(VALU_DEP_2)
	v_cmp_lt_i16_e32 vcc_lo, -1, v10
	v_cndmask_b32_e32 v10, 0xff800000, v109, vcc_lo
	v_cmp_eq_u32_e32 vcc_lo, 0, v2
	v_cndmask_b32_e32 v11, 0x7f800001, v10, vcc_lo
; %bb.5875:                             ;   in Loop: Header=BB4_4959 Depth=2
	s_or_b32 exec_lo, exec_lo, s40
.LBB4_5876:                             ;   in Loop: Header=BB4_4959 Depth=2
	s_delay_alu instid0(SALU_CYCLE_1)
	s_or_b32 exec_lo, exec_lo, s29
.LBB4_5877:                             ;   in Loop: Header=BB4_4959 Depth=2
	s_delay_alu instid0(SALU_CYCLE_1) | instskip(NEXT) | instid1(VALU_DEP_1)
	s_or_b32 exec_lo, exec_lo, s7
	v_dual_mul_f32 v10, s28, v11 :: v_dual_mov_b32 v15, v37
                                        ; implicit-def: $vgpr103
	s_mov_b32 s7, exec_lo
	s_delay_alu instid0(VALU_DEP_1) | instskip(SKIP_2) | instid1(VALU_DEP_3)
	v_and_b32_e32 v14, 0x7f800000, v10
	v_and_b32_e32 v36, 0x7fffff, v10
	v_lshrrev_b32_e32 v2, 24, v10
	v_cmpx_ne_u64_e32 0x7f800000, v[14:15]
	s_xor_b32 s29, exec_lo, s7
	s_cbranch_execz .LBB4_5891
; %bb.5878:                             ;   in Loop: Header=BB4_4959 Depth=2
	v_and_b32_e32 v14, 0x7fffffff, v10
	v_mov_b32_e32 v15, v37
	v_and_b32_e32 v2, 0x80, v2
                                        ; implicit-def: $vgpr103
	s_mov_b32 s7, exec_lo
	s_delay_alu instid0(VALU_DEP_2)
	v_cmpx_gt_u64_e32 0x47600001, v[14:15]
	s_xor_b32 s40, exec_lo, s7
	s_cbranch_execz .LBB4_5888
; %bb.5879:                             ;   in Loop: Header=BB4_4959 Depth=2
	v_mov_b32_e32 v103, 0
	s_mov_b32 s41, exec_lo
	v_cmpx_ne_u32_e32 0, v10
	s_cbranch_execz .LBB4_5887
; %bb.5880:                             ;   in Loop: Header=BB4_4959 Depth=2
	v_bfe_u32 v16, v10, 23, 8
	v_or_b32_e32 v14, 0x800000, v36
	s_mov_b32 s42, exec_lo
	s_delay_alu instid0(VALU_DEP_2) | instskip(SKIP_1) | instid1(VALU_DEP_2)
	v_dual_mov_b32 v15, v37 :: v_dual_sub_nc_u32 v10, 0x71, v16
	v_cmp_gt_u32_e32 vcc_lo, 0x72, v16
	v_cndmask_b32_e32 v10, 0, v10, vcc_lo
	v_cmp_eq_u32_e32 vcc_lo, 0, v16
	s_delay_alu instid0(VALU_DEP_2) | instskip(NEXT) | instid1(VALU_DEP_1)
	v_cndmask_b32_e64 v17, v10, 0x70, vcc_lo
	v_dual_cndmask_b32 v14, v14, v36, vcc_lo :: v_dual_add_nc_u32 v10, 21, v17
	v_add_nc_u32_e32 v20, 20, v17
	s_delay_alu instid0(VALU_DEP_2) | instskip(NEXT) | instid1(VALU_DEP_2)
	v_lshlrev_b64_e64 v[10:11], v10, -1
	v_lshlrev_b64_e64 v[20:21], v20, 1
	s_delay_alu instid0(VALU_DEP_2) | instskip(NEXT) | instid1(VALU_DEP_3)
	v_bfi_b32 v25, v11, 0, 0
	v_bfi_b32 v24, v10, 0, v14
	v_lshrrev_b64 v[10:11], v17, v[14:15]
	s_delay_alu instid0(VALU_DEP_1) | instskip(NEXT) | instid1(VALU_DEP_3)
	v_mov_b64_e32 v[14:15], v[10:11]
	v_cmpx_eq_u64_e64 v[24:25], v[20:21]
; %bb.5881:                             ;   in Loop: Header=BB4_4959 Depth=2
	v_bfe_u32 v14, v10, 21, 1
	v_mov_b32_e32 v15, v37
	s_delay_alu instid0(VALU_DEP_1) | instskip(NEXT) | instid1(VALU_DEP_1)
	v_add_nc_u64_e32 v[14:15], v[10:11], v[14:15]
	v_add_nc_u64_e32 v[14:15], -1, v[14:15]
; %bb.5882:                             ;   in Loop: Header=BB4_4959 Depth=2
	s_or_b32 exec_lo, exec_lo, s42
	v_add_nc_u32_e32 v11, 0xffffff81, v16
	v_lshrrev_b32_e32 v15, 23, v10
	s_mov_b32 s7, exec_lo
	s_delay_alu instid0(VALU_DEP_2) | instskip(NEXT) | instid1(VALU_DEP_1)
	v_cndmask_b32_e64 v11, v11, 0xffffff82, vcc_lo
	v_add3_u32 v15, v17, v11, v15
	v_and_b32_e32 v11, 0x1fffff, v14
                                        ; implicit-def: $vgpr14
	s_delay_alu instid0(VALU_DEP_1) | instskip(NEXT) | instid1(VALU_DEP_1)
	v_dual_add_nc_u32 v16, 14, v15 :: v_dual_add_nc_u32 v36, v11, v10
                                        ; implicit-def: $vgpr10_vgpr11
	v_cmpx_ne_u32_e32 0, v16
	s_xor_b32 s7, exec_lo, s7
; %bb.5883:                             ;   in Loop: Header=BB4_4959 Depth=2
	s_delay_alu instid0(VALU_DEP_2) | instskip(SKIP_1) | instid1(VALU_DEP_1)
	v_cmp_lt_u64_e32 vcc_lo, 0xffffff, v[36:37]
	v_add_nc_u32_e32 v10, 15, v15
	v_cndmask_b32_e32 v14, v16, v10, vcc_lo
	v_cndmask_b32_e64 v10, 0, 1, vcc_lo
	s_delay_alu instid0(VALU_DEP_1)
	v_lshrrev_b64 v[10:11], v10, v[36:37]
; %bb.5884:                             ;   in Loop: Header=BB4_4959 Depth=2
	s_and_not1_saveexec_b32 s7, s7
; %bb.5885:                             ;   in Loop: Header=BB4_4959 Depth=2
	v_mov_b64_e32 v[10:11], v[36:37]
	v_bfe_u32 v14, v36, 23, 1
; %bb.5886:                             ;   in Loop: Header=BB4_4959 Depth=2
	s_or_b32 exec_lo, exec_lo, s7
	s_delay_alu instid0(VALU_DEP_2) | instskip(NEXT) | instid1(VALU_DEP_2)
	v_lshrrev_b64 v[10:11], 21, v[10:11]
	v_cmp_gt_i32_e32 vcc_lo, 32, v14
	v_min_i32_e32 v15, 31, v14
	v_cmp_eq_u32_e64 s7, 0, v14
	s_delay_alu instid0(VALU_DEP_4) | instskip(NEXT) | instid1(VALU_DEP_3)
	v_cndmask_b32_e32 v11, 0, v11, vcc_lo
	v_dual_cndmask_b32 v10, 3, v10 :: v_dual_lshlrev_b32 v15, 2, v15
	s_delay_alu instid0(VALU_DEP_1) | instskip(NEXT) | instid1(VALU_DEP_2)
	v_and_b32_e32 v15, 0xfc, v15
	v_cmp_eq_u64_e32 vcc_lo, 0, v[10:11]
	s_delay_alu instid0(VALU_DEP_2)
	v_and_or_b32 v10, v10, 3, v15
	s_and_b32 s7, s7, vcc_lo
	s_delay_alu instid0(VALU_DEP_1) | instid1(SALU_CYCLE_1)
	v_cndmask_b32_e64 v10, v10, 0, s7
	s_delay_alu instid0(VALU_DEP_1)
	v_or_b32_e32 v103, v10, v2
.LBB4_5887:                             ;   in Loop: Header=BB4_4959 Depth=2
	s_or_b32 exec_lo, exec_lo, s41
                                        ; implicit-def: $vgpr2
.LBB4_5888:                             ;   in Loop: Header=BB4_4959 Depth=2
	s_and_not1_saveexec_b32 s7, s40
; %bb.5889:                             ;   in Loop: Header=BB4_4959 Depth=2
	v_or_b32_e32 v103, 0x7b, v2
; %bb.5890:                             ;   in Loop: Header=BB4_4959 Depth=2
	s_or_b32 exec_lo, exec_lo, s7
                                        ; implicit-def: $vgpr10
                                        ; implicit-def: $vgpr2
.LBB4_5891:                             ;   in Loop: Header=BB4_4959 Depth=2
	s_and_not1_saveexec_b32 s7, s29
	s_cbranch_execz .LBB4_5897
; %bb.5892:                             ;   in Loop: Header=BB4_4959 Depth=2
	s_mov_b32 s29, exec_lo
                                        ; implicit-def: $vgpr103
	v_cmpx_ne_u64_e32 0, v[36:37]
	s_xor_b32 s29, exec_lo, s29
; %bb.5893:                             ;   in Loop: Header=BB4_4959 Depth=2
	v_or_b32_e32 v103, 0x7f, v2
                                        ; implicit-def: $vgpr10
; %bb.5894:                             ;   in Loop: Header=BB4_4959 Depth=2
	s_and_not1_saveexec_b32 s29, s29
; %bb.5895:                             ;   in Loop: Header=BB4_4959 Depth=2
	v_cmp_lt_i32_e32 vcc_lo, -1, v10
	v_cndmask_b32_e32 v103, 0xfc, v110, vcc_lo
; %bb.5896:                             ;   in Loop: Header=BB4_4959 Depth=2
	s_or_b32 exec_lo, exec_lo, s29
.LBB4_5897:                             ;   in Loop: Header=BB4_4959 Depth=2
	s_delay_alu instid0(SALU_CYCLE_1)
	s_or_b32 exec_lo, exec_lo, s7
	v_mov_b32_e32 v2, 0
	s_mov_b32 s7, exec_lo
	v_cmpx_lt_u64_e64 s[12:13], v[12:13]
	s_cbranch_execz .LBB4_5907
; %bb.5898:                             ;   in Loop: Header=BB4_4959 Depth=2
	v_lshrrev_b32_e32 v10, 24, v13
	v_bfrev_b32_e32 v2, 1
	s_mov_b32 s29, exec_lo
	s_delay_alu instid0(VALU_DEP_2)
	v_cmpx_ne_u32_e32 0x80, v10
	s_cbranch_execz .LBB4_5906
; %bb.5899:                             ;   in Loop: Header=BB4_4959 Depth=2
	v_and_b32_e32 v2, 0x7c000000, v13
	v_bfe_u32 v11, v13, 24, 2
	s_delay_alu instid0(VALU_DEP_2) | instskip(SKIP_1) | instid1(SALU_CYCLE_1)
	v_cmp_ne_u32_e32 vcc_lo, 0x7c000000, v2
                                        ; implicit-def: $vgpr2
	s_and_saveexec_b32 s40, vcc_lo
	s_xor_b32 s40, exec_lo, s40
	s_cbranch_execz .LBB4_5903
; %bb.5900:                             ;   in Loop: Header=BB4_4959 Depth=2
	v_bfe_u32 v2, v13, 26, 5
	s_mov_b32 s41, exec_lo
	s_delay_alu instid0(VALU_DEP_1)
	v_cmpx_eq_u32_e32 0, v2
; %bb.5901:                             ;   in Loop: Header=BB4_4959 Depth=2
	v_clz_i32_u32_e32 v2, v11
	s_delay_alu instid0(VALU_DEP_1) | instskip(NEXT) | instid1(VALU_DEP_1)
	v_min_u32_e32 v2, 32, v2
	v_subrev_nc_u32_e32 v11, 29, v2
	v_sub_nc_u32_e32 v2, 30, v2
	s_delay_alu instid0(VALU_DEP_2) | instskip(NEXT) | instid1(VALU_DEP_1)
	v_lshlrev_b64_e32 v[10:11], v11, v[10:11]
	v_and_b32_e32 v11, 3, v10
; %bb.5902:                             ;   in Loop: Header=BB4_4959 Depth=2
	s_or_b32 exec_lo, exec_lo, s41
	v_and_b32_e32 v10, 0x80000000, v13
                                        ; implicit-def: $vgpr12_vgpr13
	s_delay_alu instid0(VALU_DEP_1) | instskip(NEXT) | instid1(VALU_DEP_1)
	v_lshl_add_u32 v2, v2, 23, v10
	v_lshl_or_b32 v2, v11, 21, v2
                                        ; implicit-def: $vgpr11
	s_delay_alu instid0(VALU_DEP_1)
	v_add_nc_u32_e32 v2, 0x38000000, v2
.LBB4_5903:                             ;   in Loop: Header=BB4_4959 Depth=2
	s_and_not1_saveexec_b32 s40, s40
; %bb.5904:                             ;   in Loop: Header=BB4_4959 Depth=2
	v_cmp_lt_i64_e32 vcc_lo, -1, v[12:13]
	v_cndmask_b32_e32 v2, 0xff800000, v109, vcc_lo
	v_cmp_eq_u32_e32 vcc_lo, 0, v11
	s_delay_alu instid0(VALU_DEP_2)
	v_cndmask_b32_e32 v2, 0x7f800001, v2, vcc_lo
; %bb.5905:                             ;   in Loop: Header=BB4_4959 Depth=2
	s_or_b32 exec_lo, exec_lo, s40
.LBB4_5906:                             ;   in Loop: Header=BB4_4959 Depth=2
	s_delay_alu instid0(SALU_CYCLE_1)
	s_or_b32 exec_lo, exec_lo, s29
.LBB4_5907:                             ;   in Loop: Header=BB4_4959 Depth=2
	s_delay_alu instid0(SALU_CYCLE_1) | instskip(NEXT) | instid1(VALU_DEP_1)
	s_or_b32 exec_lo, exec_lo, s7
	v_dual_mul_f32 v10, s28, v2 :: v_dual_mov_b32 v13, v37
                                        ; implicit-def: $vgpr114
	s_mov_b32 s7, exec_lo
	s_delay_alu instid0(VALU_DEP_1) | instskip(SKIP_2) | instid1(VALU_DEP_3)
	v_and_b32_e32 v12, 0x7f800000, v10
	v_and_b32_e32 v36, 0x7fffff, v10
	v_lshrrev_b32_e32 v2, 24, v10
	v_cmpx_ne_u64_e32 0x7f800000, v[12:13]
	s_xor_b32 s28, exec_lo, s7
	s_cbranch_execz .LBB4_5921
; %bb.5908:                             ;   in Loop: Header=BB4_4959 Depth=2
	v_and_b32_e32 v12, 0x7fffffff, v10
	v_mov_b32_e32 v13, v37
	v_and_b32_e32 v2, 0x80, v2
                                        ; implicit-def: $vgpr114
	s_mov_b32 s7, exec_lo
	s_delay_alu instid0(VALU_DEP_2)
	v_cmpx_gt_u64_e32 0x47600001, v[12:13]
	s_xor_b32 s29, exec_lo, s7
	s_cbranch_execz .LBB4_5918
; %bb.5909:                             ;   in Loop: Header=BB4_4959 Depth=2
	v_mov_b32_e32 v114, 0
	s_mov_b32 s40, exec_lo
	v_cmpx_ne_u32_e32 0, v10
	s_cbranch_execz .LBB4_5917
; %bb.5910:                             ;   in Loop: Header=BB4_4959 Depth=2
	v_bfe_u32 v14, v10, 23, 8
	v_or_b32_e32 v12, 0x800000, v36
	s_mov_b32 s41, exec_lo
	s_delay_alu instid0(VALU_DEP_2) | instskip(SKIP_1) | instid1(VALU_DEP_2)
	v_dual_mov_b32 v13, v37 :: v_dual_sub_nc_u32 v10, 0x71, v14
	v_cmp_gt_u32_e32 vcc_lo, 0x72, v14
	v_cndmask_b32_e32 v10, 0, v10, vcc_lo
	v_cmp_eq_u32_e32 vcc_lo, 0, v14
	s_delay_alu instid0(VALU_DEP_2) | instskip(NEXT) | instid1(VALU_DEP_1)
	v_cndmask_b32_e64 v15, v10, 0x70, vcc_lo
	v_dual_cndmask_b32 v12, v12, v36, vcc_lo :: v_dual_add_nc_u32 v10, 21, v15
	v_add_nc_u32_e32 v16, 20, v15
	s_delay_alu instid0(VALU_DEP_2) | instskip(NEXT) | instid1(VALU_DEP_2)
	v_lshlrev_b64_e64 v[10:11], v10, -1
	v_lshlrev_b64_e64 v[16:17], v16, 1
	s_delay_alu instid0(VALU_DEP_2) | instskip(NEXT) | instid1(VALU_DEP_3)
	v_bfi_b32 v21, v11, 0, 0
	v_bfi_b32 v20, v10, 0, v12
	v_lshrrev_b64 v[10:11], v15, v[12:13]
	s_delay_alu instid0(VALU_DEP_1) | instskip(NEXT) | instid1(VALU_DEP_3)
	v_mov_b64_e32 v[12:13], v[10:11]
	v_cmpx_eq_u64_e64 v[20:21], v[16:17]
; %bb.5911:                             ;   in Loop: Header=BB4_4959 Depth=2
	v_bfe_u32 v12, v10, 21, 1
	v_mov_b32_e32 v13, v37
	s_delay_alu instid0(VALU_DEP_1) | instskip(NEXT) | instid1(VALU_DEP_1)
	v_add_nc_u64_e32 v[12:13], v[10:11], v[12:13]
	v_add_nc_u64_e32 v[12:13], -1, v[12:13]
; %bb.5912:                             ;   in Loop: Header=BB4_4959 Depth=2
	s_or_b32 exec_lo, exec_lo, s41
	v_add_nc_u32_e32 v11, 0xffffff81, v14
	v_lshrrev_b32_e32 v13, 23, v10
	s_mov_b32 s7, exec_lo
	s_delay_alu instid0(VALU_DEP_2) | instskip(NEXT) | instid1(VALU_DEP_1)
	v_cndmask_b32_e64 v11, v11, 0xffffff82, vcc_lo
	v_add3_u32 v13, v15, v11, v13
	v_and_b32_e32 v11, 0x1fffff, v12
                                        ; implicit-def: $vgpr12
	s_delay_alu instid0(VALU_DEP_1) | instskip(NEXT) | instid1(VALU_DEP_1)
	v_dual_add_nc_u32 v14, 14, v13 :: v_dual_add_nc_u32 v36, v11, v10
                                        ; implicit-def: $vgpr10_vgpr11
	v_cmpx_ne_u32_e32 0, v14
	s_xor_b32 s7, exec_lo, s7
; %bb.5913:                             ;   in Loop: Header=BB4_4959 Depth=2
	s_delay_alu instid0(VALU_DEP_2) | instskip(SKIP_1) | instid1(VALU_DEP_1)
	v_cmp_lt_u64_e32 vcc_lo, 0xffffff, v[36:37]
	v_add_nc_u32_e32 v10, 15, v13
	v_cndmask_b32_e32 v12, v14, v10, vcc_lo
	v_cndmask_b32_e64 v10, 0, 1, vcc_lo
	s_delay_alu instid0(VALU_DEP_1)
	v_lshrrev_b64 v[10:11], v10, v[36:37]
; %bb.5914:                             ;   in Loop: Header=BB4_4959 Depth=2
	s_and_not1_saveexec_b32 s7, s7
; %bb.5915:                             ;   in Loop: Header=BB4_4959 Depth=2
	v_mov_b64_e32 v[10:11], v[36:37]
	v_bfe_u32 v12, v36, 23, 1
; %bb.5916:                             ;   in Loop: Header=BB4_4959 Depth=2
	s_or_b32 exec_lo, exec_lo, s7
	s_delay_alu instid0(VALU_DEP_2) | instskip(NEXT) | instid1(VALU_DEP_2)
	v_lshrrev_b64 v[10:11], 21, v[10:11]
	v_cmp_gt_i32_e32 vcc_lo, 32, v12
	v_min_i32_e32 v13, 31, v12
	v_cmp_eq_u32_e64 s7, 0, v12
	s_delay_alu instid0(VALU_DEP_2) | instskip(SKIP_1) | instid1(VALU_DEP_2)
	v_dual_cndmask_b32 v11, 0, v11, vcc_lo :: v_dual_lshlrev_b32 v13, 2, v13
	v_cndmask_b32_e32 v10, 3, v10, vcc_lo
	v_and_b32_e32 v13, 0xfc, v13
	s_delay_alu instid0(VALU_DEP_2) | instskip(NEXT) | instid1(VALU_DEP_2)
	v_cmp_eq_u64_e32 vcc_lo, 0, v[10:11]
	v_and_or_b32 v10, v10, 3, v13
	s_and_b32 s7, s7, vcc_lo
	s_delay_alu instid0(VALU_DEP_1) | instid1(SALU_CYCLE_1)
	v_cndmask_b32_e64 v10, v10, 0, s7
	s_delay_alu instid0(VALU_DEP_1)
	v_or_b32_e32 v114, v10, v2
.LBB4_5917:                             ;   in Loop: Header=BB4_4959 Depth=2
	s_or_b32 exec_lo, exec_lo, s40
                                        ; implicit-def: $vgpr2
.LBB4_5918:                             ;   in Loop: Header=BB4_4959 Depth=2
	s_and_not1_saveexec_b32 s7, s29
; %bb.5919:                             ;   in Loop: Header=BB4_4959 Depth=2
	v_or_b32_e32 v114, 0x7b, v2
; %bb.5920:                             ;   in Loop: Header=BB4_4959 Depth=2
	s_or_b32 exec_lo, exec_lo, s7
                                        ; implicit-def: $vgpr10
                                        ; implicit-def: $vgpr2
.LBB4_5921:                             ;   in Loop: Header=BB4_4959 Depth=2
	s_and_not1_saveexec_b32 s7, s28
	s_cbranch_execz .LBB4_5927
; %bb.5922:                             ;   in Loop: Header=BB4_4959 Depth=2
	s_mov_b32 s28, exec_lo
                                        ; implicit-def: $vgpr114
	v_cmpx_ne_u64_e32 0, v[36:37]
	s_xor_b32 s28, exec_lo, s28
; %bb.5923:                             ;   in Loop: Header=BB4_4959 Depth=2
	v_or_b32_e32 v114, 0x7f, v2
                                        ; implicit-def: $vgpr10
; %bb.5924:                             ;   in Loop: Header=BB4_4959 Depth=2
	s_and_not1_saveexec_b32 s28, s28
; %bb.5925:                             ;   in Loop: Header=BB4_4959 Depth=2
	v_cmp_lt_i32_e32 vcc_lo, -1, v10
	v_cndmask_b32_e32 v114, 0xfc, v110, vcc_lo
; %bb.5926:                             ;   in Loop: Header=BB4_4959 Depth=2
	s_or_b32 exec_lo, exec_lo, s28
.LBB4_5927:                             ;   in Loop: Header=BB4_4959 Depth=2
	s_delay_alu instid0(SALU_CYCLE_1)
	s_or_b32 exec_lo, exec_lo, s7
	s_clause 0x1
	global_load_b128 v[14:17], v[84:85], off th:TH_LOAD_NT
	global_load_b128 v[10:13], v[84:85], off offset:512 th:TH_LOAD_NT
	v_lshl_or_b32 v2, v30, 8, v0
	v_dual_lshlrev_b32 v20, 16, v86 :: v_dual_lshlrev_b32 v21, 24, v87
	v_dual_mov_b32 v30, 0 :: v_dual_mov_b32 v86, 0
	s_mov_b32 s7, exec_lo
	s_delay_alu instid0(VALU_DEP_2)
	v_or3_b32 v36, v20, v21, v2
	s_wait_xcnt 0x0
	v_cmpx_ne_u32_e32 0, v0
	s_cbranch_execz .LBB4_5937
; %bb.5928:                             ;   in Loop: Header=BB4_4959 Depth=2
	v_bfrev_b32_e32 v86, 1
	s_mov_b32 s28, exec_lo
	v_cmpx_ne_u32_e32 0x80, v0
	s_cbranch_execz .LBB4_5936
; %bb.5929:                             ;   in Loop: Header=BB4_4959 Depth=2
	v_and_b32_e32 v21, 0x7c, v0
	v_and_b32_e32 v20, 3, v0
	s_mov_b32 s29, exec_lo
                                        ; implicit-def: $vgpr86
	s_delay_alu instid0(VALU_DEP_2)
	v_cmpx_ne_u32_e32 0x7c, v21
	s_xor_b32 s29, exec_lo, s29
	s_cbranch_execz .LBB4_5933
; %bb.5930:                             ;   in Loop: Header=BB4_4959 Depth=2
	v_bfe_u32 v21, v0, 2, 5
	s_mov_b32 s40, exec_lo
	s_delay_alu instid0(VALU_DEP_1)
	v_cmpx_eq_u32_e32 0, v21
; %bb.5931:                             ;   in Loop: Header=BB4_4959 Depth=2
	v_clz_i32_u32_e32 v20, v20
	s_delay_alu instid0(VALU_DEP_1) | instskip(NEXT) | instid1(VALU_DEP_1)
	v_min_u32_e32 v24, 32, v20
	v_subrev_nc_u32_e32 v20, 29, v24
	s_delay_alu instid0(VALU_DEP_1) | instskip(SKIP_1) | instid1(VALU_DEP_2)
	v_lshlrev_b64_e32 v[20:21], v20, v[36:37]
	v_sub_nc_u32_e32 v21, 30, v24
	v_and_b32_e32 v20, 3, v20
; %bb.5932:                             ;   in Loop: Header=BB4_4959 Depth=2
	s_or_b32 exec_lo, exec_lo, s40
	v_lshlrev_b32_e32 v0, 24, v0
	s_delay_alu instid0(VALU_DEP_1) | instskip(NEXT) | instid1(VALU_DEP_1)
	v_and_b32_e32 v0, 0x80000000, v0
	v_lshl_add_u32 v0, v21, 23, v0
	s_delay_alu instid0(VALU_DEP_1) | instskip(NEXT) | instid1(VALU_DEP_1)
	v_lshl_or_b32 v0, v20, 21, v0
                                        ; implicit-def: $vgpr20
	v_add_nc_u32_e32 v86, 0x38000000, v0
                                        ; implicit-def: $vgpr0
.LBB4_5933:                             ;   in Loop: Header=BB4_4959 Depth=2
	s_and_not1_saveexec_b32 s29, s29
; %bb.5934:                             ;   in Loop: Header=BB4_4959 Depth=2
	v_and_b32_e32 v0, 0x80, v0
	s_delay_alu instid0(VALU_DEP_1) | instskip(SKIP_2) | instid1(VALU_DEP_2)
	v_cmp_eq_u32_e32 vcc_lo, 0, v0
	v_cndmask_b32_e32 v0, 0xff800000, v109, vcc_lo
	v_cmp_eq_u32_e32 vcc_lo, 0, v20
	v_cndmask_b32_e32 v86, 0x7f800001, v0, vcc_lo
; %bb.5935:                             ;   in Loop: Header=BB4_4959 Depth=2
	s_or_b32 exec_lo, exec_lo, s29
.LBB4_5936:                             ;   in Loop: Header=BB4_4959 Depth=2
	s_delay_alu instid0(SALU_CYCLE_1)
	s_or_b32 exec_lo, exec_lo, s28
.LBB4_5937:                             ;   in Loop: Header=BB4_4959 Depth=2
	s_delay_alu instid0(SALU_CYCLE_1) | instskip(SKIP_3) | instid1(VALU_DEP_1)
	s_or_b32 exec_lo, exec_lo, s7
	s_wait_loadcnt 0x1
	v_and_b32_e32 v0, 0xff, v14
	s_mov_b32 s7, exec_lo
	v_cmpx_ne_u16_e32 0, v0
	s_cbranch_execz .LBB4_5947
; %bb.5938:                             ;   in Loop: Header=BB4_4959 Depth=2
	v_bfe_i32 v20, v14, 0, 8
	v_bfrev_b32_e32 v30, 1
	s_mov_b32 s28, exec_lo
	s_delay_alu instid0(VALU_DEP_2)
	v_cmpx_ne_u16_e32 0xff80, v20
	s_cbranch_execz .LBB4_5946
; %bb.5939:                             ;   in Loop: Header=BB4_4959 Depth=2
	v_and_b32_e32 v21, 0x7c, v14
	v_and_b32_e32 v0, 3, v14
	s_mov_b32 s29, exec_lo
                                        ; implicit-def: $vgpr30
	s_delay_alu instid0(VALU_DEP_2)
	v_cmpx_ne_u32_e32 0x7c, v21
	s_xor_b32 s29, exec_lo, s29
	s_cbranch_execz .LBB4_5943
; %bb.5940:                             ;   in Loop: Header=BB4_4959 Depth=2
	v_bfe_u32 v20, v14, 2, 5
	s_mov_b32 s40, exec_lo
	s_delay_alu instid0(VALU_DEP_1)
	v_cmpx_eq_u32_e32 0, v20
; %bb.5941:                             ;   in Loop: Header=BB4_4959 Depth=2
	v_clz_i32_u32_e32 v0, v0
	s_delay_alu instid0(VALU_DEP_1) | instskip(NEXT) | instid1(VALU_DEP_1)
	v_min_u32_e32 v0, 32, v0
	v_subrev_nc_u32_e32 v20, 29, v0
	s_delay_alu instid0(VALU_DEP_1) | instskip(SKIP_1) | instid1(VALU_DEP_2)
	v_lshlrev_b64_e32 v[24:25], v20, v[14:15]
	v_sub_nc_u32_e32 v20, 30, v0
	v_and_b32_e32 v0, 3, v24
; %bb.5942:                             ;   in Loop: Header=BB4_4959 Depth=2
	s_or_b32 exec_lo, exec_lo, s40
	v_lshlrev_b32_e32 v21, 24, v14
	s_delay_alu instid0(VALU_DEP_1) | instskip(NEXT) | instid1(VALU_DEP_1)
	v_and_b32_e32 v21, 0x80000000, v21
	v_lshl_add_u32 v20, v20, 23, v21
	s_delay_alu instid0(VALU_DEP_1) | instskip(NEXT) | instid1(VALU_DEP_1)
	v_lshl_or_b32 v0, v0, 21, v20
                                        ; implicit-def: $vgpr20
	v_add_nc_u32_e32 v30, 0x38000000, v0
                                        ; implicit-def: $vgpr0
.LBB4_5943:                             ;   in Loop: Header=BB4_4959 Depth=2
	s_and_not1_saveexec_b32 s29, s29
; %bb.5944:                             ;   in Loop: Header=BB4_4959 Depth=2
	v_cmp_lt_i16_e32 vcc_lo, -1, v20
	v_cndmask_b32_e32 v20, 0xff800000, v109, vcc_lo
	v_cmp_eq_u32_e32 vcc_lo, 0, v0
	s_delay_alu instid0(VALU_DEP_2)
	v_cndmask_b32_e32 v30, 0x7f800001, v20, vcc_lo
; %bb.5945:                             ;   in Loop: Header=BB4_4959 Depth=2
	s_or_b32 exec_lo, exec_lo, s29
.LBB4_5946:                             ;   in Loop: Header=BB4_4959 Depth=2
	s_delay_alu instid0(SALU_CYCLE_1)
	s_or_b32 exec_lo, exec_lo, s28
.LBB4_5947:                             ;   in Loop: Header=BB4_4959 Depth=2
	s_delay_alu instid0(SALU_CYCLE_1) | instskip(NEXT) | instid1(VALU_DEP_1)
	s_or_b32 exec_lo, exec_lo, s7
	v_dual_add_f32 v30, v86, v30 :: v_dual_mov_b32 v21, v37
	v_mov_b32_e32 v87, v37
                                        ; implicit-def: $vgpr99
	s_mov_b32 s7, exec_lo
	s_delay_alu instid0(VALU_DEP_2) | instskip(SKIP_2) | instid1(VALU_DEP_3)
	v_and_b32_e32 v20, 0x7f800000, v30
	v_and_b32_e32 v86, 0x7fffff, v30
	v_lshrrev_b32_e32 v0, 24, v30
	v_cmpx_ne_u64_e32 0x7f800000, v[20:21]
	s_xor_b32 s28, exec_lo, s7
	s_cbranch_execz .LBB4_5961
; %bb.5948:                             ;   in Loop: Header=BB4_4959 Depth=2
	v_and_b32_e32 v20, 0x7fffffff, v30
	v_mov_b32_e32 v21, v37
	v_and_b32_e32 v0, 0x80, v0
                                        ; implicit-def: $vgpr99
	s_mov_b32 s7, exec_lo
	s_delay_alu instid0(VALU_DEP_2)
	v_cmpx_gt_u64_e32 0x47600001, v[20:21]
	s_xor_b32 s29, exec_lo, s7
	s_cbranch_execz .LBB4_5958
; %bb.5949:                             ;   in Loop: Header=BB4_4959 Depth=2
	v_mov_b32_e32 v99, 0
	s_mov_b32 s40, exec_lo
	v_cmpx_ne_u32_e32 0, v30
	s_cbranch_execz .LBB4_5957
; %bb.5950:                             ;   in Loop: Header=BB4_4959 Depth=2
	v_bfe_u32 v20, v30, 23, 8
	v_or_b32_e32 v30, 0x800000, v86
	s_mov_b32 s41, exec_lo
	s_delay_alu instid0(VALU_DEP_2) | instskip(SKIP_1) | instid1(VALU_DEP_2)
	v_sub_nc_u32_e32 v21, 0x71, v20
	v_cmp_gt_u32_e32 vcc_lo, 0x72, v20
	v_cndmask_b32_e32 v21, 0, v21, vcc_lo
	v_cmp_eq_u32_e32 vcc_lo, 0, v20
	s_delay_alu instid0(VALU_DEP_2) | instskip(NEXT) | instid1(VALU_DEP_1)
	v_cndmask_b32_e64 v21, v21, 0x70, vcc_lo
	v_dual_cndmask_b32 v86, v30, v86, vcc_lo :: v_dual_add_nc_u32 v24, 21, v21
	v_add_nc_u32_e32 v31, 20, v21
	s_delay_alu instid0(VALU_DEP_2) | instskip(NEXT) | instid1(VALU_DEP_2)
	v_lshlrev_b64_e64 v[24:25], v24, -1
	v_lshlrev_b64_e64 v[30:31], v31, 1
	s_delay_alu instid0(VALU_DEP_2) | instskip(SKIP_1) | instid1(VALU_DEP_4)
	v_bfi_b32 v24, v24, 0, v86
	v_lshrrev_b64 v[86:87], v21, v[86:87]
	v_bfi_b32 v25, v25, 0, 0
	s_delay_alu instid0(VALU_DEP_2) | instskip(NEXT) | instid1(VALU_DEP_2)
	v_mov_b64_e32 v[96:97], v[86:87]
	v_cmpx_eq_u64_e64 v[24:25], v[30:31]
; %bb.5951:                             ;   in Loop: Header=BB4_4959 Depth=2
	v_bfe_u32 v24, v86, 21, 1
	v_mov_b32_e32 v25, v37
	s_delay_alu instid0(VALU_DEP_1) | instskip(NEXT) | instid1(VALU_DEP_1)
	v_add_nc_u64_e32 v[24:25], v[86:87], v[24:25]
	v_add_nc_u64_e32 v[96:97], -1, v[24:25]
; %bb.5952:                             ;   in Loop: Header=BB4_4959 Depth=2
	s_or_b32 exec_lo, exec_lo, s41
	v_dual_mov_b32 v87, v37 :: v_dual_add_nc_u32 v20, 0xffffff81, v20
	v_lshrrev_b32_e32 v24, 23, v86
	s_mov_b32 s7, exec_lo
	s_delay_alu instid0(VALU_DEP_2) | instskip(NEXT) | instid1(VALU_DEP_1)
	v_cndmask_b32_e64 v20, v20, 0xffffff82, vcc_lo
	v_add3_u32 v21, v21, v20, v24
	v_and_b32_e32 v20, 0x1fffff, v96
	s_delay_alu instid0(VALU_DEP_1) | instskip(NEXT) | instid1(VALU_DEP_1)
	v_dual_add_nc_u32 v30, 14, v21 :: v_dual_add_nc_u32 v86, v20, v86
                                        ; implicit-def: $vgpr20
	v_cmpx_ne_u32_e32 0, v30
	s_xor_b32 s7, exec_lo, s7
; %bb.5953:                             ;   in Loop: Header=BB4_4959 Depth=2
	s_delay_alu instid0(VALU_DEP_2) | instskip(SKIP_2) | instid1(VALU_DEP_2)
	v_cmp_lt_u64_e32 vcc_lo, 0xffffff, v[86:87]
	v_add_nc_u32_e32 v20, 15, v21
	v_cndmask_b32_e64 v21, 0, 1, vcc_lo
	v_cndmask_b32_e32 v20, v30, v20, vcc_lo
	s_delay_alu instid0(VALU_DEP_2)
	v_lshrrev_b64 v[86:87], v21, v[86:87]
; %bb.5954:                             ;   in Loop: Header=BB4_4959 Depth=2
	s_and_not1_saveexec_b32 s7, s7
; %bb.5955:                             ;   in Loop: Header=BB4_4959 Depth=2
	s_delay_alu instid0(VALU_DEP_1)
	v_bfe_u32 v20, v86, 23, 1
; %bb.5956:                             ;   in Loop: Header=BB4_4959 Depth=2
	s_or_b32 exec_lo, exec_lo, s7
	s_delay_alu instid0(VALU_DEP_2) | instskip(NEXT) | instid1(VALU_DEP_2)
	v_lshrrev_b64 v[24:25], 21, v[86:87]
	v_cmp_gt_i32_e32 vcc_lo, 32, v20
	v_min_i32_e32 v21, 31, v20
	v_cmp_eq_u32_e64 s7, 0, v20
	s_delay_alu instid0(VALU_DEP_4) | instskip(NEXT) | instid1(VALU_DEP_3)
	v_cndmask_b32_e32 v25, 0, v25, vcc_lo
	v_dual_cndmask_b32 v24, 3, v24 :: v_dual_lshlrev_b32 v21, 2, v21
	s_delay_alu instid0(VALU_DEP_1) | instskip(NEXT) | instid1(VALU_DEP_2)
	v_and_b32_e32 v21, 0xfc, v21
	v_cmp_eq_u64_e32 vcc_lo, 0, v[24:25]
	s_delay_alu instid0(VALU_DEP_2)
	v_and_or_b32 v20, v24, 3, v21
	s_and_b32 s7, s7, vcc_lo
	s_delay_alu instid0(VALU_DEP_1) | instid1(SALU_CYCLE_1)
	v_cndmask_b32_e64 v20, v20, 0, s7
	s_delay_alu instid0(VALU_DEP_1)
	v_or_b32_e32 v99, v20, v0
.LBB4_5957:                             ;   in Loop: Header=BB4_4959 Depth=2
	s_or_b32 exec_lo, exec_lo, s40
                                        ; implicit-def: $vgpr0
.LBB4_5958:                             ;   in Loop: Header=BB4_4959 Depth=2
	s_and_not1_saveexec_b32 s7, s29
; %bb.5959:                             ;   in Loop: Header=BB4_4959 Depth=2
	v_or_b32_e32 v99, 0x7b, v0
; %bb.5960:                             ;   in Loop: Header=BB4_4959 Depth=2
	s_or_b32 exec_lo, exec_lo, s7
                                        ; implicit-def: $vgpr30
                                        ; implicit-def: $vgpr86_vgpr87
                                        ; implicit-def: $vgpr0
.LBB4_5961:                             ;   in Loop: Header=BB4_4959 Depth=2
	s_and_not1_saveexec_b32 s7, s28
	s_cbranch_execz .LBB4_5967
; %bb.5962:                             ;   in Loop: Header=BB4_4959 Depth=2
	s_mov_b32 s28, exec_lo
                                        ; implicit-def: $vgpr99
	v_cmpx_ne_u64_e32 0, v[86:87]
	s_xor_b32 s28, exec_lo, s28
; %bb.5963:                             ;   in Loop: Header=BB4_4959 Depth=2
	v_or_b32_e32 v99, 0x7f, v0
                                        ; implicit-def: $vgpr30
; %bb.5964:                             ;   in Loop: Header=BB4_4959 Depth=2
	s_and_not1_saveexec_b32 s28, s28
; %bb.5965:                             ;   in Loop: Header=BB4_4959 Depth=2
	v_cmp_lt_i32_e32 vcc_lo, -1, v30
	v_cndmask_b32_e32 v99, 0xfc, v110, vcc_lo
; %bb.5966:                             ;   in Loop: Header=BB4_4959 Depth=2
	s_or_b32 exec_lo, exec_lo, s28
.LBB4_5967:                             ;   in Loop: Header=BB4_4959 Depth=2
	s_delay_alu instid0(SALU_CYCLE_1) | instskip(SKIP_3) | instid1(VALU_DEP_2)
	s_or_b32 exec_lo, exec_lo, s7
	v_lshrrev_b16 v86, 8, v2
	v_dual_mov_b32 v0, 0 :: v_dual_mov_b32 v30, 0
	s_mov_b32 s7, exec_lo
	v_cmpx_ne_u16_e32 0, v86
	s_cbranch_execz .LBB4_5977
; %bb.5968:                             ;   in Loop: Header=BB4_4959 Depth=2
	v_bfrev_b32_e32 v30, 1
	s_mov_b32 s28, exec_lo
	v_cmpx_ne_u16_e32 0x80, v86
	s_cbranch_execz .LBB4_5976
; %bb.5969:                             ;   in Loop: Header=BB4_4959 Depth=2
	v_and_b32_e32 v21, 0xffff, v86
	s_mov_b32 s29, exec_lo
                                        ; implicit-def: $vgpr30
	s_delay_alu instid0(VALU_DEP_1) | instskip(SKIP_1) | instid1(VALU_DEP_2)
	v_and_b32_e32 v24, 0x7c, v21
	v_and_b32_e32 v20, 3, v21
	v_cmpx_ne_u32_e32 0x7c, v24
	s_xor_b32 s29, exec_lo, s29
	s_cbranch_execz .LBB4_5973
; %bb.5970:                             ;   in Loop: Header=BB4_4959 Depth=2
	v_bfe_u32 v21, v21, 2, 5
	s_mov_b32 s40, exec_lo
	s_delay_alu instid0(VALU_DEP_1)
	v_cmpx_eq_u32_e32 0, v21
	s_cbranch_execz .LBB4_5972
; %bb.5971:                             ;   in Loop: Header=BB4_4959 Depth=2
	v_clz_i32_u32_e32 v20, v20
	s_delay_alu instid0(VALU_DEP_1) | instskip(SKIP_1) | instid1(VALU_DEP_2)
	v_min_u32_e32 v24, 32, v20
	v_mov_b32_e32 v87, v37
	v_subrev_nc_u32_e32 v20, 29, v24
	s_delay_alu instid0(VALU_DEP_1) | instskip(SKIP_1) | instid1(VALU_DEP_2)
	v_lshlrev_b64_e32 v[20:21], v20, v[86:87]
	v_sub_nc_u32_e32 v21, 30, v24
	v_and_b32_e32 v20, 3, v20
.LBB4_5972:                             ;   in Loop: Header=BB4_4959 Depth=2
	s_or_b32 exec_lo, exec_lo, s40
	v_lshlrev_b32_e32 v2, 16, v2
	s_delay_alu instid0(VALU_DEP_1) | instskip(NEXT) | instid1(VALU_DEP_1)
	v_and_b32_e32 v2, 0x80000000, v2
	v_lshl_add_u32 v2, v21, 23, v2
	s_delay_alu instid0(VALU_DEP_1) | instskip(NEXT) | instid1(VALU_DEP_1)
	v_lshl_or_b32 v2, v20, 21, v2
                                        ; implicit-def: $vgpr20
	v_add_nc_u32_e32 v30, 0x38000000, v2
                                        ; implicit-def: $vgpr2
.LBB4_5973:                             ;   in Loop: Header=BB4_4959 Depth=2
	s_and_not1_saveexec_b32 s29, s29
; %bb.5974:                             ;   in Loop: Header=BB4_4959 Depth=2
	v_cmp_lt_i16_e32 vcc_lo, -1, v2
	v_cndmask_b32_e32 v2, 0xff800000, v109, vcc_lo
	v_cmp_eq_u32_e32 vcc_lo, 0, v20
	s_delay_alu instid0(VALU_DEP_2)
	v_cndmask_b32_e32 v30, 0x7f800001, v2, vcc_lo
; %bb.5975:                             ;   in Loop: Header=BB4_4959 Depth=2
	s_or_b32 exec_lo, exec_lo, s29
.LBB4_5976:                             ;   in Loop: Header=BB4_4959 Depth=2
	s_delay_alu instid0(SALU_CYCLE_1)
	s_or_b32 exec_lo, exec_lo, s28
.LBB4_5977:                             ;   in Loop: Header=BB4_4959 Depth=2
	s_delay_alu instid0(SALU_CYCLE_1) | instskip(SKIP_2) | instid1(VALU_DEP_1)
	s_or_b32 exec_lo, exec_lo, s7
	v_lshrrev_b16 v86, 8, v14
	s_mov_b32 s7, exec_lo
	v_cmpx_ne_u16_e32 0, v86
	s_cbranch_execz .LBB4_5987
; %bb.5978:                             ;   in Loop: Header=BB4_4959 Depth=2
	v_bfrev_b32_e32 v0, 1
	s_mov_b32 s28, exec_lo
	v_cmpx_ne_u16_e32 0x80, v86
	s_cbranch_execz .LBB4_5986
; %bb.5979:                             ;   in Loop: Header=BB4_4959 Depth=2
	v_and_b32_e32 v20, 0xffff, v86
	s_delay_alu instid0(VALU_DEP_1) | instskip(SKIP_1) | instid1(VALU_DEP_2)
	v_and_b32_e32 v0, 0x7c, v20
	v_and_b32_e32 v2, 3, v20
	v_cmp_ne_u32_e32 vcc_lo, 0x7c, v0
                                        ; implicit-def: $vgpr0
	s_and_saveexec_b32 s29, vcc_lo
	s_delay_alu instid0(SALU_CYCLE_1)
	s_xor_b32 s29, exec_lo, s29
	s_cbranch_execz .LBB4_5983
; %bb.5980:                             ;   in Loop: Header=BB4_4959 Depth=2
	v_bfe_u32 v0, v20, 2, 5
	s_mov_b32 s40, exec_lo
	s_delay_alu instid0(VALU_DEP_1)
	v_cmpx_eq_u32_e32 0, v0
	s_cbranch_execz .LBB4_5982
; %bb.5981:                             ;   in Loop: Header=BB4_4959 Depth=2
	v_clz_i32_u32_e32 v0, v2
	s_delay_alu instid0(VALU_DEP_1) | instskip(SKIP_1) | instid1(VALU_DEP_2)
	v_min_u32_e32 v0, 32, v0
	v_mov_b32_e32 v87, v37
	v_subrev_nc_u32_e32 v2, 29, v0
	v_sub_nc_u32_e32 v0, 30, v0
	s_delay_alu instid0(VALU_DEP_2) | instskip(NEXT) | instid1(VALU_DEP_1)
	v_lshlrev_b64_e32 v[20:21], v2, v[86:87]
	v_and_b32_e32 v2, 3, v20
.LBB4_5982:                             ;   in Loop: Header=BB4_4959 Depth=2
	s_or_b32 exec_lo, exec_lo, s40
	v_lshlrev_b32_e32 v20, 16, v14
	s_delay_alu instid0(VALU_DEP_1) | instskip(NEXT) | instid1(VALU_DEP_1)
	v_and_b32_e32 v20, 0x80000000, v20
	v_lshl_add_u32 v0, v0, 23, v20
	s_delay_alu instid0(VALU_DEP_1) | instskip(NEXT) | instid1(VALU_DEP_1)
	v_lshl_or_b32 v0, v2, 21, v0
                                        ; implicit-def: $vgpr2
	v_add_nc_u32_e32 v0, 0x38000000, v0
.LBB4_5983:                             ;   in Loop: Header=BB4_4959 Depth=2
	s_and_not1_saveexec_b32 s29, s29
; %bb.5984:                             ;   in Loop: Header=BB4_4959 Depth=2
	v_cmp_lt_i16_e32 vcc_lo, -1, v14
	v_cndmask_b32_e32 v0, 0xff800000, v109, vcc_lo
	v_cmp_eq_u32_e32 vcc_lo, 0, v2
	s_delay_alu instid0(VALU_DEP_2)
	v_cndmask_b32_e32 v0, 0x7f800001, v0, vcc_lo
; %bb.5985:                             ;   in Loop: Header=BB4_4959 Depth=2
	s_or_b32 exec_lo, exec_lo, s29
.LBB4_5986:                             ;   in Loop: Header=BB4_4959 Depth=2
	s_delay_alu instid0(SALU_CYCLE_1)
	s_or_b32 exec_lo, exec_lo, s28
.LBB4_5987:                             ;   in Loop: Header=BB4_4959 Depth=2
	s_delay_alu instid0(SALU_CYCLE_1) | instskip(NEXT) | instid1(VALU_DEP_1)
	s_or_b32 exec_lo, exec_lo, s7
	v_dual_add_f32 v30, v30, v0 :: v_dual_mov_b32 v21, v37
	v_mov_b32_e32 v87, v37
                                        ; implicit-def: $vgpr0
	s_mov_b32 s7, exec_lo
	s_delay_alu instid0(VALU_DEP_2) | instskip(SKIP_2) | instid1(VALU_DEP_3)
	v_and_b32_e32 v20, 0x7f800000, v30
	v_and_b32_e32 v86, 0x7fffff, v30
	v_lshrrev_b32_e32 v2, 24, v30
	v_cmpx_ne_u64_e32 0x7f800000, v[20:21]
	s_xor_b32 s28, exec_lo, s7
	s_cbranch_execz .LBB4_6001
; %bb.5988:                             ;   in Loop: Header=BB4_4959 Depth=2
	v_and_b32_e32 v20, 0x7fffffff, v30
	v_mov_b32_e32 v21, v37
	v_and_b32_e32 v2, 0x80, v2
                                        ; implicit-def: $vgpr0
	s_mov_b32 s7, exec_lo
	s_delay_alu instid0(VALU_DEP_2)
	v_cmpx_gt_u64_e32 0x47600001, v[20:21]
	s_xor_b32 s29, exec_lo, s7
	s_cbranch_execz .LBB4_5998
; %bb.5989:                             ;   in Loop: Header=BB4_4959 Depth=2
	v_mov_b32_e32 v0, 0
	s_mov_b32 s40, exec_lo
	v_cmpx_ne_u32_e32 0, v30
	s_cbranch_execz .LBB4_5997
; %bb.5990:                             ;   in Loop: Header=BB4_4959 Depth=2
	v_bfe_u32 v0, v30, 23, 8
	v_or_b32_e32 v30, 0x800000, v86
	s_mov_b32 s41, exec_lo
	s_delay_alu instid0(VALU_DEP_2) | instskip(SKIP_1) | instid1(VALU_DEP_2)
	v_sub_nc_u32_e32 v20, 0x71, v0
	v_cmp_gt_u32_e32 vcc_lo, 0x72, v0
	v_cndmask_b32_e32 v20, 0, v20, vcc_lo
	v_cmp_eq_u32_e32 vcc_lo, 0, v0
	v_cndmask_b32_e32 v86, v30, v86, vcc_lo
	s_delay_alu instid0(VALU_DEP_3) | instskip(NEXT) | instid1(VALU_DEP_1)
	v_cndmask_b32_e64 v20, v20, 0x70, vcc_lo
	v_add_nc_u32_e32 v21, 21, v20
	s_delay_alu instid0(VALU_DEP_1) | instskip(SKIP_1) | instid1(VALU_DEP_1)
	v_lshlrev_b64_e64 v[24:25], v21, -1
	v_add_nc_u32_e32 v21, 20, v20
	v_lshlrev_b64_e64 v[30:31], v21, 1
	s_delay_alu instid0(VALU_DEP_3) | instskip(SKIP_2) | instid1(VALU_DEP_2)
	v_bfi_b32 v24, v24, 0, v86
	v_lshrrev_b64 v[86:87], v20, v[86:87]
	v_bfi_b32 v25, v25, 0, 0
	v_mov_b64_e32 v[96:97], v[86:87]
	s_delay_alu instid0(VALU_DEP_2)
	v_cmpx_eq_u64_e64 v[24:25], v[30:31]
; %bb.5991:                             ;   in Loop: Header=BB4_4959 Depth=2
	v_bfe_u32 v24, v86, 21, 1
	v_mov_b32_e32 v25, v37
	s_delay_alu instid0(VALU_DEP_1) | instskip(NEXT) | instid1(VALU_DEP_1)
	v_add_nc_u64_e32 v[24:25], v[86:87], v[24:25]
	v_add_nc_u64_e32 v[96:97], -1, v[24:25]
; %bb.5992:                             ;   in Loop: Header=BB4_4959 Depth=2
	s_or_b32 exec_lo, exec_lo, s41
	v_dual_mov_b32 v87, v37 :: v_dual_add_nc_u32 v0, 0xffffff81, v0
	v_lshrrev_b32_e32 v21, 23, v86
	s_mov_b32 s7, exec_lo
	s_delay_alu instid0(VALU_DEP_2) | instskip(NEXT) | instid1(VALU_DEP_1)
	v_cndmask_b32_e64 v0, v0, 0xffffff82, vcc_lo
	v_add3_u32 v20, v20, v0, v21
	v_and_b32_e32 v0, 0x1fffff, v96
	s_delay_alu instid0(VALU_DEP_1) | instskip(NEXT) | instid1(VALU_DEP_1)
	v_dual_add_nc_u32 v21, 14, v20 :: v_dual_add_nc_u32 v86, v0, v86
                                        ; implicit-def: $vgpr0
	v_cmpx_ne_u32_e32 0, v21
	s_xor_b32 s7, exec_lo, s7
; %bb.5993:                             ;   in Loop: Header=BB4_4959 Depth=2
	s_delay_alu instid0(VALU_DEP_2) | instskip(SKIP_2) | instid1(VALU_DEP_2)
	v_cmp_lt_u64_e32 vcc_lo, 0xffffff, v[86:87]
	v_add_nc_u32_e32 v0, 15, v20
	v_cndmask_b32_e64 v20, 0, 1, vcc_lo
	v_cndmask_b32_e32 v0, v21, v0, vcc_lo
	s_delay_alu instid0(VALU_DEP_2)
	v_lshrrev_b64 v[86:87], v20, v[86:87]
; %bb.5994:                             ;   in Loop: Header=BB4_4959 Depth=2
	s_and_not1_saveexec_b32 s7, s7
; %bb.5995:                             ;   in Loop: Header=BB4_4959 Depth=2
	s_delay_alu instid0(VALU_DEP_1)
	v_bfe_u32 v0, v86, 23, 1
; %bb.5996:                             ;   in Loop: Header=BB4_4959 Depth=2
	s_or_b32 exec_lo, exec_lo, s7
	s_delay_alu instid0(VALU_DEP_2) | instskip(NEXT) | instid1(VALU_DEP_2)
	v_lshrrev_b64 v[20:21], 21, v[86:87]
	v_cmp_gt_i32_e32 vcc_lo, 32, v0
	v_min_i32_e32 v24, 31, v0
	v_cmp_eq_u32_e64 s7, 0, v0
	s_delay_alu instid0(VALU_DEP_2) | instskip(SKIP_1) | instid1(VALU_DEP_2)
	v_dual_cndmask_b32 v21, 0, v21 :: v_dual_lshlrev_b32 v24, 2, v24
	v_cndmask_b32_e32 v20, 3, v20, vcc_lo
	v_and_b32_e32 v24, 0xfc, v24
	s_delay_alu instid0(VALU_DEP_2) | instskip(NEXT) | instid1(VALU_DEP_2)
	v_cmp_eq_u64_e32 vcc_lo, 0, v[20:21]
	v_and_or_b32 v0, v20, 3, v24
	s_and_b32 s7, s7, vcc_lo
	s_delay_alu instid0(VALU_DEP_1) | instid1(SALU_CYCLE_1)
	v_cndmask_b32_e64 v0, v0, 0, s7
	s_delay_alu instid0(VALU_DEP_1)
	v_or_b32_e32 v0, v0, v2
.LBB4_5997:                             ;   in Loop: Header=BB4_4959 Depth=2
	s_or_b32 exec_lo, exec_lo, s40
                                        ; implicit-def: $vgpr2
.LBB4_5998:                             ;   in Loop: Header=BB4_4959 Depth=2
	s_and_not1_saveexec_b32 s7, s29
; %bb.5999:                             ;   in Loop: Header=BB4_4959 Depth=2
	v_or_b32_e32 v0, 0x7b, v2
; %bb.6000:                             ;   in Loop: Header=BB4_4959 Depth=2
	s_or_b32 exec_lo, exec_lo, s7
                                        ; implicit-def: $vgpr30
                                        ; implicit-def: $vgpr86_vgpr87
                                        ; implicit-def: $vgpr2
.LBB4_6001:                             ;   in Loop: Header=BB4_4959 Depth=2
	s_and_not1_saveexec_b32 s7, s28
	s_cbranch_execz .LBB4_6007
; %bb.6002:                             ;   in Loop: Header=BB4_4959 Depth=2
	s_mov_b32 s28, exec_lo
                                        ; implicit-def: $vgpr0
	v_cmpx_ne_u64_e32 0, v[86:87]
	s_xor_b32 s28, exec_lo, s28
; %bb.6003:                             ;   in Loop: Header=BB4_4959 Depth=2
	v_or_b32_e32 v0, 0x7f, v2
                                        ; implicit-def: $vgpr30
; %bb.6004:                             ;   in Loop: Header=BB4_4959 Depth=2
	s_and_not1_saveexec_b32 s28, s28
; %bb.6005:                             ;   in Loop: Header=BB4_4959 Depth=2
	v_cmp_lt_i32_e32 vcc_lo, -1, v30
	v_cndmask_b32_e32 v0, 0xfc, v110, vcc_lo
; %bb.6006:                             ;   in Loop: Header=BB4_4959 Depth=2
	s_or_b32 exec_lo, exec_lo, s28
.LBB4_6007:                             ;   in Loop: Header=BB4_4959 Depth=2
	s_delay_alu instid0(SALU_CYCLE_1) | instskip(SKIP_3) | instid1(VALU_DEP_2)
	s_or_b32 exec_lo, exec_lo, s7
	v_dual_lshrrev_b32 v30, 16, v36 :: v_dual_mov_b32 v2, 0
	v_mov_b32_e32 v86, 0
	s_mov_b32 s7, exec_lo
	v_and_b32_e32 v20, 0xff, v30
	s_delay_alu instid0(VALU_DEP_1)
	v_cmpx_ne_u16_e32 0, v20
	s_cbranch_execz .LBB4_6017
; %bb.6008:                             ;   in Loop: Header=BB4_4959 Depth=2
	v_bfrev_b32_e32 v86, 1
	s_mov_b32 s28, exec_lo
	v_cmpx_ne_u16_e32 0x80, v20
	s_cbranch_execz .LBB4_6016
; %bb.6009:                             ;   in Loop: Header=BB4_4959 Depth=2
	v_and_b32_e32 v21, 0x7c0000, v36
	v_bfe_u32 v20, v36, 16, 2
	s_mov_b32 s29, exec_lo
                                        ; implicit-def: $vgpr86
	s_delay_alu instid0(VALU_DEP_2)
	v_cmpx_ne_u32_e32 0x7c0000, v21
	s_xor_b32 s29, exec_lo, s29
	s_cbranch_execz .LBB4_6013
; %bb.6010:                             ;   in Loop: Header=BB4_4959 Depth=2
	v_bfe_u32 v21, v36, 18, 5
	s_mov_b32 s40, exec_lo
	s_delay_alu instid0(VALU_DEP_1)
	v_cmpx_eq_u32_e32 0, v21
; %bb.6011:                             ;   in Loop: Header=BB4_4959 Depth=2
	v_clz_i32_u32_e32 v20, v20
	s_delay_alu instid0(VALU_DEP_1) | instskip(NEXT) | instid1(VALU_DEP_1)
	v_min_u32_e32 v24, 32, v20
	v_subrev_nc_u32_e32 v20, 29, v24
	s_delay_alu instid0(VALU_DEP_1) | instskip(SKIP_1) | instid1(VALU_DEP_2)
	v_lshlrev_b64_e32 v[20:21], v20, v[30:31]
	v_sub_nc_u32_e32 v21, 30, v24
	v_and_b32_e32 v20, 3, v20
; %bb.6012:                             ;   in Loop: Header=BB4_4959 Depth=2
	s_or_b32 exec_lo, exec_lo, s40
	v_lshlrev_b32_e32 v24, 24, v30
                                        ; implicit-def: $vgpr30
	s_delay_alu instid0(VALU_DEP_1) | instskip(NEXT) | instid1(VALU_DEP_1)
	v_and_b32_e32 v24, 0x80000000, v24
	v_lshl_add_u32 v21, v21, 23, v24
	s_delay_alu instid0(VALU_DEP_1) | instskip(NEXT) | instid1(VALU_DEP_1)
	v_lshl_or_b32 v20, v20, 21, v21
	v_add_nc_u32_e32 v86, 0x38000000, v20
                                        ; implicit-def: $vgpr20
.LBB4_6013:                             ;   in Loop: Header=BB4_4959 Depth=2
	s_and_not1_saveexec_b32 s29, s29
; %bb.6014:                             ;   in Loop: Header=BB4_4959 Depth=2
	v_bfe_i32 v21, v30, 0, 8
	s_delay_alu instid0(VALU_DEP_1) | instskip(SKIP_2) | instid1(VALU_DEP_2)
	v_cmp_lt_i16_e32 vcc_lo, -1, v21
	v_cndmask_b32_e32 v21, 0xff800000, v109, vcc_lo
	v_cmp_eq_u32_e32 vcc_lo, 0, v20
	v_cndmask_b32_e32 v86, 0x7f800001, v21, vcc_lo
; %bb.6015:                             ;   in Loop: Header=BB4_4959 Depth=2
	s_or_b32 exec_lo, exec_lo, s29
.LBB4_6016:                             ;   in Loop: Header=BB4_4959 Depth=2
	s_delay_alu instid0(SALU_CYCLE_1)
	s_or_b32 exec_lo, exec_lo, s28
.LBB4_6017:                             ;   in Loop: Header=BB4_4959 Depth=2
	s_delay_alu instid0(SALU_CYCLE_1) | instskip(SKIP_2) | instid1(VALU_DEP_1)
	s_or_b32 exec_lo, exec_lo, s7
	v_lshrrev_b32_e32 v30, 16, v14
	s_mov_b32 s7, exec_lo
	v_and_b32_e32 v20, 0xff, v30
	s_delay_alu instid0(VALU_DEP_1)
	v_cmpx_ne_u16_e32 0, v20
	s_cbranch_execz .LBB4_6027
; %bb.6018:                             ;   in Loop: Header=BB4_4959 Depth=2
	v_bfrev_b32_e32 v2, 1
	s_mov_b32 s28, exec_lo
	v_cmpx_ne_u16_e32 0x80, v20
	s_cbranch_execz .LBB4_6026
; %bb.6019:                             ;   in Loop: Header=BB4_4959 Depth=2
	v_and_b32_e32 v2, 0x7c0000, v14
	v_bfe_u32 v20, v14, 16, 2
	s_delay_alu instid0(VALU_DEP_2) | instskip(SKIP_1) | instid1(SALU_CYCLE_1)
	v_cmp_ne_u32_e32 vcc_lo, 0x7c0000, v2
                                        ; implicit-def: $vgpr2
	s_and_saveexec_b32 s29, vcc_lo
	s_xor_b32 s29, exec_lo, s29
	s_cbranch_execz .LBB4_6023
; %bb.6020:                             ;   in Loop: Header=BB4_4959 Depth=2
	v_bfe_u32 v2, v14, 18, 5
	s_mov_b32 s40, exec_lo
	s_delay_alu instid0(VALU_DEP_1)
	v_cmpx_eq_u32_e32 0, v2
; %bb.6021:                             ;   in Loop: Header=BB4_4959 Depth=2
	v_clz_i32_u32_e32 v2, v20
	s_delay_alu instid0(VALU_DEP_1) | instskip(NEXT) | instid1(VALU_DEP_1)
	v_min_u32_e32 v2, 32, v2
	v_subrev_nc_u32_e32 v20, 29, v2
	s_delay_alu instid0(VALU_DEP_1) | instskip(NEXT) | instid1(VALU_DEP_1)
	v_lshlrev_b64_e32 v[20:21], v20, v[30:31]
	v_dual_sub_nc_u32 v2, 30, v2 :: v_dual_bitop2_b32 v20, 3, v20 bitop3:0x40
; %bb.6022:                             ;   in Loop: Header=BB4_4959 Depth=2
	s_or_b32 exec_lo, exec_lo, s40
	v_lshlrev_b32_e32 v21, 24, v30
                                        ; implicit-def: $vgpr30
	s_delay_alu instid0(VALU_DEP_1) | instskip(NEXT) | instid1(VALU_DEP_1)
	v_and_b32_e32 v21, 0x80000000, v21
	v_lshl_add_u32 v2, v2, 23, v21
	s_delay_alu instid0(VALU_DEP_1) | instskip(NEXT) | instid1(VALU_DEP_1)
	v_lshl_or_b32 v2, v20, 21, v2
                                        ; implicit-def: $vgpr20
	v_add_nc_u32_e32 v2, 0x38000000, v2
.LBB4_6023:                             ;   in Loop: Header=BB4_4959 Depth=2
	s_and_not1_saveexec_b32 s29, s29
; %bb.6024:                             ;   in Loop: Header=BB4_4959 Depth=2
	v_bfe_i32 v2, v30, 0, 8
	s_delay_alu instid0(VALU_DEP_1) | instskip(SKIP_2) | instid1(VALU_DEP_2)
	v_cmp_lt_i16_e32 vcc_lo, -1, v2
	v_cndmask_b32_e32 v2, 0xff800000, v109, vcc_lo
	v_cmp_eq_u32_e32 vcc_lo, 0, v20
	v_cndmask_b32_e32 v2, 0x7f800001, v2, vcc_lo
; %bb.6025:                             ;   in Loop: Header=BB4_4959 Depth=2
	s_or_b32 exec_lo, exec_lo, s29
.LBB4_6026:                             ;   in Loop: Header=BB4_4959 Depth=2
	s_delay_alu instid0(SALU_CYCLE_1)
	s_or_b32 exec_lo, exec_lo, s28
.LBB4_6027:                             ;   in Loop: Header=BB4_4959 Depth=2
	s_delay_alu instid0(SALU_CYCLE_1) | instskip(NEXT) | instid1(VALU_DEP_1)
	s_or_b32 exec_lo, exec_lo, s7
	v_dual_add_f32 v30, v86, v2 :: v_dual_mov_b32 v21, v37
	v_mov_b32_e32 v87, v37
                                        ; implicit-def: $vgpr102
	s_mov_b32 s7, exec_lo
	s_delay_alu instid0(VALU_DEP_2) | instskip(SKIP_2) | instid1(VALU_DEP_3)
	v_and_b32_e32 v20, 0x7f800000, v30
	v_and_b32_e32 v86, 0x7fffff, v30
	v_lshrrev_b32_e32 v2, 24, v30
	v_cmpx_ne_u64_e32 0x7f800000, v[20:21]
	s_xor_b32 s28, exec_lo, s7
	s_cbranch_execz .LBB4_6041
; %bb.6028:                             ;   in Loop: Header=BB4_4959 Depth=2
	v_and_b32_e32 v20, 0x7fffffff, v30
	v_mov_b32_e32 v21, v37
	v_and_b32_e32 v2, 0x80, v2
                                        ; implicit-def: $vgpr102
	s_mov_b32 s7, exec_lo
	s_delay_alu instid0(VALU_DEP_2)
	v_cmpx_gt_u64_e32 0x47600001, v[20:21]
	s_xor_b32 s29, exec_lo, s7
	s_cbranch_execz .LBB4_6038
; %bb.6029:                             ;   in Loop: Header=BB4_4959 Depth=2
	v_mov_b32_e32 v102, 0
	s_mov_b32 s40, exec_lo
	v_cmpx_ne_u32_e32 0, v30
	s_cbranch_execz .LBB4_6037
; %bb.6030:                             ;   in Loop: Header=BB4_4959 Depth=2
	v_bfe_u32 v20, v30, 23, 8
	v_or_b32_e32 v30, 0x800000, v86
	s_mov_b32 s41, exec_lo
	s_delay_alu instid0(VALU_DEP_2) | instskip(SKIP_1) | instid1(VALU_DEP_2)
	v_sub_nc_u32_e32 v21, 0x71, v20
	v_cmp_gt_u32_e32 vcc_lo, 0x72, v20
	v_cndmask_b32_e32 v21, 0, v21, vcc_lo
	v_cmp_eq_u32_e32 vcc_lo, 0, v20
	s_delay_alu instid0(VALU_DEP_2) | instskip(NEXT) | instid1(VALU_DEP_1)
	v_cndmask_b32_e64 v21, v21, 0x70, vcc_lo
	v_dual_cndmask_b32 v86, v30, v86, vcc_lo :: v_dual_add_nc_u32 v24, 21, v21
	v_add_nc_u32_e32 v31, 20, v21
	s_delay_alu instid0(VALU_DEP_2) | instskip(NEXT) | instid1(VALU_DEP_2)
	v_lshlrev_b64_e64 v[24:25], v24, -1
	v_lshlrev_b64_e64 v[30:31], v31, 1
	s_delay_alu instid0(VALU_DEP_2) | instskip(SKIP_1) | instid1(VALU_DEP_4)
	v_bfi_b32 v24, v24, 0, v86
	v_lshrrev_b64 v[86:87], v21, v[86:87]
	v_bfi_b32 v25, v25, 0, 0
	s_delay_alu instid0(VALU_DEP_2) | instskip(NEXT) | instid1(VALU_DEP_2)
	v_mov_b64_e32 v[96:97], v[86:87]
	v_cmpx_eq_u64_e64 v[24:25], v[30:31]
; %bb.6031:                             ;   in Loop: Header=BB4_4959 Depth=2
	v_bfe_u32 v24, v86, 21, 1
	v_mov_b32_e32 v25, v37
	s_delay_alu instid0(VALU_DEP_1) | instskip(NEXT) | instid1(VALU_DEP_1)
	v_add_nc_u64_e32 v[24:25], v[86:87], v[24:25]
	v_add_nc_u64_e32 v[96:97], -1, v[24:25]
; %bb.6032:                             ;   in Loop: Header=BB4_4959 Depth=2
	s_or_b32 exec_lo, exec_lo, s41
	v_dual_mov_b32 v87, v37 :: v_dual_add_nc_u32 v20, 0xffffff81, v20
	v_lshrrev_b32_e32 v24, 23, v86
	s_mov_b32 s7, exec_lo
	s_delay_alu instid0(VALU_DEP_2) | instskip(NEXT) | instid1(VALU_DEP_1)
	v_cndmask_b32_e64 v20, v20, 0xffffff82, vcc_lo
	v_add3_u32 v21, v21, v20, v24
	v_and_b32_e32 v20, 0x1fffff, v96
	s_delay_alu instid0(VALU_DEP_1) | instskip(NEXT) | instid1(VALU_DEP_1)
	v_dual_add_nc_u32 v30, 14, v21 :: v_dual_add_nc_u32 v86, v20, v86
                                        ; implicit-def: $vgpr20
	v_cmpx_ne_u32_e32 0, v30
	s_xor_b32 s7, exec_lo, s7
; %bb.6033:                             ;   in Loop: Header=BB4_4959 Depth=2
	s_delay_alu instid0(VALU_DEP_2) | instskip(SKIP_2) | instid1(VALU_DEP_2)
	v_cmp_lt_u64_e32 vcc_lo, 0xffffff, v[86:87]
	v_add_nc_u32_e32 v20, 15, v21
	v_cndmask_b32_e64 v21, 0, 1, vcc_lo
	v_cndmask_b32_e32 v20, v30, v20, vcc_lo
	s_delay_alu instid0(VALU_DEP_2)
	v_lshrrev_b64 v[86:87], v21, v[86:87]
; %bb.6034:                             ;   in Loop: Header=BB4_4959 Depth=2
	s_and_not1_saveexec_b32 s7, s7
; %bb.6035:                             ;   in Loop: Header=BB4_4959 Depth=2
	s_delay_alu instid0(VALU_DEP_1)
	v_bfe_u32 v20, v86, 23, 1
; %bb.6036:                             ;   in Loop: Header=BB4_4959 Depth=2
	s_or_b32 exec_lo, exec_lo, s7
	s_delay_alu instid0(VALU_DEP_2) | instskip(NEXT) | instid1(VALU_DEP_2)
	v_lshrrev_b64 v[24:25], 21, v[86:87]
	v_cmp_gt_i32_e32 vcc_lo, 32, v20
	v_min_i32_e32 v21, 31, v20
	v_cmp_eq_u32_e64 s7, 0, v20
	s_delay_alu instid0(VALU_DEP_4) | instskip(NEXT) | instid1(VALU_DEP_3)
	v_cndmask_b32_e32 v25, 0, v25, vcc_lo
	v_dual_cndmask_b32 v24, 3, v24 :: v_dual_lshlrev_b32 v21, 2, v21
	s_delay_alu instid0(VALU_DEP_1) | instskip(NEXT) | instid1(VALU_DEP_2)
	v_and_b32_e32 v21, 0xfc, v21
	v_cmp_eq_u64_e32 vcc_lo, 0, v[24:25]
	s_delay_alu instid0(VALU_DEP_2)
	v_and_or_b32 v20, v24, 3, v21
	s_and_b32 s7, s7, vcc_lo
	s_delay_alu instid0(VALU_DEP_1) | instid1(SALU_CYCLE_1)
	v_cndmask_b32_e64 v20, v20, 0, s7
	s_delay_alu instid0(VALU_DEP_1)
	v_or_b32_e32 v102, v20, v2
.LBB4_6037:                             ;   in Loop: Header=BB4_4959 Depth=2
	s_or_b32 exec_lo, exec_lo, s40
                                        ; implicit-def: $vgpr2
.LBB4_6038:                             ;   in Loop: Header=BB4_4959 Depth=2
	s_and_not1_saveexec_b32 s7, s29
; %bb.6039:                             ;   in Loop: Header=BB4_4959 Depth=2
	v_or_b32_e32 v102, 0x7b, v2
; %bb.6040:                             ;   in Loop: Header=BB4_4959 Depth=2
	s_or_b32 exec_lo, exec_lo, s7
                                        ; implicit-def: $vgpr30
                                        ; implicit-def: $vgpr86_vgpr87
                                        ; implicit-def: $vgpr2
.LBB4_6041:                             ;   in Loop: Header=BB4_4959 Depth=2
	s_and_not1_saveexec_b32 s7, s28
	s_cbranch_execz .LBB4_6047
; %bb.6042:                             ;   in Loop: Header=BB4_4959 Depth=2
	s_mov_b32 s28, exec_lo
                                        ; implicit-def: $vgpr102
	v_cmpx_ne_u64_e32 0, v[86:87]
	s_xor_b32 s28, exec_lo, s28
; %bb.6043:                             ;   in Loop: Header=BB4_4959 Depth=2
	v_or_b32_e32 v102, 0x7f, v2
                                        ; implicit-def: $vgpr30
; %bb.6044:                             ;   in Loop: Header=BB4_4959 Depth=2
	s_and_not1_saveexec_b32 s28, s28
; %bb.6045:                             ;   in Loop: Header=BB4_4959 Depth=2
	v_cmp_lt_i32_e32 vcc_lo, -1, v30
	v_cndmask_b32_e32 v102, 0xfc, v110, vcc_lo
; %bb.6046:                             ;   in Loop: Header=BB4_4959 Depth=2
	s_or_b32 exec_lo, exec_lo, s28
.LBB4_6047:                             ;   in Loop: Header=BB4_4959 Depth=2
	s_delay_alu instid0(SALU_CYCLE_1)
	s_or_b32 exec_lo, exec_lo, s7
	v_dual_mov_b32 v2, 0 :: v_dual_mov_b32 v86, 0
	s_mov_b32 s7, exec_lo
	v_cmpx_lt_u32_e32 0xffffff, v36
	s_cbranch_execz .LBB4_6057
; %bb.6048:                             ;   in Loop: Header=BB4_4959 Depth=2
	v_lshrrev_b32_e32 v30, 24, v36
	v_bfrev_b32_e32 v86, 1
	s_mov_b32 s28, exec_lo
	s_delay_alu instid0(VALU_DEP_2)
	v_cmpx_ne_u32_e32 0x80, v30
	s_cbranch_execz .LBB4_6056
; %bb.6049:                             ;   in Loop: Header=BB4_4959 Depth=2
	v_and_b32_e32 v21, 0x7c000000, v36
	v_bfe_u32 v20, v36, 24, 2
	s_mov_b32 s29, exec_lo
                                        ; implicit-def: $vgpr86
	s_delay_alu instid0(VALU_DEP_2)
	v_cmpx_ne_u32_e32 0x7c000000, v21
	s_xor_b32 s29, exec_lo, s29
	s_cbranch_execz .LBB4_6053
; %bb.6050:                             ;   in Loop: Header=BB4_4959 Depth=2
	v_bfe_u32 v21, v36, 26, 5
	s_mov_b32 s40, exec_lo
	s_delay_alu instid0(VALU_DEP_1)
	v_cmpx_eq_u32_e32 0, v21
; %bb.6051:                             ;   in Loop: Header=BB4_4959 Depth=2
	v_clz_i32_u32_e32 v20, v20
	s_delay_alu instid0(VALU_DEP_1) | instskip(NEXT) | instid1(VALU_DEP_1)
	v_min_u32_e32 v24, 32, v20
	v_subrev_nc_u32_e32 v20, 29, v24
	s_delay_alu instid0(VALU_DEP_1) | instskip(SKIP_1) | instid1(VALU_DEP_2)
	v_lshlrev_b64_e32 v[20:21], v20, v[30:31]
	v_sub_nc_u32_e32 v21, 30, v24
	v_and_b32_e32 v20, 3, v20
; %bb.6052:                             ;   in Loop: Header=BB4_4959 Depth=2
	s_or_b32 exec_lo, exec_lo, s40
	v_and_b32_e32 v24, 0x80000000, v36
	s_delay_alu instid0(VALU_DEP_1) | instskip(NEXT) | instid1(VALU_DEP_1)
	v_lshl_add_u32 v21, v21, 23, v24
	v_lshl_or_b32 v20, v20, 21, v21
	s_delay_alu instid0(VALU_DEP_1)
	v_add_nc_u32_e32 v86, 0x38000000, v20
                                        ; implicit-def: $vgpr20
.LBB4_6053:                             ;   in Loop: Header=BB4_4959 Depth=2
	s_and_not1_saveexec_b32 s29, s29
; %bb.6054:                             ;   in Loop: Header=BB4_4959 Depth=2
	v_cmp_lt_i32_e32 vcc_lo, -1, v36
	v_cndmask_b32_e32 v21, 0xff800000, v109, vcc_lo
	v_cmp_eq_u32_e32 vcc_lo, 0, v20
	s_delay_alu instid0(VALU_DEP_2)
	v_cndmask_b32_e32 v86, 0x7f800001, v21, vcc_lo
; %bb.6055:                             ;   in Loop: Header=BB4_4959 Depth=2
	s_or_b32 exec_lo, exec_lo, s29
.LBB4_6056:                             ;   in Loop: Header=BB4_4959 Depth=2
	s_delay_alu instid0(SALU_CYCLE_1)
	s_or_b32 exec_lo, exec_lo, s28
.LBB4_6057:                             ;   in Loop: Header=BB4_4959 Depth=2
	s_delay_alu instid0(SALU_CYCLE_1) | instskip(NEXT) | instid1(SALU_CYCLE_1)
	s_or_b32 exec_lo, exec_lo, s7
	s_mov_b32 s7, exec_lo
	v_cmpx_lt_u32_e32 0xffffff, v14
	s_cbranch_execz .LBB4_6067
; %bb.6058:                             ;   in Loop: Header=BB4_4959 Depth=2
	v_lshrrev_b32_e32 v30, 24, v14
	v_bfrev_b32_e32 v2, 1
	s_mov_b32 s28, exec_lo
	s_delay_alu instid0(VALU_DEP_2)
	v_cmpx_ne_u32_e32 0x80, v30
	s_cbranch_execz .LBB4_6066
; %bb.6059:                             ;   in Loop: Header=BB4_4959 Depth=2
	v_and_b32_e32 v2, 0x7c000000, v14
	v_bfe_u32 v20, v14, 24, 2
	s_delay_alu instid0(VALU_DEP_2) | instskip(SKIP_1) | instid1(SALU_CYCLE_1)
	v_cmp_ne_u32_e32 vcc_lo, 0x7c000000, v2
                                        ; implicit-def: $vgpr2
	s_and_saveexec_b32 s29, vcc_lo
	s_xor_b32 s29, exec_lo, s29
	s_cbranch_execz .LBB4_6063
; %bb.6060:                             ;   in Loop: Header=BB4_4959 Depth=2
	v_bfe_u32 v2, v14, 26, 5
	s_mov_b32 s40, exec_lo
	s_delay_alu instid0(VALU_DEP_1)
	v_cmpx_eq_u32_e32 0, v2
; %bb.6061:                             ;   in Loop: Header=BB4_4959 Depth=2
	v_clz_i32_u32_e32 v2, v20
	s_delay_alu instid0(VALU_DEP_1) | instskip(NEXT) | instid1(VALU_DEP_1)
	v_min_u32_e32 v2, 32, v2
	v_subrev_nc_u32_e32 v20, 29, v2
	s_delay_alu instid0(VALU_DEP_1) | instskip(NEXT) | instid1(VALU_DEP_1)
	v_lshlrev_b64_e32 v[20:21], v20, v[30:31]
	v_dual_sub_nc_u32 v2, 30, v2 :: v_dual_bitop2_b32 v20, 3, v20 bitop3:0x40
; %bb.6062:                             ;   in Loop: Header=BB4_4959 Depth=2
	s_or_b32 exec_lo, exec_lo, s40
	v_and_b32_e32 v21, 0x80000000, v14
	s_delay_alu instid0(VALU_DEP_1) | instskip(NEXT) | instid1(VALU_DEP_1)
	v_lshl_add_u32 v2, v2, 23, v21
	v_lshl_or_b32 v2, v20, 21, v2
                                        ; implicit-def: $vgpr20
	s_delay_alu instid0(VALU_DEP_1)
	v_add_nc_u32_e32 v2, 0x38000000, v2
.LBB4_6063:                             ;   in Loop: Header=BB4_4959 Depth=2
	s_and_not1_saveexec_b32 s29, s29
; %bb.6064:                             ;   in Loop: Header=BB4_4959 Depth=2
	v_cmp_lt_i32_e32 vcc_lo, -1, v14
	v_cndmask_b32_e32 v2, 0xff800000, v109, vcc_lo
	v_cmp_eq_u32_e32 vcc_lo, 0, v20
	s_delay_alu instid0(VALU_DEP_2)
	v_cndmask_b32_e32 v2, 0x7f800001, v2, vcc_lo
; %bb.6065:                             ;   in Loop: Header=BB4_4959 Depth=2
	s_or_b32 exec_lo, exec_lo, s29
.LBB4_6066:                             ;   in Loop: Header=BB4_4959 Depth=2
	s_delay_alu instid0(SALU_CYCLE_1)
	s_or_b32 exec_lo, exec_lo, s28
.LBB4_6067:                             ;   in Loop: Header=BB4_4959 Depth=2
	s_delay_alu instid0(SALU_CYCLE_1) | instskip(NEXT) | instid1(VALU_DEP_1)
	s_or_b32 exec_lo, exec_lo, s7
	v_dual_add_f32 v30, v86, v2 :: v_dual_mov_b32 v21, v37
                                        ; implicit-def: $vgpr115
	s_mov_b32 s7, exec_lo
	s_delay_alu instid0(VALU_DEP_1) | instskip(SKIP_2) | instid1(VALU_DEP_3)
	v_and_b32_e32 v20, 0x7f800000, v30
	v_and_b32_e32 v36, 0x7fffff, v30
	v_lshrrev_b32_e32 v2, 24, v30
	v_cmpx_ne_u64_e32 0x7f800000, v[20:21]
	s_xor_b32 s28, exec_lo, s7
	s_cbranch_execz .LBB4_6081
; %bb.6068:                             ;   in Loop: Header=BB4_4959 Depth=2
	v_and_b32_e32 v20, 0x7fffffff, v30
	v_mov_b32_e32 v21, v37
	v_and_b32_e32 v2, 0x80, v2
                                        ; implicit-def: $vgpr115
	s_mov_b32 s7, exec_lo
	s_delay_alu instid0(VALU_DEP_2)
	v_cmpx_gt_u64_e32 0x47600001, v[20:21]
	s_xor_b32 s29, exec_lo, s7
	s_cbranch_execz .LBB4_6078
; %bb.6069:                             ;   in Loop: Header=BB4_4959 Depth=2
	v_mov_b32_e32 v115, 0
	s_mov_b32 s40, exec_lo
	v_cmpx_ne_u32_e32 0, v30
	s_cbranch_execz .LBB4_6077
; %bb.6070:                             ;   in Loop: Header=BB4_4959 Depth=2
	v_bfe_u32 v20, v30, 23, 8
	v_or_b32_e32 v30, 0x800000, v36
	v_mov_b32_e32 v31, v37
	s_delay_alu instid0(VALU_DEP_3) | instskip(SKIP_1) | instid1(VALU_DEP_2)
	v_sub_nc_u32_e32 v21, 0x71, v20
	v_cmp_gt_u32_e32 vcc_lo, 0x72, v20
	v_cndmask_b32_e32 v21, 0, v21, vcc_lo
	v_cmp_eq_u32_e32 vcc_lo, 0, v20
	v_cndmask_b32_e32 v30, v30, v36, vcc_lo
	s_delay_alu instid0(VALU_DEP_3) | instskip(NEXT) | instid1(VALU_DEP_1)
	v_cndmask_b32_e64 v21, v21, 0x70, vcc_lo
	v_dual_add_nc_u32 v24, 21, v21 :: v_dual_add_nc_u32 v86, 20, v21
	s_delay_alu instid0(VALU_DEP_1) | instskip(NEXT) | instid1(VALU_DEP_2)
	v_lshlrev_b64_e64 v[24:25], v24, -1
	v_lshlrev_b64_e64 v[96:97], v86, 1
	v_lshrrev_b64 v[86:87], v21, v[30:31]
	s_delay_alu instid0(VALU_DEP_3) | instskip(NEXT) | instid1(VALU_DEP_4)
	v_bfi_b32 v25, v25, 0, 0
	v_bfi_b32 v24, v24, 0, v30
	s_delay_alu instid0(VALU_DEP_1) | instskip(NEXT) | instid1(VALU_DEP_4)
	v_cmp_eq_u64_e64 s7, v[24:25], v[96:97]
	v_mov_b64_e32 v[96:97], v[86:87]
	s_and_saveexec_b32 s41, s7
; %bb.6071:                             ;   in Loop: Header=BB4_4959 Depth=2
	v_bfe_u32 v24, v86, 21, 1
	v_mov_b32_e32 v25, v37
	s_delay_alu instid0(VALU_DEP_1) | instskip(NEXT) | instid1(VALU_DEP_1)
	v_add_nc_u64_e32 v[24:25], v[86:87], v[24:25]
	v_add_nc_u64_e32 v[96:97], -1, v[24:25]
; %bb.6072:                             ;   in Loop: Header=BB4_4959 Depth=2
	s_or_b32 exec_lo, exec_lo, s41
	v_add_nc_u32_e32 v20, 0xffffff81, v20
	v_lshrrev_b32_e32 v24, 23, v86
	s_mov_b32 s7, exec_lo
	s_delay_alu instid0(VALU_DEP_2) | instskip(NEXT) | instid1(VALU_DEP_1)
	v_cndmask_b32_e64 v20, v20, 0xffffff82, vcc_lo
	v_add3_u32 v21, v21, v20, v24
	v_and_b32_e32 v20, 0x1fffff, v96
	s_delay_alu instid0(VALU_DEP_1) | instskip(NEXT) | instid1(VALU_DEP_1)
	v_dual_add_nc_u32 v30, 14, v21 :: v_dual_add_nc_u32 v36, v20, v86
                                        ; implicit-def: $vgpr86_vgpr87
                                        ; implicit-def: $vgpr20
	v_cmpx_ne_u32_e32 0, v30
	s_xor_b32 s7, exec_lo, s7
; %bb.6073:                             ;   in Loop: Header=BB4_4959 Depth=2
	s_delay_alu instid0(VALU_DEP_2) | instskip(SKIP_2) | instid1(VALU_DEP_2)
	v_cmp_lt_u64_e32 vcc_lo, 0xffffff, v[36:37]
	v_add_nc_u32_e32 v20, 15, v21
	v_cndmask_b32_e64 v21, 0, 1, vcc_lo
	v_cndmask_b32_e32 v20, v30, v20, vcc_lo
	s_delay_alu instid0(VALU_DEP_2)
	v_lshrrev_b64 v[86:87], v21, v[36:37]
; %bb.6074:                             ;   in Loop: Header=BB4_4959 Depth=2
	s_and_not1_saveexec_b32 s7, s7
; %bb.6075:                             ;   in Loop: Header=BB4_4959 Depth=2
	v_mov_b64_e32 v[86:87], v[36:37]
	v_bfe_u32 v20, v36, 23, 1
; %bb.6076:                             ;   in Loop: Header=BB4_4959 Depth=2
	s_or_b32 exec_lo, exec_lo, s7
	s_delay_alu instid0(VALU_DEP_2) | instskip(NEXT) | instid1(VALU_DEP_2)
	v_lshrrev_b64 v[24:25], 21, v[86:87]
	v_cmp_gt_i32_e32 vcc_lo, 32, v20
	v_min_i32_e32 v21, 31, v20
	v_cmp_eq_u32_e64 s7, 0, v20
	s_delay_alu instid0(VALU_DEP_4) | instskip(NEXT) | instid1(VALU_DEP_3)
	v_cndmask_b32_e32 v25, 0, v25, vcc_lo
	v_dual_cndmask_b32 v24, 3, v24 :: v_dual_lshlrev_b32 v21, 2, v21
	s_delay_alu instid0(VALU_DEP_1) | instskip(NEXT) | instid1(VALU_DEP_2)
	v_and_b32_e32 v21, 0xfc, v21
	v_cmp_eq_u64_e32 vcc_lo, 0, v[24:25]
	s_delay_alu instid0(VALU_DEP_2)
	v_and_or_b32 v20, v24, 3, v21
	s_and_b32 s7, s7, vcc_lo
	s_delay_alu instid0(VALU_DEP_1) | instid1(SALU_CYCLE_1)
	v_cndmask_b32_e64 v20, v20, 0, s7
	s_delay_alu instid0(VALU_DEP_1)
	v_or_b32_e32 v115, v20, v2
.LBB4_6077:                             ;   in Loop: Header=BB4_4959 Depth=2
	s_or_b32 exec_lo, exec_lo, s40
                                        ; implicit-def: $vgpr2
.LBB4_6078:                             ;   in Loop: Header=BB4_4959 Depth=2
	s_and_not1_saveexec_b32 s7, s29
; %bb.6079:                             ;   in Loop: Header=BB4_4959 Depth=2
	v_or_b32_e32 v115, 0x7b, v2
; %bb.6080:                             ;   in Loop: Header=BB4_4959 Depth=2
	s_or_b32 exec_lo, exec_lo, s7
                                        ; implicit-def: $vgpr30
                                        ; implicit-def: $vgpr2
.LBB4_6081:                             ;   in Loop: Header=BB4_4959 Depth=2
	s_and_not1_saveexec_b32 s7, s28
	s_cbranch_execz .LBB4_6087
; %bb.6082:                             ;   in Loop: Header=BB4_4959 Depth=2
	s_mov_b32 s28, exec_lo
                                        ; implicit-def: $vgpr115
	v_cmpx_ne_u64_e32 0, v[36:37]
	s_xor_b32 s28, exec_lo, s28
; %bb.6083:                             ;   in Loop: Header=BB4_4959 Depth=2
	v_or_b32_e32 v115, 0x7f, v2
                                        ; implicit-def: $vgpr30
; %bb.6084:                             ;   in Loop: Header=BB4_4959 Depth=2
	s_and_not1_saveexec_b32 s28, s28
; %bb.6085:                             ;   in Loop: Header=BB4_4959 Depth=2
	v_cmp_lt_i32_e32 vcc_lo, -1, v30
	v_cndmask_b32_e32 v115, 0xfc, v110, vcc_lo
; %bb.6086:                             ;   in Loop: Header=BB4_4959 Depth=2
	s_or_b32 exec_lo, exec_lo, s28
.LBB4_6087:                             ;   in Loop: Header=BB4_4959 Depth=2
	s_delay_alu instid0(SALU_CYCLE_1) | instskip(SKIP_4) | instid1(VALU_DEP_2)
	s_or_b32 exec_lo, exec_lo, s7
	v_lshl_or_b32 v2, v56, 8, v41
	v_dual_lshlrev_b32 v20, 16, v63 :: v_dual_lshlrev_b32 v21, 24, v72
	v_dual_mov_b32 v86, 0 :: v_dual_mov_b32 v30, 0
	s_mov_b32 s7, exec_lo
	v_or3_b32 v36, v20, v21, v2
	v_cmpx_ne_u32_e32 0, v41
	s_cbranch_execz .LBB4_6097
; %bb.6088:                             ;   in Loop: Header=BB4_4959 Depth=2
	v_bfrev_b32_e32 v30, 1
	s_mov_b32 s28, exec_lo
	v_cmpx_ne_u32_e32 0x80, v41
	s_cbranch_execz .LBB4_6096
; %bb.6089:                             ;   in Loop: Header=BB4_4959 Depth=2
	v_and_b32_e32 v21, 0x7c, v41
	v_and_b32_e32 v20, 3, v41
	s_mov_b32 s29, exec_lo
                                        ; implicit-def: $vgpr30
	s_delay_alu instid0(VALU_DEP_2)
	v_cmpx_ne_u32_e32 0x7c, v21
	s_xor_b32 s29, exec_lo, s29
	s_cbranch_execz .LBB4_6093
; %bb.6090:                             ;   in Loop: Header=BB4_4959 Depth=2
	v_bfe_u32 v21, v41, 2, 5
	s_mov_b32 s40, exec_lo
	s_delay_alu instid0(VALU_DEP_1)
	v_cmpx_eq_u32_e32 0, v21
; %bb.6091:                             ;   in Loop: Header=BB4_4959 Depth=2
	v_clz_i32_u32_e32 v20, v20
	s_delay_alu instid0(VALU_DEP_1) | instskip(NEXT) | instid1(VALU_DEP_1)
	v_min_u32_e32 v24, 32, v20
	v_subrev_nc_u32_e32 v20, 29, v24
	s_delay_alu instid0(VALU_DEP_1) | instskip(SKIP_1) | instid1(VALU_DEP_2)
	v_lshlrev_b64_e32 v[20:21], v20, v[36:37]
	v_sub_nc_u32_e32 v21, 30, v24
	v_and_b32_e32 v20, 3, v20
; %bb.6092:                             ;   in Loop: Header=BB4_4959 Depth=2
	s_or_b32 exec_lo, exec_lo, s40
	v_lshlrev_b32_e32 v24, 24, v41
                                        ; implicit-def: $vgpr41
	s_delay_alu instid0(VALU_DEP_1) | instskip(NEXT) | instid1(VALU_DEP_1)
	v_and_b32_e32 v24, 0x80000000, v24
	v_lshl_add_u32 v21, v21, 23, v24
	s_delay_alu instid0(VALU_DEP_1) | instskip(NEXT) | instid1(VALU_DEP_1)
	v_lshl_or_b32 v20, v20, 21, v21
	v_add_nc_u32_e32 v30, 0x38000000, v20
                                        ; implicit-def: $vgpr20
.LBB4_6093:                             ;   in Loop: Header=BB4_4959 Depth=2
	s_and_not1_saveexec_b32 s29, s29
; %bb.6094:                             ;   in Loop: Header=BB4_4959 Depth=2
	v_and_b32_e32 v21, 0x80, v41
	s_delay_alu instid0(VALU_DEP_1) | instskip(SKIP_2) | instid1(VALU_DEP_2)
	v_cmp_eq_u32_e32 vcc_lo, 0, v21
	v_cndmask_b32_e32 v21, 0xff800000, v109, vcc_lo
	v_cmp_eq_u32_e32 vcc_lo, 0, v20
	v_cndmask_b32_e32 v30, 0x7f800001, v21, vcc_lo
; %bb.6095:                             ;   in Loop: Header=BB4_4959 Depth=2
	s_or_b32 exec_lo, exec_lo, s29
.LBB4_6096:                             ;   in Loop: Header=BB4_4959 Depth=2
	s_delay_alu instid0(SALU_CYCLE_1)
	s_or_b32 exec_lo, exec_lo, s28
.LBB4_6097:                             ;   in Loop: Header=BB4_4959 Depth=2
	s_delay_alu instid0(SALU_CYCLE_1) | instskip(SKIP_2) | instid1(VALU_DEP_1)
	s_or_b32 exec_lo, exec_lo, s7
	v_and_b32_e32 v20, 0xff, v15
	s_mov_b32 s7, exec_lo
	v_cmpx_ne_u16_e32 0, v20
	s_cbranch_execz .LBB4_6107
; %bb.6098:                             ;   in Loop: Header=BB4_4959 Depth=2
	v_bfrev_b32_e32 v86, 1
	s_mov_b32 s28, exec_lo
	v_cmpx_ne_u16_e32 0x80, v20
	s_cbranch_execz .LBB4_6106
; %bb.6099:                             ;   in Loop: Header=BB4_4959 Depth=2
	v_and_b32_e32 v21, 0x7c, v15
	v_and_b32_e32 v20, 3, v15
	s_mov_b32 s29, exec_lo
                                        ; implicit-def: $vgpr86
	s_delay_alu instid0(VALU_DEP_2)
	v_cmpx_ne_u32_e32 0x7c, v21
	s_xor_b32 s29, exec_lo, s29
	s_cbranch_execz .LBB4_6103
; %bb.6100:                             ;   in Loop: Header=BB4_4959 Depth=2
	v_bfe_u32 v21, v15, 2, 5
	s_mov_b32 s40, exec_lo
	s_delay_alu instid0(VALU_DEP_1)
	v_cmpx_eq_u32_e32 0, v21
	s_cbranch_execz .LBB4_6102
; %bb.6101:                             ;   in Loop: Header=BB4_4959 Depth=2
	v_clz_i32_u32_e32 v20, v20
	v_mov_b32_e32 v21, v37
	s_delay_alu instid0(VALU_DEP_2) | instskip(SKIP_1) | instid1(VALU_DEP_2)
	v_min_u32_e32 v24, 32, v20
	v_mov_b32_e32 v20, v15
	v_subrev_nc_u32_e32 v25, 29, v24
	s_delay_alu instid0(VALU_DEP_1) | instskip(SKIP_1) | instid1(VALU_DEP_2)
	v_lshlrev_b64_e32 v[20:21], v25, v[20:21]
	v_sub_nc_u32_e32 v21, 30, v24
	v_and_b32_e32 v20, 3, v20
.LBB4_6102:                             ;   in Loop: Header=BB4_4959 Depth=2
	s_or_b32 exec_lo, exec_lo, s40
	v_lshlrev_b32_e32 v24, 24, v15
	s_delay_alu instid0(VALU_DEP_1) | instskip(NEXT) | instid1(VALU_DEP_1)
	v_and_b32_e32 v24, 0x80000000, v24
	v_lshl_add_u32 v21, v21, 23, v24
	s_delay_alu instid0(VALU_DEP_1) | instskip(NEXT) | instid1(VALU_DEP_1)
	v_lshl_or_b32 v20, v20, 21, v21
	v_add_nc_u32_e32 v86, 0x38000000, v20
                                        ; implicit-def: $vgpr20
.LBB4_6103:                             ;   in Loop: Header=BB4_4959 Depth=2
	s_and_not1_saveexec_b32 s29, s29
; %bb.6104:                             ;   in Loop: Header=BB4_4959 Depth=2
	v_bfe_i32 v21, v15, 0, 8
	s_delay_alu instid0(VALU_DEP_1) | instskip(SKIP_2) | instid1(VALU_DEP_2)
	v_cmp_lt_i16_e32 vcc_lo, -1, v21
	v_cndmask_b32_e32 v21, 0xff800000, v109, vcc_lo
	v_cmp_eq_u32_e32 vcc_lo, 0, v20
	v_cndmask_b32_e32 v86, 0x7f800001, v21, vcc_lo
; %bb.6105:                             ;   in Loop: Header=BB4_4959 Depth=2
	s_or_b32 exec_lo, exec_lo, s29
.LBB4_6106:                             ;   in Loop: Header=BB4_4959 Depth=2
	s_delay_alu instid0(SALU_CYCLE_1)
	s_or_b32 exec_lo, exec_lo, s28
.LBB4_6107:                             ;   in Loop: Header=BB4_4959 Depth=2
	s_delay_alu instid0(SALU_CYCLE_1) | instskip(NEXT) | instid1(VALU_DEP_1)
	s_or_b32 exec_lo, exec_lo, s7
	v_dual_add_f32 v96, v30, v86 :: v_dual_mov_b32 v21, v37
	v_mov_b32_e32 v87, v37
                                        ; implicit-def: $vgpr41
	s_delay_alu instid0(VALU_DEP_2) | instskip(SKIP_1) | instid1(VALU_DEP_2)
	v_and_b32_e32 v20, 0x7f800000, v96
	v_and_b32_e32 v86, 0x7fffff, v96
	v_cmp_ne_u64_e32 vcc_lo, 0x7f800000, v[20:21]
	v_lshrrev_b32_e32 v20, 24, v96
	s_and_saveexec_b32 s7, vcc_lo
	s_delay_alu instid0(SALU_CYCLE_1)
	s_xor_b32 s28, exec_lo, s7
	s_cbranch_execz .LBB4_6121
; %bb.6108:                             ;   in Loop: Header=BB4_4959 Depth=2
	v_and_b32_e32 v24, 0x7fffffff, v96
	v_mov_b32_e32 v25, v37
	v_and_b32_e32 v30, 0x80, v20
                                        ; implicit-def: $vgpr41
	s_mov_b32 s7, exec_lo
	s_delay_alu instid0(VALU_DEP_2)
	v_cmpx_gt_u64_e32 0x47600001, v[24:25]
	s_xor_b32 s29, exec_lo, s7
	s_cbranch_execz .LBB4_6118
; %bb.6109:                             ;   in Loop: Header=BB4_4959 Depth=2
	v_mov_b32_e32 v41, 0
	s_mov_b32 s40, exec_lo
	v_cmpx_ne_u32_e32 0, v96
	s_cbranch_execz .LBB4_6117
; %bb.6110:                             ;   in Loop: Header=BB4_4959 Depth=2
	v_bfe_u32 v20, v96, 23, 8
	v_or_b32_e32 v31, 0x800000, v86
	s_delay_alu instid0(VALU_DEP_2) | instskip(SKIP_1) | instid1(VALU_DEP_2)
	v_sub_nc_u32_e32 v21, 0x71, v20
	v_cmp_gt_u32_e32 vcc_lo, 0x72, v20
	v_cndmask_b32_e32 v21, 0, v21, vcc_lo
	v_cmp_eq_u32_e32 vcc_lo, 0, v20
	s_delay_alu instid0(VALU_DEP_2) | instskip(NEXT) | instid1(VALU_DEP_1)
	v_cndmask_b32_e64 v21, v21, 0x70, vcc_lo
	v_dual_cndmask_b32 v86, v31, v86, vcc_lo :: v_dual_add_nc_u32 v24, 21, v21
	v_add_nc_u32_e32 v96, 20, v21
	s_delay_alu instid0(VALU_DEP_2) | instskip(NEXT) | instid1(VALU_DEP_2)
	v_lshlrev_b64_e64 v[24:25], v24, -1
	v_lshlrev_b64_e64 v[96:97], v96, 1
	s_delay_alu instid0(VALU_DEP_2) | instskip(SKIP_1) | instid1(VALU_DEP_4)
	v_bfi_b32 v24, v24, 0, v86
	v_lshrrev_b64 v[86:87], v21, v[86:87]
	v_bfi_b32 v25, v25, 0, 0
	s_delay_alu instid0(VALU_DEP_1) | instskip(NEXT) | instid1(VALU_DEP_3)
	v_cmp_eq_u64_e64 s7, v[24:25], v[96:97]
	v_mov_b64_e32 v[96:97], v[86:87]
	s_and_saveexec_b32 s41, s7
; %bb.6111:                             ;   in Loop: Header=BB4_4959 Depth=2
	v_bfe_u32 v24, v86, 21, 1
	v_mov_b32_e32 v25, v37
	s_delay_alu instid0(VALU_DEP_1) | instskip(NEXT) | instid1(VALU_DEP_1)
	v_add_nc_u64_e32 v[24:25], v[86:87], v[24:25]
	v_add_nc_u64_e32 v[96:97], -1, v[24:25]
; %bb.6112:                             ;   in Loop: Header=BB4_4959 Depth=2
	s_or_b32 exec_lo, exec_lo, s41
	v_dual_mov_b32 v87, v37 :: v_dual_add_nc_u32 v20, 0xffffff81, v20
	v_lshrrev_b32_e32 v24, 23, v86
	s_mov_b32 s7, exec_lo
	s_delay_alu instid0(VALU_DEP_2) | instskip(NEXT) | instid1(VALU_DEP_1)
	v_cndmask_b32_e64 v20, v20, 0xffffff82, vcc_lo
	v_add3_u32 v21, v21, v20, v24
	v_and_b32_e32 v20, 0x1fffff, v96
	s_delay_alu instid0(VALU_DEP_1) | instskip(NEXT) | instid1(VALU_DEP_1)
	v_dual_add_nc_u32 v96, 14, v21 :: v_dual_add_nc_u32 v86, v20, v86
                                        ; implicit-def: $vgpr20
	v_cmpx_ne_u32_e32 0, v96
	s_xor_b32 s7, exec_lo, s7
; %bb.6113:                             ;   in Loop: Header=BB4_4959 Depth=2
	s_delay_alu instid0(VALU_DEP_2) | instskip(SKIP_2) | instid1(VALU_DEP_2)
	v_cmp_lt_u64_e32 vcc_lo, 0xffffff, v[86:87]
	v_add_nc_u32_e32 v20, 15, v21
	v_cndmask_b32_e64 v21, 0, 1, vcc_lo
	v_cndmask_b32_e32 v20, v96, v20, vcc_lo
	s_delay_alu instid0(VALU_DEP_2)
	v_lshrrev_b64 v[86:87], v21, v[86:87]
; %bb.6114:                             ;   in Loop: Header=BB4_4959 Depth=2
	s_and_not1_saveexec_b32 s7, s7
; %bb.6115:                             ;   in Loop: Header=BB4_4959 Depth=2
	s_delay_alu instid0(VALU_DEP_1)
	v_bfe_u32 v20, v86, 23, 1
; %bb.6116:                             ;   in Loop: Header=BB4_4959 Depth=2
	s_or_b32 exec_lo, exec_lo, s7
	s_delay_alu instid0(VALU_DEP_2) | instskip(NEXT) | instid1(VALU_DEP_2)
	v_lshrrev_b64 v[24:25], 21, v[86:87]
	v_cmp_gt_i32_e32 vcc_lo, 32, v20
	v_min_i32_e32 v21, 31, v20
	v_cmp_eq_u32_e64 s7, 0, v20
	s_delay_alu instid0(VALU_DEP_4) | instskip(NEXT) | instid1(VALU_DEP_3)
	v_cndmask_b32_e32 v25, 0, v25, vcc_lo
	v_dual_cndmask_b32 v24, 3, v24 :: v_dual_lshlrev_b32 v21, 2, v21
	s_delay_alu instid0(VALU_DEP_1) | instskip(NEXT) | instid1(VALU_DEP_2)
	v_and_b32_e32 v21, 0xfc, v21
	v_cmp_eq_u64_e32 vcc_lo, 0, v[24:25]
	s_delay_alu instid0(VALU_DEP_2)
	v_and_or_b32 v20, v24, 3, v21
	s_and_b32 s7, s7, vcc_lo
	s_delay_alu instid0(VALU_DEP_1) | instid1(SALU_CYCLE_1)
	v_cndmask_b32_e64 v20, v20, 0, s7
	s_delay_alu instid0(VALU_DEP_1)
	v_or_b32_e32 v41, v20, v30
.LBB4_6117:                             ;   in Loop: Header=BB4_4959 Depth=2
	s_or_b32 exec_lo, exec_lo, s40
                                        ; implicit-def: $vgpr30
.LBB4_6118:                             ;   in Loop: Header=BB4_4959 Depth=2
	s_and_not1_saveexec_b32 s7, s29
; %bb.6119:                             ;   in Loop: Header=BB4_4959 Depth=2
	v_or_b32_e32 v41, 0x7b, v30
; %bb.6120:                             ;   in Loop: Header=BB4_4959 Depth=2
	s_or_b32 exec_lo, exec_lo, s7
                                        ; implicit-def: $vgpr96
                                        ; implicit-def: $vgpr86_vgpr87
                                        ; implicit-def: $vgpr20
.LBB4_6121:                             ;   in Loop: Header=BB4_4959 Depth=2
	s_and_not1_saveexec_b32 s7, s28
	s_cbranch_execz .LBB4_6127
; %bb.6122:                             ;   in Loop: Header=BB4_4959 Depth=2
	s_mov_b32 s28, exec_lo
                                        ; implicit-def: $vgpr41
	v_cmpx_ne_u64_e32 0, v[86:87]
	s_xor_b32 s28, exec_lo, s28
; %bb.6123:                             ;   in Loop: Header=BB4_4959 Depth=2
	v_or_b32_e32 v41, 0x7f, v20
                                        ; implicit-def: $vgpr96
; %bb.6124:                             ;   in Loop: Header=BB4_4959 Depth=2
	s_and_not1_saveexec_b32 s28, s28
; %bb.6125:                             ;   in Loop: Header=BB4_4959 Depth=2
	v_cmp_lt_i32_e32 vcc_lo, -1, v96
	v_cndmask_b32_e32 v41, 0xfc, v110, vcc_lo
; %bb.6126:                             ;   in Loop: Header=BB4_4959 Depth=2
	s_or_b32 exec_lo, exec_lo, s28
.LBB4_6127:                             ;   in Loop: Header=BB4_4959 Depth=2
	s_delay_alu instid0(SALU_CYCLE_1) | instskip(SKIP_3) | instid1(VALU_DEP_2)
	s_or_b32 exec_lo, exec_lo, s7
	v_lshrrev_b16 v86, 8, v2
	v_dual_mov_b32 v30, 0 :: v_dual_mov_b32 v96, 0
	s_mov_b32 s7, exec_lo
	v_cmpx_ne_u16_e32 0, v86
	s_cbranch_execz .LBB4_6137
; %bb.6128:                             ;   in Loop: Header=BB4_4959 Depth=2
	v_bfrev_b32_e32 v96, 1
	s_mov_b32 s28, exec_lo
	v_cmpx_ne_u16_e32 0x80, v86
	s_cbranch_execz .LBB4_6136
; %bb.6129:                             ;   in Loop: Header=BB4_4959 Depth=2
	v_and_b32_e32 v21, 0xffff, v86
	s_mov_b32 s29, exec_lo
                                        ; implicit-def: $vgpr96
	s_delay_alu instid0(VALU_DEP_1) | instskip(SKIP_1) | instid1(VALU_DEP_2)
	v_and_b32_e32 v24, 0x7c, v21
	v_and_b32_e32 v20, 3, v21
	v_cmpx_ne_u32_e32 0x7c, v24
	s_xor_b32 s29, exec_lo, s29
	s_cbranch_execz .LBB4_6133
; %bb.6130:                             ;   in Loop: Header=BB4_4959 Depth=2
	v_bfe_u32 v21, v21, 2, 5
	s_mov_b32 s40, exec_lo
	s_delay_alu instid0(VALU_DEP_1)
	v_cmpx_eq_u32_e32 0, v21
	s_cbranch_execz .LBB4_6132
; %bb.6131:                             ;   in Loop: Header=BB4_4959 Depth=2
	v_clz_i32_u32_e32 v20, v20
	s_delay_alu instid0(VALU_DEP_1) | instskip(SKIP_1) | instid1(VALU_DEP_2)
	v_min_u32_e32 v24, 32, v20
	v_mov_b32_e32 v87, v37
	v_subrev_nc_u32_e32 v20, 29, v24
	s_delay_alu instid0(VALU_DEP_1) | instskip(SKIP_1) | instid1(VALU_DEP_2)
	v_lshlrev_b64_e32 v[20:21], v20, v[86:87]
	v_sub_nc_u32_e32 v21, 30, v24
	v_and_b32_e32 v20, 3, v20
.LBB4_6132:                             ;   in Loop: Header=BB4_4959 Depth=2
	s_or_b32 exec_lo, exec_lo, s40
	v_lshlrev_b32_e32 v2, 16, v2
	s_delay_alu instid0(VALU_DEP_1) | instskip(NEXT) | instid1(VALU_DEP_1)
	v_and_b32_e32 v2, 0x80000000, v2
	v_lshl_add_u32 v2, v21, 23, v2
	s_delay_alu instid0(VALU_DEP_1) | instskip(NEXT) | instid1(VALU_DEP_1)
	v_lshl_or_b32 v2, v20, 21, v2
                                        ; implicit-def: $vgpr20
	v_add_nc_u32_e32 v96, 0x38000000, v2
                                        ; implicit-def: $vgpr2
.LBB4_6133:                             ;   in Loop: Header=BB4_4959 Depth=2
	s_and_not1_saveexec_b32 s29, s29
; %bb.6134:                             ;   in Loop: Header=BB4_4959 Depth=2
	v_cmp_lt_i16_e32 vcc_lo, -1, v2
	v_cndmask_b32_e32 v2, 0xff800000, v109, vcc_lo
	v_cmp_eq_u32_e32 vcc_lo, 0, v20
	s_delay_alu instid0(VALU_DEP_2)
	v_cndmask_b32_e32 v96, 0x7f800001, v2, vcc_lo
; %bb.6135:                             ;   in Loop: Header=BB4_4959 Depth=2
	s_or_b32 exec_lo, exec_lo, s29
.LBB4_6136:                             ;   in Loop: Header=BB4_4959 Depth=2
	s_delay_alu instid0(SALU_CYCLE_1)
	s_or_b32 exec_lo, exec_lo, s28
.LBB4_6137:                             ;   in Loop: Header=BB4_4959 Depth=2
	s_delay_alu instid0(SALU_CYCLE_1) | instskip(SKIP_2) | instid1(VALU_DEP_1)
	s_or_b32 exec_lo, exec_lo, s7
	v_lshrrev_b16 v86, 8, v15
	s_mov_b32 s7, exec_lo
	v_cmpx_ne_u16_e32 0, v86
	s_cbranch_execz .LBB4_6147
; %bb.6138:                             ;   in Loop: Header=BB4_4959 Depth=2
	v_bfrev_b32_e32 v30, 1
	s_mov_b32 s28, exec_lo
	v_cmpx_ne_u16_e32 0x80, v86
	s_cbranch_execz .LBB4_6146
; %bb.6139:                             ;   in Loop: Header=BB4_4959 Depth=2
	v_and_b32_e32 v20, 0xffff, v86
	s_mov_b32 s29, exec_lo
                                        ; implicit-def: $vgpr30
	s_delay_alu instid0(VALU_DEP_1) | instskip(SKIP_1) | instid1(VALU_DEP_2)
	v_and_b32_e32 v21, 0x7c, v20
	v_and_b32_e32 v2, 3, v20
	v_cmpx_ne_u32_e32 0x7c, v21
	s_xor_b32 s29, exec_lo, s29
	s_cbranch_execz .LBB4_6143
; %bb.6140:                             ;   in Loop: Header=BB4_4959 Depth=2
	v_bfe_u32 v20, v20, 2, 5
	s_mov_b32 s40, exec_lo
	s_delay_alu instid0(VALU_DEP_1)
	v_cmpx_eq_u32_e32 0, v20
; %bb.6141:                             ;   in Loop: Header=BB4_4959 Depth=2
	v_clz_i32_u32_e32 v2, v2
	s_delay_alu instid0(VALU_DEP_1) | instskip(SKIP_1) | instid1(VALU_DEP_2)
	v_min_u32_e32 v2, 32, v2
	v_mov_b32_e32 v87, v37
	v_subrev_nc_u32_e32 v20, 29, v2
	s_delay_alu instid0(VALU_DEP_1) | instskip(NEXT) | instid1(VALU_DEP_1)
	v_lshlrev_b64_e32 v[24:25], v20, v[86:87]
	v_dual_sub_nc_u32 v20, 30, v2 :: v_dual_bitop2_b32 v2, 3, v24 bitop3:0x40
; %bb.6142:                             ;   in Loop: Header=BB4_4959 Depth=2
	s_or_b32 exec_lo, exec_lo, s40
	v_lshlrev_b32_e32 v21, 16, v15
	s_delay_alu instid0(VALU_DEP_1) | instskip(NEXT) | instid1(VALU_DEP_1)
	v_and_b32_e32 v21, 0x80000000, v21
	v_lshl_add_u32 v20, v20, 23, v21
	s_delay_alu instid0(VALU_DEP_1) | instskip(NEXT) | instid1(VALU_DEP_1)
	v_lshl_or_b32 v2, v2, 21, v20
	v_add_nc_u32_e32 v30, 0x38000000, v2
                                        ; implicit-def: $vgpr2
.LBB4_6143:                             ;   in Loop: Header=BB4_4959 Depth=2
	s_and_not1_saveexec_b32 s29, s29
; %bb.6144:                             ;   in Loop: Header=BB4_4959 Depth=2
	v_cmp_lt_i16_e32 vcc_lo, -1, v15
	v_cndmask_b32_e32 v20, 0xff800000, v109, vcc_lo
	v_cmp_eq_u32_e32 vcc_lo, 0, v2
	s_delay_alu instid0(VALU_DEP_2)
	v_cndmask_b32_e32 v30, 0x7f800001, v20, vcc_lo
; %bb.6145:                             ;   in Loop: Header=BB4_4959 Depth=2
	s_or_b32 exec_lo, exec_lo, s29
.LBB4_6146:                             ;   in Loop: Header=BB4_4959 Depth=2
	s_delay_alu instid0(SALU_CYCLE_1)
	s_or_b32 exec_lo, exec_lo, s28
.LBB4_6147:                             ;   in Loop: Header=BB4_4959 Depth=2
	s_delay_alu instid0(SALU_CYCLE_1) | instskip(NEXT) | instid1(VALU_DEP_1)
	s_or_b32 exec_lo, exec_lo, s7
	v_dual_add_f32 v30, v96, v30 :: v_dual_mov_b32 v21, v37
	v_mov_b32_e32 v87, v37
                                        ; implicit-def: $vgpr56
	s_mov_b32 s7, exec_lo
	s_delay_alu instid0(VALU_DEP_2) | instskip(SKIP_2) | instid1(VALU_DEP_3)
	v_and_b32_e32 v20, 0x7f800000, v30
	v_and_b32_e32 v86, 0x7fffff, v30
	v_lshrrev_b32_e32 v2, 24, v30
	v_cmpx_ne_u64_e32 0x7f800000, v[20:21]
	s_xor_b32 s28, exec_lo, s7
	s_cbranch_execz .LBB4_6161
; %bb.6148:                             ;   in Loop: Header=BB4_4959 Depth=2
	v_and_b32_e32 v20, 0x7fffffff, v30
	v_mov_b32_e32 v21, v37
	v_and_b32_e32 v2, 0x80, v2
                                        ; implicit-def: $vgpr56
	s_mov_b32 s7, exec_lo
	s_delay_alu instid0(VALU_DEP_2)
	v_cmpx_gt_u64_e32 0x47600001, v[20:21]
	s_xor_b32 s29, exec_lo, s7
	s_cbranch_execz .LBB4_6158
; %bb.6149:                             ;   in Loop: Header=BB4_4959 Depth=2
	v_mov_b32_e32 v56, 0
	s_mov_b32 s40, exec_lo
	v_cmpx_ne_u32_e32 0, v30
	s_cbranch_execz .LBB4_6157
; %bb.6150:                             ;   in Loop: Header=BB4_4959 Depth=2
	v_bfe_u32 v20, v30, 23, 8
	v_or_b32_e32 v30, 0x800000, v86
	s_mov_b32 s41, exec_lo
	s_delay_alu instid0(VALU_DEP_2) | instskip(SKIP_1) | instid1(VALU_DEP_2)
	v_sub_nc_u32_e32 v21, 0x71, v20
	v_cmp_gt_u32_e32 vcc_lo, 0x72, v20
	v_cndmask_b32_e32 v21, 0, v21, vcc_lo
	v_cmp_eq_u32_e32 vcc_lo, 0, v20
	s_delay_alu instid0(VALU_DEP_2) | instskip(NEXT) | instid1(VALU_DEP_1)
	v_cndmask_b32_e64 v21, v21, 0x70, vcc_lo
	v_dual_cndmask_b32 v86, v30, v86, vcc_lo :: v_dual_add_nc_u32 v24, 21, v21
	v_add_nc_u32_e32 v31, 20, v21
	s_delay_alu instid0(VALU_DEP_2) | instskip(NEXT) | instid1(VALU_DEP_2)
	v_lshlrev_b64_e64 v[24:25], v24, -1
	v_lshlrev_b64_e64 v[30:31], v31, 1
	s_delay_alu instid0(VALU_DEP_2) | instskip(SKIP_1) | instid1(VALU_DEP_4)
	v_bfi_b32 v24, v24, 0, v86
	v_lshrrev_b64 v[86:87], v21, v[86:87]
	v_bfi_b32 v25, v25, 0, 0
	s_delay_alu instid0(VALU_DEP_2) | instskip(NEXT) | instid1(VALU_DEP_2)
	v_mov_b64_e32 v[96:97], v[86:87]
	v_cmpx_eq_u64_e64 v[24:25], v[30:31]
; %bb.6151:                             ;   in Loop: Header=BB4_4959 Depth=2
	v_bfe_u32 v24, v86, 21, 1
	v_mov_b32_e32 v25, v37
	s_delay_alu instid0(VALU_DEP_1) | instskip(NEXT) | instid1(VALU_DEP_1)
	v_add_nc_u64_e32 v[24:25], v[86:87], v[24:25]
	v_add_nc_u64_e32 v[96:97], -1, v[24:25]
; %bb.6152:                             ;   in Loop: Header=BB4_4959 Depth=2
	s_or_b32 exec_lo, exec_lo, s41
	v_dual_mov_b32 v87, v37 :: v_dual_add_nc_u32 v20, 0xffffff81, v20
	v_lshrrev_b32_e32 v24, 23, v86
	s_mov_b32 s7, exec_lo
	s_delay_alu instid0(VALU_DEP_2) | instskip(NEXT) | instid1(VALU_DEP_1)
	v_cndmask_b32_e64 v20, v20, 0xffffff82, vcc_lo
	v_add3_u32 v21, v21, v20, v24
	v_and_b32_e32 v20, 0x1fffff, v96
	s_delay_alu instid0(VALU_DEP_1) | instskip(NEXT) | instid1(VALU_DEP_1)
	v_dual_add_nc_u32 v30, 14, v21 :: v_dual_add_nc_u32 v86, v20, v86
                                        ; implicit-def: $vgpr20
	v_cmpx_ne_u32_e32 0, v30
	s_xor_b32 s7, exec_lo, s7
; %bb.6153:                             ;   in Loop: Header=BB4_4959 Depth=2
	s_delay_alu instid0(VALU_DEP_2) | instskip(SKIP_2) | instid1(VALU_DEP_2)
	v_cmp_lt_u64_e32 vcc_lo, 0xffffff, v[86:87]
	v_add_nc_u32_e32 v20, 15, v21
	v_cndmask_b32_e64 v21, 0, 1, vcc_lo
	v_cndmask_b32_e32 v20, v30, v20, vcc_lo
	s_delay_alu instid0(VALU_DEP_2)
	v_lshrrev_b64 v[86:87], v21, v[86:87]
; %bb.6154:                             ;   in Loop: Header=BB4_4959 Depth=2
	s_and_not1_saveexec_b32 s7, s7
; %bb.6155:                             ;   in Loop: Header=BB4_4959 Depth=2
	s_delay_alu instid0(VALU_DEP_1)
	v_bfe_u32 v20, v86, 23, 1
; %bb.6156:                             ;   in Loop: Header=BB4_4959 Depth=2
	s_or_b32 exec_lo, exec_lo, s7
	s_delay_alu instid0(VALU_DEP_2) | instskip(NEXT) | instid1(VALU_DEP_2)
	v_lshrrev_b64 v[24:25], 21, v[86:87]
	v_cmp_gt_i32_e32 vcc_lo, 32, v20
	v_min_i32_e32 v21, 31, v20
	v_cmp_eq_u32_e64 s7, 0, v20
	s_delay_alu instid0(VALU_DEP_4) | instskip(NEXT) | instid1(VALU_DEP_3)
	v_cndmask_b32_e32 v25, 0, v25, vcc_lo
	v_dual_cndmask_b32 v24, 3, v24 :: v_dual_lshlrev_b32 v21, 2, v21
	s_delay_alu instid0(VALU_DEP_1) | instskip(NEXT) | instid1(VALU_DEP_2)
	v_and_b32_e32 v21, 0xfc, v21
	v_cmp_eq_u64_e32 vcc_lo, 0, v[24:25]
	s_delay_alu instid0(VALU_DEP_2)
	v_and_or_b32 v20, v24, 3, v21
	s_and_b32 s7, s7, vcc_lo
	s_delay_alu instid0(VALU_DEP_1) | instid1(SALU_CYCLE_1)
	v_cndmask_b32_e64 v20, v20, 0, s7
	s_delay_alu instid0(VALU_DEP_1)
	v_or_b32_e32 v56, v20, v2
.LBB4_6157:                             ;   in Loop: Header=BB4_4959 Depth=2
	s_or_b32 exec_lo, exec_lo, s40
                                        ; implicit-def: $vgpr2
.LBB4_6158:                             ;   in Loop: Header=BB4_4959 Depth=2
	s_and_not1_saveexec_b32 s7, s29
; %bb.6159:                             ;   in Loop: Header=BB4_4959 Depth=2
	v_or_b32_e32 v56, 0x7b, v2
; %bb.6160:                             ;   in Loop: Header=BB4_4959 Depth=2
	s_or_b32 exec_lo, exec_lo, s7
                                        ; implicit-def: $vgpr30
                                        ; implicit-def: $vgpr86_vgpr87
                                        ; implicit-def: $vgpr2
.LBB4_6161:                             ;   in Loop: Header=BB4_4959 Depth=2
	s_and_not1_saveexec_b32 s7, s28
	s_cbranch_execz .LBB4_6167
; %bb.6162:                             ;   in Loop: Header=BB4_4959 Depth=2
	s_mov_b32 s28, exec_lo
                                        ; implicit-def: $vgpr56
	v_cmpx_ne_u64_e32 0, v[86:87]
	s_xor_b32 s28, exec_lo, s28
; %bb.6163:                             ;   in Loop: Header=BB4_4959 Depth=2
	v_or_b32_e32 v56, 0x7f, v2
                                        ; implicit-def: $vgpr30
; %bb.6164:                             ;   in Loop: Header=BB4_4959 Depth=2
	s_and_not1_saveexec_b32 s28, s28
; %bb.6165:                             ;   in Loop: Header=BB4_4959 Depth=2
	v_cmp_lt_i32_e32 vcc_lo, -1, v30
	v_cndmask_b32_e32 v56, 0xfc, v110, vcc_lo
; %bb.6166:                             ;   in Loop: Header=BB4_4959 Depth=2
	s_or_b32 exec_lo, exec_lo, s28
.LBB4_6167:                             ;   in Loop: Header=BB4_4959 Depth=2
	s_delay_alu instid0(SALU_CYCLE_1) | instskip(SKIP_3) | instid1(VALU_DEP_2)
	s_or_b32 exec_lo, exec_lo, s7
	v_dual_lshrrev_b32 v30, 16, v36 :: v_dual_mov_b32 v2, 0
	v_mov_b32_e32 v86, 0
	s_mov_b32 s7, exec_lo
	v_and_b32_e32 v20, 0xff, v30
	s_delay_alu instid0(VALU_DEP_1)
	v_cmpx_ne_u16_e32 0, v20
	s_cbranch_execz .LBB4_6177
; %bb.6168:                             ;   in Loop: Header=BB4_4959 Depth=2
	v_bfrev_b32_e32 v86, 1
	s_mov_b32 s28, exec_lo
	v_cmpx_ne_u16_e32 0x80, v20
	s_cbranch_execz .LBB4_6176
; %bb.6169:                             ;   in Loop: Header=BB4_4959 Depth=2
	v_and_b32_e32 v21, 0x7c0000, v36
	v_bfe_u32 v20, v36, 16, 2
	s_mov_b32 s29, exec_lo
                                        ; implicit-def: $vgpr86
	s_delay_alu instid0(VALU_DEP_2)
	v_cmpx_ne_u32_e32 0x7c0000, v21
	s_xor_b32 s29, exec_lo, s29
	s_cbranch_execz .LBB4_6173
; %bb.6170:                             ;   in Loop: Header=BB4_4959 Depth=2
	v_bfe_u32 v21, v36, 18, 5
	s_mov_b32 s40, exec_lo
	s_delay_alu instid0(VALU_DEP_1)
	v_cmpx_eq_u32_e32 0, v21
; %bb.6171:                             ;   in Loop: Header=BB4_4959 Depth=2
	v_clz_i32_u32_e32 v20, v20
	s_delay_alu instid0(VALU_DEP_1) | instskip(NEXT) | instid1(VALU_DEP_1)
	v_min_u32_e32 v24, 32, v20
	v_subrev_nc_u32_e32 v20, 29, v24
	s_delay_alu instid0(VALU_DEP_1) | instskip(SKIP_1) | instid1(VALU_DEP_2)
	v_lshlrev_b64_e32 v[20:21], v20, v[30:31]
	v_sub_nc_u32_e32 v21, 30, v24
	v_and_b32_e32 v20, 3, v20
; %bb.6172:                             ;   in Loop: Header=BB4_4959 Depth=2
	s_or_b32 exec_lo, exec_lo, s40
	v_lshlrev_b32_e32 v24, 24, v30
                                        ; implicit-def: $vgpr30
	s_delay_alu instid0(VALU_DEP_1) | instskip(NEXT) | instid1(VALU_DEP_1)
	v_and_b32_e32 v24, 0x80000000, v24
	v_lshl_add_u32 v21, v21, 23, v24
	s_delay_alu instid0(VALU_DEP_1) | instskip(NEXT) | instid1(VALU_DEP_1)
	v_lshl_or_b32 v20, v20, 21, v21
	v_add_nc_u32_e32 v86, 0x38000000, v20
                                        ; implicit-def: $vgpr20
.LBB4_6173:                             ;   in Loop: Header=BB4_4959 Depth=2
	s_and_not1_saveexec_b32 s29, s29
; %bb.6174:                             ;   in Loop: Header=BB4_4959 Depth=2
	v_bfe_i32 v21, v30, 0, 8
	s_delay_alu instid0(VALU_DEP_1) | instskip(SKIP_2) | instid1(VALU_DEP_2)
	v_cmp_lt_i16_e32 vcc_lo, -1, v21
	v_cndmask_b32_e32 v21, 0xff800000, v109, vcc_lo
	v_cmp_eq_u32_e32 vcc_lo, 0, v20
	v_cndmask_b32_e32 v86, 0x7f800001, v21, vcc_lo
; %bb.6175:                             ;   in Loop: Header=BB4_4959 Depth=2
	s_or_b32 exec_lo, exec_lo, s29
.LBB4_6176:                             ;   in Loop: Header=BB4_4959 Depth=2
	s_delay_alu instid0(SALU_CYCLE_1)
	s_or_b32 exec_lo, exec_lo, s28
.LBB4_6177:                             ;   in Loop: Header=BB4_4959 Depth=2
	s_delay_alu instid0(SALU_CYCLE_1) | instskip(SKIP_2) | instid1(VALU_DEP_1)
	s_or_b32 exec_lo, exec_lo, s7
	v_lshrrev_b32_e32 v30, 16, v15
	s_mov_b32 s7, exec_lo
	v_and_b32_e32 v20, 0xff, v30
	s_delay_alu instid0(VALU_DEP_1)
	v_cmpx_ne_u16_e32 0, v20
	s_cbranch_execz .LBB4_6187
; %bb.6178:                             ;   in Loop: Header=BB4_4959 Depth=2
	v_bfrev_b32_e32 v2, 1
	s_mov_b32 s28, exec_lo
	v_cmpx_ne_u16_e32 0x80, v20
	s_cbranch_execz .LBB4_6186
; %bb.6179:                             ;   in Loop: Header=BB4_4959 Depth=2
	v_and_b32_e32 v2, 0x7c0000, v15
	v_bfe_u32 v20, v15, 16, 2
	s_delay_alu instid0(VALU_DEP_2) | instskip(SKIP_1) | instid1(SALU_CYCLE_1)
	v_cmp_ne_u32_e32 vcc_lo, 0x7c0000, v2
                                        ; implicit-def: $vgpr2
	s_and_saveexec_b32 s29, vcc_lo
	s_xor_b32 s29, exec_lo, s29
	s_cbranch_execz .LBB4_6183
; %bb.6180:                             ;   in Loop: Header=BB4_4959 Depth=2
	v_bfe_u32 v2, v15, 18, 5
	s_mov_b32 s40, exec_lo
	s_delay_alu instid0(VALU_DEP_1)
	v_cmpx_eq_u32_e32 0, v2
; %bb.6181:                             ;   in Loop: Header=BB4_4959 Depth=2
	v_clz_i32_u32_e32 v2, v20
	s_delay_alu instid0(VALU_DEP_1) | instskip(NEXT) | instid1(VALU_DEP_1)
	v_min_u32_e32 v2, 32, v2
	v_subrev_nc_u32_e32 v20, 29, v2
	s_delay_alu instid0(VALU_DEP_1) | instskip(NEXT) | instid1(VALU_DEP_1)
	v_lshlrev_b64_e32 v[20:21], v20, v[30:31]
	v_dual_sub_nc_u32 v2, 30, v2 :: v_dual_bitop2_b32 v20, 3, v20 bitop3:0x40
; %bb.6182:                             ;   in Loop: Header=BB4_4959 Depth=2
	s_or_b32 exec_lo, exec_lo, s40
	v_lshlrev_b32_e32 v21, 24, v30
                                        ; implicit-def: $vgpr30
	s_delay_alu instid0(VALU_DEP_1) | instskip(NEXT) | instid1(VALU_DEP_1)
	v_and_b32_e32 v21, 0x80000000, v21
	v_lshl_add_u32 v2, v2, 23, v21
	s_delay_alu instid0(VALU_DEP_1) | instskip(NEXT) | instid1(VALU_DEP_1)
	v_lshl_or_b32 v2, v20, 21, v2
                                        ; implicit-def: $vgpr20
	v_add_nc_u32_e32 v2, 0x38000000, v2
.LBB4_6183:                             ;   in Loop: Header=BB4_4959 Depth=2
	s_and_not1_saveexec_b32 s29, s29
; %bb.6184:                             ;   in Loop: Header=BB4_4959 Depth=2
	v_bfe_i32 v2, v30, 0, 8
	s_delay_alu instid0(VALU_DEP_1) | instskip(SKIP_2) | instid1(VALU_DEP_2)
	v_cmp_lt_i16_e32 vcc_lo, -1, v2
	v_cndmask_b32_e32 v2, 0xff800000, v109, vcc_lo
	v_cmp_eq_u32_e32 vcc_lo, 0, v20
	v_cndmask_b32_e32 v2, 0x7f800001, v2, vcc_lo
; %bb.6185:                             ;   in Loop: Header=BB4_4959 Depth=2
	s_or_b32 exec_lo, exec_lo, s29
.LBB4_6186:                             ;   in Loop: Header=BB4_4959 Depth=2
	s_delay_alu instid0(SALU_CYCLE_1)
	s_or_b32 exec_lo, exec_lo, s28
.LBB4_6187:                             ;   in Loop: Header=BB4_4959 Depth=2
	s_delay_alu instid0(SALU_CYCLE_1) | instskip(NEXT) | instid1(VALU_DEP_1)
	s_or_b32 exec_lo, exec_lo, s7
	v_dual_add_f32 v30, v86, v2 :: v_dual_mov_b32 v21, v37
	v_mov_b32_e32 v87, v37
                                        ; implicit-def: $vgpr96
	s_mov_b32 s7, exec_lo
	s_delay_alu instid0(VALU_DEP_2) | instskip(SKIP_2) | instid1(VALU_DEP_3)
	v_and_b32_e32 v20, 0x7f800000, v30
	v_and_b32_e32 v86, 0x7fffff, v30
	v_lshrrev_b32_e32 v2, 24, v30
	v_cmpx_ne_u64_e32 0x7f800000, v[20:21]
	s_xor_b32 s28, exec_lo, s7
	s_cbranch_execz .LBB4_6201
; %bb.6188:                             ;   in Loop: Header=BB4_4959 Depth=2
	v_and_b32_e32 v20, 0x7fffffff, v30
	v_mov_b32_e32 v21, v37
	v_and_b32_e32 v2, 0x80, v2
                                        ; implicit-def: $vgpr96
	s_mov_b32 s7, exec_lo
	s_delay_alu instid0(VALU_DEP_2)
	v_cmpx_gt_u64_e32 0x47600001, v[20:21]
	s_xor_b32 s29, exec_lo, s7
	s_cbranch_execz .LBB4_6198
; %bb.6189:                             ;   in Loop: Header=BB4_4959 Depth=2
	v_mov_b32_e32 v96, 0
	s_mov_b32 s40, exec_lo
	v_cmpx_ne_u32_e32 0, v30
	s_cbranch_execz .LBB4_6197
; %bb.6190:                             ;   in Loop: Header=BB4_4959 Depth=2
	v_bfe_u32 v20, v30, 23, 8
	v_or_b32_e32 v30, 0x800000, v86
	s_mov_b32 s41, exec_lo
	s_delay_alu instid0(VALU_DEP_2) | instskip(SKIP_1) | instid1(VALU_DEP_2)
	v_sub_nc_u32_e32 v21, 0x71, v20
	v_cmp_gt_u32_e32 vcc_lo, 0x72, v20
	v_cndmask_b32_e32 v21, 0, v21, vcc_lo
	v_cmp_eq_u32_e32 vcc_lo, 0, v20
	s_delay_alu instid0(VALU_DEP_2) | instskip(NEXT) | instid1(VALU_DEP_1)
	v_cndmask_b32_e64 v21, v21, 0x70, vcc_lo
	v_dual_cndmask_b32 v86, v30, v86, vcc_lo :: v_dual_add_nc_u32 v24, 21, v21
	v_add_nc_u32_e32 v31, 20, v21
	s_delay_alu instid0(VALU_DEP_2) | instskip(NEXT) | instid1(VALU_DEP_2)
	v_lshlrev_b64_e64 v[24:25], v24, -1
	v_lshlrev_b64_e64 v[30:31], v31, 1
	s_delay_alu instid0(VALU_DEP_2) | instskip(SKIP_1) | instid1(VALU_DEP_4)
	v_bfi_b32 v24, v24, 0, v86
	v_lshrrev_b64 v[86:87], v21, v[86:87]
	v_bfi_b32 v25, v25, 0, 0
	s_delay_alu instid0(VALU_DEP_2) | instskip(NEXT) | instid1(VALU_DEP_2)
	v_mov_b64_e32 v[96:97], v[86:87]
	v_cmpx_eq_u64_e64 v[24:25], v[30:31]
; %bb.6191:                             ;   in Loop: Header=BB4_4959 Depth=2
	v_bfe_u32 v24, v86, 21, 1
	v_mov_b32_e32 v25, v37
	s_delay_alu instid0(VALU_DEP_1) | instskip(NEXT) | instid1(VALU_DEP_1)
	v_add_nc_u64_e32 v[24:25], v[86:87], v[24:25]
	v_add_nc_u64_e32 v[96:97], -1, v[24:25]
; %bb.6192:                             ;   in Loop: Header=BB4_4959 Depth=2
	s_or_b32 exec_lo, exec_lo, s41
	v_dual_mov_b32 v87, v37 :: v_dual_add_nc_u32 v20, 0xffffff81, v20
	v_lshrrev_b32_e32 v24, 23, v86
	s_mov_b32 s7, exec_lo
	s_delay_alu instid0(VALU_DEP_2) | instskip(NEXT) | instid1(VALU_DEP_1)
	v_cndmask_b32_e64 v20, v20, 0xffffff82, vcc_lo
	v_add3_u32 v21, v21, v20, v24
	v_and_b32_e32 v20, 0x1fffff, v96
	s_delay_alu instid0(VALU_DEP_1) | instskip(NEXT) | instid1(VALU_DEP_1)
	v_dual_add_nc_u32 v30, 14, v21 :: v_dual_add_nc_u32 v86, v20, v86
                                        ; implicit-def: $vgpr20
	v_cmpx_ne_u32_e32 0, v30
	s_xor_b32 s7, exec_lo, s7
; %bb.6193:                             ;   in Loop: Header=BB4_4959 Depth=2
	s_delay_alu instid0(VALU_DEP_2) | instskip(SKIP_2) | instid1(VALU_DEP_2)
	v_cmp_lt_u64_e32 vcc_lo, 0xffffff, v[86:87]
	v_add_nc_u32_e32 v20, 15, v21
	v_cndmask_b32_e64 v21, 0, 1, vcc_lo
	v_cndmask_b32_e32 v20, v30, v20, vcc_lo
	s_delay_alu instid0(VALU_DEP_2)
	v_lshrrev_b64 v[86:87], v21, v[86:87]
; %bb.6194:                             ;   in Loop: Header=BB4_4959 Depth=2
	s_and_not1_saveexec_b32 s7, s7
; %bb.6195:                             ;   in Loop: Header=BB4_4959 Depth=2
	s_delay_alu instid0(VALU_DEP_1)
	v_bfe_u32 v20, v86, 23, 1
; %bb.6196:                             ;   in Loop: Header=BB4_4959 Depth=2
	s_or_b32 exec_lo, exec_lo, s7
	s_delay_alu instid0(VALU_DEP_2) | instskip(NEXT) | instid1(VALU_DEP_2)
	v_lshrrev_b64 v[24:25], 21, v[86:87]
	v_cmp_gt_i32_e32 vcc_lo, 32, v20
	v_min_i32_e32 v21, 31, v20
	v_cmp_eq_u32_e64 s7, 0, v20
	s_delay_alu instid0(VALU_DEP_4) | instskip(NEXT) | instid1(VALU_DEP_3)
	v_cndmask_b32_e32 v25, 0, v25, vcc_lo
	v_dual_cndmask_b32 v24, 3, v24 :: v_dual_lshlrev_b32 v21, 2, v21
	s_delay_alu instid0(VALU_DEP_1) | instskip(NEXT) | instid1(VALU_DEP_2)
	v_and_b32_e32 v21, 0xfc, v21
	v_cmp_eq_u64_e32 vcc_lo, 0, v[24:25]
	s_delay_alu instid0(VALU_DEP_2)
	v_and_or_b32 v20, v24, 3, v21
	s_and_b32 s7, s7, vcc_lo
	s_delay_alu instid0(VALU_DEP_1) | instid1(SALU_CYCLE_1)
	v_cndmask_b32_e64 v20, v20, 0, s7
	s_delay_alu instid0(VALU_DEP_1)
	v_or_b32_e32 v96, v20, v2
.LBB4_6197:                             ;   in Loop: Header=BB4_4959 Depth=2
	s_or_b32 exec_lo, exec_lo, s40
                                        ; implicit-def: $vgpr2
.LBB4_6198:                             ;   in Loop: Header=BB4_4959 Depth=2
	s_and_not1_saveexec_b32 s7, s29
; %bb.6199:                             ;   in Loop: Header=BB4_4959 Depth=2
	v_or_b32_e32 v96, 0x7b, v2
; %bb.6200:                             ;   in Loop: Header=BB4_4959 Depth=2
	s_or_b32 exec_lo, exec_lo, s7
                                        ; implicit-def: $vgpr30
                                        ; implicit-def: $vgpr86_vgpr87
                                        ; implicit-def: $vgpr2
.LBB4_6201:                             ;   in Loop: Header=BB4_4959 Depth=2
	s_and_not1_saveexec_b32 s7, s28
	s_cbranch_execz .LBB4_6207
; %bb.6202:                             ;   in Loop: Header=BB4_4959 Depth=2
	s_mov_b32 s28, exec_lo
                                        ; implicit-def: $vgpr96
	v_cmpx_ne_u64_e32 0, v[86:87]
	s_xor_b32 s28, exec_lo, s28
; %bb.6203:                             ;   in Loop: Header=BB4_4959 Depth=2
	v_or_b32_e32 v96, 0x7f, v2
                                        ; implicit-def: $vgpr30
; %bb.6204:                             ;   in Loop: Header=BB4_4959 Depth=2
	s_and_not1_saveexec_b32 s28, s28
; %bb.6205:                             ;   in Loop: Header=BB4_4959 Depth=2
	v_cmp_lt_i32_e32 vcc_lo, -1, v30
	v_cndmask_b32_e32 v96, 0xfc, v110, vcc_lo
; %bb.6206:                             ;   in Loop: Header=BB4_4959 Depth=2
	s_or_b32 exec_lo, exec_lo, s28
.LBB4_6207:                             ;   in Loop: Header=BB4_4959 Depth=2
	s_delay_alu instid0(SALU_CYCLE_1)
	s_or_b32 exec_lo, exec_lo, s7
	v_dual_mov_b32 v2, 0 :: v_dual_mov_b32 v86, 0
	s_mov_b32 s7, exec_lo
	v_cmpx_lt_u32_e32 0xffffff, v36
	s_cbranch_execz .LBB4_6217
; %bb.6208:                             ;   in Loop: Header=BB4_4959 Depth=2
	v_lshrrev_b32_e32 v30, 24, v36
	v_bfrev_b32_e32 v86, 1
	s_mov_b32 s28, exec_lo
	s_delay_alu instid0(VALU_DEP_2)
	v_cmpx_ne_u32_e32 0x80, v30
	s_cbranch_execz .LBB4_6216
; %bb.6209:                             ;   in Loop: Header=BB4_4959 Depth=2
	v_and_b32_e32 v21, 0x7c000000, v36
	v_bfe_u32 v20, v36, 24, 2
	s_mov_b32 s29, exec_lo
                                        ; implicit-def: $vgpr86
	s_delay_alu instid0(VALU_DEP_2)
	v_cmpx_ne_u32_e32 0x7c000000, v21
	s_xor_b32 s29, exec_lo, s29
	s_cbranch_execz .LBB4_6213
; %bb.6210:                             ;   in Loop: Header=BB4_4959 Depth=2
	v_bfe_u32 v21, v36, 26, 5
	s_mov_b32 s40, exec_lo
	s_delay_alu instid0(VALU_DEP_1)
	v_cmpx_eq_u32_e32 0, v21
; %bb.6211:                             ;   in Loop: Header=BB4_4959 Depth=2
	v_clz_i32_u32_e32 v20, v20
	s_delay_alu instid0(VALU_DEP_1) | instskip(NEXT) | instid1(VALU_DEP_1)
	v_min_u32_e32 v24, 32, v20
	v_subrev_nc_u32_e32 v20, 29, v24
	s_delay_alu instid0(VALU_DEP_1) | instskip(SKIP_1) | instid1(VALU_DEP_2)
	v_lshlrev_b64_e32 v[20:21], v20, v[30:31]
	v_sub_nc_u32_e32 v21, 30, v24
	v_and_b32_e32 v20, 3, v20
; %bb.6212:                             ;   in Loop: Header=BB4_4959 Depth=2
	s_or_b32 exec_lo, exec_lo, s40
	v_and_b32_e32 v24, 0x80000000, v36
	s_delay_alu instid0(VALU_DEP_1) | instskip(NEXT) | instid1(VALU_DEP_1)
	v_lshl_add_u32 v21, v21, 23, v24
	v_lshl_or_b32 v20, v20, 21, v21
	s_delay_alu instid0(VALU_DEP_1)
	v_add_nc_u32_e32 v86, 0x38000000, v20
                                        ; implicit-def: $vgpr20
.LBB4_6213:                             ;   in Loop: Header=BB4_4959 Depth=2
	s_and_not1_saveexec_b32 s29, s29
; %bb.6214:                             ;   in Loop: Header=BB4_4959 Depth=2
	v_cmp_lt_i32_e32 vcc_lo, -1, v36
	v_cndmask_b32_e32 v21, 0xff800000, v109, vcc_lo
	v_cmp_eq_u32_e32 vcc_lo, 0, v20
	s_delay_alu instid0(VALU_DEP_2)
	v_cndmask_b32_e32 v86, 0x7f800001, v21, vcc_lo
; %bb.6215:                             ;   in Loop: Header=BB4_4959 Depth=2
	s_or_b32 exec_lo, exec_lo, s29
.LBB4_6216:                             ;   in Loop: Header=BB4_4959 Depth=2
	s_delay_alu instid0(SALU_CYCLE_1)
	s_or_b32 exec_lo, exec_lo, s28
.LBB4_6217:                             ;   in Loop: Header=BB4_4959 Depth=2
	s_delay_alu instid0(SALU_CYCLE_1) | instskip(NEXT) | instid1(SALU_CYCLE_1)
	s_or_b32 exec_lo, exec_lo, s7
	s_mov_b32 s7, exec_lo
	v_cmpx_lt_u64_e64 s[12:13], v[14:15]
	s_cbranch_execz .LBB4_6227
; %bb.6218:                             ;   in Loop: Header=BB4_4959 Depth=2
	v_lshrrev_b32_e32 v30, 24, v15
	v_bfrev_b32_e32 v2, 1
	s_mov_b32 s28, exec_lo
	s_delay_alu instid0(VALU_DEP_2)
	v_cmpx_ne_u32_e32 0x80, v30
	s_cbranch_execz .LBB4_6226
; %bb.6219:                             ;   in Loop: Header=BB4_4959 Depth=2
	v_and_b32_e32 v2, 0x7c000000, v15
	v_bfe_u32 v20, v15, 24, 2
	s_delay_alu instid0(VALU_DEP_2) | instskip(SKIP_1) | instid1(SALU_CYCLE_1)
	v_cmp_ne_u32_e32 vcc_lo, 0x7c000000, v2
                                        ; implicit-def: $vgpr2
	s_and_saveexec_b32 s29, vcc_lo
	s_xor_b32 s29, exec_lo, s29
	s_cbranch_execz .LBB4_6223
; %bb.6220:                             ;   in Loop: Header=BB4_4959 Depth=2
	v_bfe_u32 v2, v15, 26, 5
	s_mov_b32 s40, exec_lo
	s_delay_alu instid0(VALU_DEP_1)
	v_cmpx_eq_u32_e32 0, v2
; %bb.6221:                             ;   in Loop: Header=BB4_4959 Depth=2
	v_clz_i32_u32_e32 v2, v20
	s_delay_alu instid0(VALU_DEP_1) | instskip(NEXT) | instid1(VALU_DEP_1)
	v_min_u32_e32 v2, 32, v2
	v_subrev_nc_u32_e32 v20, 29, v2
	s_delay_alu instid0(VALU_DEP_1) | instskip(NEXT) | instid1(VALU_DEP_1)
	v_lshlrev_b64_e32 v[20:21], v20, v[30:31]
	v_dual_sub_nc_u32 v2, 30, v2 :: v_dual_bitop2_b32 v20, 3, v20 bitop3:0x40
; %bb.6222:                             ;   in Loop: Header=BB4_4959 Depth=2
	s_or_b32 exec_lo, exec_lo, s40
	v_and_b32_e32 v21, 0x80000000, v15
	s_delay_alu instid0(VALU_DEP_1) | instskip(NEXT) | instid1(VALU_DEP_1)
	v_lshl_add_u32 v2, v2, 23, v21
	v_lshl_or_b32 v2, v20, 21, v2
                                        ; implicit-def: $vgpr20
	s_delay_alu instid0(VALU_DEP_1)
	v_add_nc_u32_e32 v2, 0x38000000, v2
.LBB4_6223:                             ;   in Loop: Header=BB4_4959 Depth=2
	s_and_not1_saveexec_b32 s29, s29
; %bb.6224:                             ;   in Loop: Header=BB4_4959 Depth=2
	v_cmp_lt_i64_e32 vcc_lo, -1, v[14:15]
	v_cndmask_b32_e32 v2, 0xff800000, v109, vcc_lo
	v_cmp_eq_u32_e32 vcc_lo, 0, v20
	s_delay_alu instid0(VALU_DEP_2)
	v_cndmask_b32_e32 v2, 0x7f800001, v2, vcc_lo
; %bb.6225:                             ;   in Loop: Header=BB4_4959 Depth=2
	s_or_b32 exec_lo, exec_lo, s29
.LBB4_6226:                             ;   in Loop: Header=BB4_4959 Depth=2
	s_delay_alu instid0(SALU_CYCLE_1)
	s_or_b32 exec_lo, exec_lo, s28
.LBB4_6227:                             ;   in Loop: Header=BB4_4959 Depth=2
	s_delay_alu instid0(SALU_CYCLE_1) | instskip(NEXT) | instid1(VALU_DEP_1)
	s_or_b32 exec_lo, exec_lo, s7
	v_dual_add_f32 v14, v86, v2 :: v_dual_mov_b32 v21, v37
                                        ; implicit-def: $vgpr30
	s_mov_b32 s7, exec_lo
	s_delay_alu instid0(VALU_DEP_1) | instskip(SKIP_2) | instid1(VALU_DEP_3)
	v_and_b32_e32 v20, 0x7f800000, v14
	v_and_b32_e32 v36, 0x7fffff, v14
	v_lshrrev_b32_e32 v2, 24, v14
	v_cmpx_ne_u64_e32 0x7f800000, v[20:21]
	s_xor_b32 s28, exec_lo, s7
	s_cbranch_execz .LBB4_6241
; %bb.6228:                             ;   in Loop: Header=BB4_4959 Depth=2
	v_and_b32_e32 v20, 0x7fffffff, v14
	v_mov_b32_e32 v21, v37
	v_and_b32_e32 v2, 0x80, v2
                                        ; implicit-def: $vgpr30
	s_mov_b32 s7, exec_lo
	s_delay_alu instid0(VALU_DEP_2)
	v_cmpx_gt_u64_e32 0x47600001, v[20:21]
	s_xor_b32 s29, exec_lo, s7
	s_cbranch_execz .LBB4_6238
; %bb.6229:                             ;   in Loop: Header=BB4_4959 Depth=2
	v_mov_b32_e32 v30, 0
	s_mov_b32 s40, exec_lo
	v_cmpx_ne_u32_e32 0, v14
	s_cbranch_execz .LBB4_6237
; %bb.6230:                             ;   in Loop: Header=BB4_4959 Depth=2
	v_bfe_u32 v20, v14, 23, 8
	v_or_b32_e32 v24, 0x800000, v36
	s_delay_alu instid0(VALU_DEP_2) | instskip(SKIP_1) | instid1(VALU_DEP_2)
	v_dual_mov_b32 v25, v37 :: v_dual_sub_nc_u32 v14, 0x71, v20
	v_cmp_gt_u32_e32 vcc_lo, 0x72, v20
	v_cndmask_b32_e32 v14, 0, v14, vcc_lo
	v_cmp_eq_u32_e32 vcc_lo, 0, v20
	s_delay_alu instid0(VALU_DEP_2) | instskip(NEXT) | instid1(VALU_DEP_1)
	v_cndmask_b32_e64 v21, v14, 0x70, vcc_lo
	v_dual_cndmask_b32 v24, v24, v36, vcc_lo :: v_dual_add_nc_u32 v14, 21, v21
	v_add_nc_u32_e32 v30, 20, v21
	s_delay_alu instid0(VALU_DEP_2) | instskip(NEXT) | instid1(VALU_DEP_2)
	v_lshlrev_b64_e64 v[14:15], v14, -1
	v_lshlrev_b64_e64 v[30:31], v30, 1
	s_delay_alu instid0(VALU_DEP_2) | instskip(NEXT) | instid1(VALU_DEP_3)
	v_bfi_b32 v87, v15, 0, 0
	v_bfi_b32 v86, v14, 0, v24
	v_lshrrev_b64 v[14:15], v21, v[24:25]
	s_delay_alu instid0(VALU_DEP_2) | instskip(NEXT) | instid1(VALU_DEP_2)
	v_cmp_eq_u64_e64 s7, v[86:87], v[30:31]
	v_mov_b64_e32 v[86:87], v[14:15]
	s_and_saveexec_b32 s41, s7
; %bb.6231:                             ;   in Loop: Header=BB4_4959 Depth=2
	v_bfe_u32 v24, v14, 21, 1
	v_mov_b32_e32 v25, v37
	s_delay_alu instid0(VALU_DEP_1) | instskip(NEXT) | instid1(VALU_DEP_1)
	v_add_nc_u64_e32 v[24:25], v[14:15], v[24:25]
	v_add_nc_u64_e32 v[86:87], -1, v[24:25]
; %bb.6232:                             ;   in Loop: Header=BB4_4959 Depth=2
	s_or_b32 exec_lo, exec_lo, s41
	v_add_nc_u32_e32 v15, 0xffffff81, v20
	v_lshrrev_b32_e32 v20, 23, v14
	s_mov_b32 s7, exec_lo
	s_delay_alu instid0(VALU_DEP_2) | instskip(NEXT) | instid1(VALU_DEP_1)
	v_cndmask_b32_e64 v15, v15, 0xffffff82, vcc_lo
	v_add3_u32 v21, v21, v15, v20
	v_and_b32_e32 v15, 0x1fffff, v86
                                        ; implicit-def: $vgpr20
	s_delay_alu instid0(VALU_DEP_1) | instskip(NEXT) | instid1(VALU_DEP_1)
	v_dual_add_nc_u32 v30, 14, v21 :: v_dual_add_nc_u32 v36, v15, v14
                                        ; implicit-def: $vgpr14_vgpr15
	v_cmpx_ne_u32_e32 0, v30
	s_xor_b32 s7, exec_lo, s7
; %bb.6233:                             ;   in Loop: Header=BB4_4959 Depth=2
	s_delay_alu instid0(VALU_DEP_2) | instskip(SKIP_1) | instid1(VALU_DEP_1)
	v_cmp_lt_u64_e32 vcc_lo, 0xffffff, v[36:37]
	v_add_nc_u32_e32 v14, 15, v21
	v_cndmask_b32_e32 v20, v30, v14, vcc_lo
	v_cndmask_b32_e64 v14, 0, 1, vcc_lo
	s_delay_alu instid0(VALU_DEP_1)
	v_lshrrev_b64 v[14:15], v14, v[36:37]
; %bb.6234:                             ;   in Loop: Header=BB4_4959 Depth=2
	s_and_not1_saveexec_b32 s7, s7
; %bb.6235:                             ;   in Loop: Header=BB4_4959 Depth=2
	v_mov_b64_e32 v[14:15], v[36:37]
	v_bfe_u32 v20, v36, 23, 1
; %bb.6236:                             ;   in Loop: Header=BB4_4959 Depth=2
	s_or_b32 exec_lo, exec_lo, s7
	s_delay_alu instid0(VALU_DEP_2) | instskip(NEXT) | instid1(VALU_DEP_2)
	v_lshrrev_b64 v[14:15], 21, v[14:15]
	v_cmp_gt_i32_e32 vcc_lo, 32, v20
	v_min_i32_e32 v21, 31, v20
	v_cmp_eq_u32_e64 s7, 0, v20
	s_delay_alu instid0(VALU_DEP_2) | instskip(SKIP_1) | instid1(VALU_DEP_2)
	v_dual_cndmask_b32 v15, 0, v15, vcc_lo :: v_dual_lshlrev_b32 v21, 2, v21
	v_cndmask_b32_e32 v14, 3, v14, vcc_lo
	v_and_b32_e32 v21, 0xfc, v21
	s_delay_alu instid0(VALU_DEP_2) | instskip(NEXT) | instid1(VALU_DEP_2)
	v_cmp_eq_u64_e32 vcc_lo, 0, v[14:15]
	v_and_or_b32 v14, v14, 3, v21
	s_and_b32 s7, s7, vcc_lo
	s_delay_alu instid0(VALU_DEP_1) | instid1(SALU_CYCLE_1)
	v_cndmask_b32_e64 v14, v14, 0, s7
	s_delay_alu instid0(VALU_DEP_1)
	v_or_b32_e32 v30, v14, v2
.LBB4_6237:                             ;   in Loop: Header=BB4_4959 Depth=2
	s_or_b32 exec_lo, exec_lo, s40
                                        ; implicit-def: $vgpr2
.LBB4_6238:                             ;   in Loop: Header=BB4_4959 Depth=2
	s_and_not1_saveexec_b32 s7, s29
; %bb.6239:                             ;   in Loop: Header=BB4_4959 Depth=2
	v_or_b32_e32 v30, 0x7b, v2
; %bb.6240:                             ;   in Loop: Header=BB4_4959 Depth=2
	s_or_b32 exec_lo, exec_lo, s7
                                        ; implicit-def: $vgpr14
                                        ; implicit-def: $vgpr2
.LBB4_6241:                             ;   in Loop: Header=BB4_4959 Depth=2
	s_and_not1_saveexec_b32 s7, s28
	s_cbranch_execz .LBB4_6247
; %bb.6242:                             ;   in Loop: Header=BB4_4959 Depth=2
	s_mov_b32 s28, exec_lo
                                        ; implicit-def: $vgpr30
	v_cmpx_ne_u64_e32 0, v[36:37]
	s_xor_b32 s28, exec_lo, s28
; %bb.6243:                             ;   in Loop: Header=BB4_4959 Depth=2
	v_or_b32_e32 v30, 0x7f, v2
                                        ; implicit-def: $vgpr14
; %bb.6244:                             ;   in Loop: Header=BB4_4959 Depth=2
	s_and_not1_saveexec_b32 s28, s28
; %bb.6245:                             ;   in Loop: Header=BB4_4959 Depth=2
	v_cmp_lt_i32_e32 vcc_lo, -1, v14
	v_cndmask_b32_e32 v30, 0xfc, v110, vcc_lo
; %bb.6246:                             ;   in Loop: Header=BB4_4959 Depth=2
	s_or_b32 exec_lo, exec_lo, s28
.LBB4_6247:                             ;   in Loop: Header=BB4_4959 Depth=2
	s_delay_alu instid0(SALU_CYCLE_1) | instskip(SKIP_4) | instid1(VALU_DEP_2)
	s_or_b32 exec_lo, exec_lo, s7
	v_lshl_or_b32 v2, v59, 8, v46
	v_dual_lshlrev_b32 v15, 16, v61 :: v_dual_lshlrev_b32 v20, 24, v62
	v_mov_b32_e32 v14, 0
	s_mov_b32 s7, exec_lo
	v_or3_b32 v36, v15, v20, v2
	v_mov_b32_e32 v15, 0
	v_cmpx_ne_u32_e32 0, v46
	s_cbranch_execz .LBB4_6257
; %bb.6248:                             ;   in Loop: Header=BB4_4959 Depth=2
	v_bfrev_b32_e32 v15, 1
	s_mov_b32 s28, exec_lo
	v_cmpx_ne_u32_e32 0x80, v46
	s_cbranch_execz .LBB4_6256
; %bb.6249:                             ;   in Loop: Header=BB4_4959 Depth=2
	v_and_b32_e32 v15, 0x7c, v46
	v_and_b32_e32 v20, 3, v46
	s_delay_alu instid0(VALU_DEP_2) | instskip(SKIP_1) | instid1(SALU_CYCLE_1)
	v_cmp_ne_u32_e32 vcc_lo, 0x7c, v15
                                        ; implicit-def: $vgpr15
	s_and_saveexec_b32 s29, vcc_lo
	s_xor_b32 s29, exec_lo, s29
	s_cbranch_execz .LBB4_6253
; %bb.6250:                             ;   in Loop: Header=BB4_4959 Depth=2
	v_bfe_u32 v15, v46, 2, 5
	s_mov_b32 s40, exec_lo
	s_delay_alu instid0(VALU_DEP_1)
	v_cmpx_eq_u32_e32 0, v15
; %bb.6251:                             ;   in Loop: Header=BB4_4959 Depth=2
	v_clz_i32_u32_e32 v15, v20
	s_delay_alu instid0(VALU_DEP_1) | instskip(NEXT) | instid1(VALU_DEP_1)
	v_min_u32_e32 v15, 32, v15
	v_subrev_nc_u32_e32 v20, 29, v15
	s_delay_alu instid0(VALU_DEP_1) | instskip(NEXT) | instid1(VALU_DEP_1)
	v_lshlrev_b64_e32 v[20:21], v20, v[36:37]
	v_dual_sub_nc_u32 v15, 30, v15 :: v_dual_bitop2_b32 v20, 3, v20 bitop3:0x40
; %bb.6252:                             ;   in Loop: Header=BB4_4959 Depth=2
	s_or_b32 exec_lo, exec_lo, s40
	v_lshlrev_b32_e32 v21, 24, v46
                                        ; implicit-def: $vgpr46
	s_delay_alu instid0(VALU_DEP_1) | instskip(NEXT) | instid1(VALU_DEP_1)
	v_and_b32_e32 v21, 0x80000000, v21
	v_lshl_add_u32 v15, v15, 23, v21
	s_delay_alu instid0(VALU_DEP_1) | instskip(NEXT) | instid1(VALU_DEP_1)
	v_lshl_or_b32 v15, v20, 21, v15
                                        ; implicit-def: $vgpr20
	v_add_nc_u32_e32 v15, 0x38000000, v15
.LBB4_6253:                             ;   in Loop: Header=BB4_4959 Depth=2
	s_and_not1_saveexec_b32 s29, s29
; %bb.6254:                             ;   in Loop: Header=BB4_4959 Depth=2
	v_and_b32_e32 v15, 0x80, v46
	s_delay_alu instid0(VALU_DEP_1) | instskip(SKIP_2) | instid1(VALU_DEP_2)
	v_cmp_eq_u32_e32 vcc_lo, 0, v15
	v_cndmask_b32_e32 v15, 0xff800000, v109, vcc_lo
	v_cmp_eq_u32_e32 vcc_lo, 0, v20
	v_cndmask_b32_e32 v15, 0x7f800001, v15, vcc_lo
; %bb.6255:                             ;   in Loop: Header=BB4_4959 Depth=2
	s_or_b32 exec_lo, exec_lo, s29
.LBB4_6256:                             ;   in Loop: Header=BB4_4959 Depth=2
	s_delay_alu instid0(SALU_CYCLE_1)
	s_or_b32 exec_lo, exec_lo, s28
.LBB4_6257:                             ;   in Loop: Header=BB4_4959 Depth=2
	s_delay_alu instid0(SALU_CYCLE_1) | instskip(SKIP_2) | instid1(VALU_DEP_1)
	s_or_b32 exec_lo, exec_lo, s7
	v_and_b32_e32 v20, 0xff, v16
	s_mov_b32 s7, exec_lo
	v_cmpx_ne_u16_e32 0, v20
	s_cbranch_execz .LBB4_6267
; %bb.6258:                             ;   in Loop: Header=BB4_4959 Depth=2
	v_bfe_i32 v21, v16, 0, 8
	v_bfrev_b32_e32 v14, 1
	s_mov_b32 s28, exec_lo
	s_delay_alu instid0(VALU_DEP_2)
	v_cmpx_ne_u16_e32 0xff80, v21
	s_cbranch_execz .LBB4_6266
; %bb.6259:                             ;   in Loop: Header=BB4_4959 Depth=2
	v_and_b32_e32 v14, 0x7c, v16
	v_and_b32_e32 v20, 3, v16
	s_delay_alu instid0(VALU_DEP_2) | instskip(SKIP_1) | instid1(SALU_CYCLE_1)
	v_cmp_ne_u32_e32 vcc_lo, 0x7c, v14
                                        ; implicit-def: $vgpr14
	s_and_saveexec_b32 s29, vcc_lo
	s_xor_b32 s29, exec_lo, s29
	s_cbranch_execz .LBB4_6263
; %bb.6260:                             ;   in Loop: Header=BB4_4959 Depth=2
	v_bfe_u32 v14, v16, 2, 5
	s_mov_b32 s40, exec_lo
	s_delay_alu instid0(VALU_DEP_1)
	v_cmpx_eq_u32_e32 0, v14
; %bb.6261:                             ;   in Loop: Header=BB4_4959 Depth=2
	v_clz_i32_u32_e32 v14, v20
	s_delay_alu instid0(VALU_DEP_1) | instskip(NEXT) | instid1(VALU_DEP_1)
	v_min_u32_e32 v14, 32, v14
	v_subrev_nc_u32_e32 v20, 29, v14
	s_delay_alu instid0(VALU_DEP_1) | instskip(NEXT) | instid1(VALU_DEP_1)
	v_lshlrev_b64_e32 v[20:21], v20, v[16:17]
	v_dual_sub_nc_u32 v14, 30, v14 :: v_dual_bitop2_b32 v20, 3, v20 bitop3:0x40
; %bb.6262:                             ;   in Loop: Header=BB4_4959 Depth=2
	s_or_b32 exec_lo, exec_lo, s40
	v_lshlrev_b32_e32 v21, 24, v16
	s_delay_alu instid0(VALU_DEP_1) | instskip(NEXT) | instid1(VALU_DEP_1)
	v_and_b32_e32 v21, 0x80000000, v21
	v_lshl_add_u32 v14, v14, 23, v21
                                        ; implicit-def: $vgpr21
	s_delay_alu instid0(VALU_DEP_1) | instskip(NEXT) | instid1(VALU_DEP_1)
	v_lshl_or_b32 v14, v20, 21, v14
                                        ; implicit-def: $vgpr20
	v_add_nc_u32_e32 v14, 0x38000000, v14
.LBB4_6263:                             ;   in Loop: Header=BB4_4959 Depth=2
	s_and_not1_saveexec_b32 s29, s29
; %bb.6264:                             ;   in Loop: Header=BB4_4959 Depth=2
	v_cmp_lt_i16_e32 vcc_lo, -1, v21
	v_cndmask_b32_e32 v14, 0xff800000, v109, vcc_lo
	v_cmp_eq_u32_e32 vcc_lo, 0, v20
	s_delay_alu instid0(VALU_DEP_2)
	v_cndmask_b32_e32 v14, 0x7f800001, v14, vcc_lo
; %bb.6265:                             ;   in Loop: Header=BB4_4959 Depth=2
	s_or_b32 exec_lo, exec_lo, s29
.LBB4_6266:                             ;   in Loop: Header=BB4_4959 Depth=2
	s_delay_alu instid0(SALU_CYCLE_1)
	s_or_b32 exec_lo, exec_lo, s28
.LBB4_6267:                             ;   in Loop: Header=BB4_4959 Depth=2
	s_delay_alu instid0(SALU_CYCLE_1) | instskip(NEXT) | instid1(VALU_DEP_1)
	s_or_b32 exec_lo, exec_lo, s7
	v_dual_add_f32 v86, v15, v14 :: v_dual_mov_b32 v21, v37
	v_mov_b32_e32 v15, v37
                                        ; implicit-def: $vgpr97
	s_delay_alu instid0(VALU_DEP_2) | instskip(SKIP_1) | instid1(VALU_DEP_2)
	v_and_b32_e32 v20, 0x7f800000, v86
	v_and_b32_e32 v14, 0x7fffff, v86
	v_cmp_ne_u64_e32 vcc_lo, 0x7f800000, v[20:21]
	v_lshrrev_b32_e32 v20, 24, v86
	s_and_saveexec_b32 s7, vcc_lo
	s_delay_alu instid0(SALU_CYCLE_1)
	s_xor_b32 s28, exec_lo, s7
	s_cbranch_execz .LBB4_6281
; %bb.6268:                             ;   in Loop: Header=BB4_4959 Depth=2
	v_and_b32_e32 v24, 0x7fffffff, v86
	v_mov_b32_e32 v25, v37
	v_and_b32_e32 v46, 0x80, v20
                                        ; implicit-def: $vgpr97
	s_mov_b32 s7, exec_lo
	s_delay_alu instid0(VALU_DEP_2)
	v_cmpx_gt_u64_e32 0x47600001, v[24:25]
	s_xor_b32 s29, exec_lo, s7
	s_cbranch_execz .LBB4_6278
; %bb.6269:                             ;   in Loop: Header=BB4_4959 Depth=2
	v_mov_b32_e32 v97, 0
	s_mov_b32 s40, exec_lo
	v_cmpx_ne_u32_e32 0, v86
	s_cbranch_execz .LBB4_6277
; %bb.6270:                             ;   in Loop: Header=BB4_4959 Depth=2
	v_bfe_u32 v20, v86, 23, 8
	v_or_b32_e32 v31, 0x800000, v14
	s_delay_alu instid0(VALU_DEP_2) | instskip(SKIP_1) | instid1(VALU_DEP_2)
	v_sub_nc_u32_e32 v21, 0x71, v20
	v_cmp_gt_u32_e32 vcc_lo, 0x72, v20
	v_cndmask_b32_e32 v21, 0, v21, vcc_lo
	v_cmp_eq_u32_e32 vcc_lo, 0, v20
	s_delay_alu instid0(VALU_DEP_2) | instskip(NEXT) | instid1(VALU_DEP_1)
	v_cndmask_b32_e64 v21, v21, 0x70, vcc_lo
	v_dual_cndmask_b32 v14, v31, v14, vcc_lo :: v_dual_add_nc_u32 v24, 21, v21
	v_add_nc_u32_e32 v86, 20, v21
	s_delay_alu instid0(VALU_DEP_2) | instskip(NEXT) | instid1(VALU_DEP_2)
	v_lshlrev_b64_e64 v[24:25], v24, -1
	v_lshlrev_b64_e64 v[86:87], v86, 1
	s_delay_alu instid0(VALU_DEP_2) | instskip(SKIP_1) | instid1(VALU_DEP_4)
	v_bfi_b32 v24, v24, 0, v14
	v_lshrrev_b64 v[14:15], v21, v[14:15]
	v_bfi_b32 v25, v25, 0, 0
	s_delay_alu instid0(VALU_DEP_1) | instskip(NEXT) | instid1(VALU_DEP_3)
	v_cmp_eq_u64_e64 s7, v[24:25], v[86:87]
	v_mov_b64_e32 v[86:87], v[14:15]
	s_and_saveexec_b32 s41, s7
; %bb.6271:                             ;   in Loop: Header=BB4_4959 Depth=2
	v_bfe_u32 v24, v14, 21, 1
	v_mov_b32_e32 v25, v37
	s_delay_alu instid0(VALU_DEP_1) | instskip(NEXT) | instid1(VALU_DEP_1)
	v_add_nc_u64_e32 v[24:25], v[14:15], v[24:25]
	v_add_nc_u64_e32 v[86:87], -1, v[24:25]
; %bb.6272:                             ;   in Loop: Header=BB4_4959 Depth=2
	s_or_b32 exec_lo, exec_lo, s41
	v_add_nc_u32_e32 v15, 0xffffff81, v20
	v_lshrrev_b32_e32 v20, 23, v14
	s_mov_b32 s7, exec_lo
	s_delay_alu instid0(VALU_DEP_2) | instskip(NEXT) | instid1(VALU_DEP_1)
	v_cndmask_b32_e64 v15, v15, 0xffffff82, vcc_lo
	v_add3_u32 v21, v21, v15, v20
	v_and_b32_e32 v15, 0x1fffff, v86
                                        ; implicit-def: $vgpr20
	s_delay_alu instid0(VALU_DEP_1) | instskip(SKIP_1) | instid1(VALU_DEP_2)
	v_dual_add_nc_u32 v86, 14, v21 :: v_dual_add_nc_u32 v14, v15, v14
	v_mov_b32_e32 v15, v37
	v_cmpx_ne_u32_e32 0, v86
	s_xor_b32 s7, exec_lo, s7
; %bb.6273:                             ;   in Loop: Header=BB4_4959 Depth=2
	s_delay_alu instid0(VALU_DEP_2) | instskip(SKIP_2) | instid1(VALU_DEP_2)
	v_cmp_lt_u64_e32 vcc_lo, 0xffffff, v[14:15]
	v_add_nc_u32_e32 v20, 15, v21
	v_cndmask_b32_e64 v21, 0, 1, vcc_lo
	v_cndmask_b32_e32 v20, v86, v20, vcc_lo
	s_delay_alu instid0(VALU_DEP_2)
	v_lshrrev_b64 v[14:15], v21, v[14:15]
; %bb.6274:                             ;   in Loop: Header=BB4_4959 Depth=2
	s_and_not1_saveexec_b32 s7, s7
; %bb.6275:                             ;   in Loop: Header=BB4_4959 Depth=2
	s_delay_alu instid0(VALU_DEP_1)
	v_bfe_u32 v20, v14, 23, 1
; %bb.6276:                             ;   in Loop: Header=BB4_4959 Depth=2
	s_or_b32 exec_lo, exec_lo, s7
	s_delay_alu instid0(VALU_DEP_2) | instskip(NEXT) | instid1(VALU_DEP_2)
	v_lshrrev_b64 v[14:15], 21, v[14:15]
	v_cmp_gt_i32_e32 vcc_lo, 32, v20
	v_min_i32_e32 v21, 31, v20
	v_cmp_eq_u32_e64 s7, 0, v20
	s_delay_alu instid0(VALU_DEP_2) | instskip(SKIP_1) | instid1(VALU_DEP_2)
	v_dual_cndmask_b32 v15, 0, v15, vcc_lo :: v_dual_lshlrev_b32 v21, 2, v21
	v_cndmask_b32_e32 v14, 3, v14, vcc_lo
	v_and_b32_e32 v21, 0xfc, v21
	s_delay_alu instid0(VALU_DEP_2) | instskip(NEXT) | instid1(VALU_DEP_2)
	v_cmp_eq_u64_e32 vcc_lo, 0, v[14:15]
	v_and_or_b32 v14, v14, 3, v21
	s_and_b32 s7, s7, vcc_lo
	s_delay_alu instid0(VALU_DEP_1) | instid1(SALU_CYCLE_1)
	v_cndmask_b32_e64 v14, v14, 0, s7
	s_delay_alu instid0(VALU_DEP_1)
	v_or_b32_e32 v97, v14, v46
.LBB4_6277:                             ;   in Loop: Header=BB4_4959 Depth=2
	s_or_b32 exec_lo, exec_lo, s40
                                        ; implicit-def: $vgpr46
.LBB4_6278:                             ;   in Loop: Header=BB4_4959 Depth=2
	s_and_not1_saveexec_b32 s7, s29
; %bb.6279:                             ;   in Loop: Header=BB4_4959 Depth=2
	v_or_b32_e32 v97, 0x7b, v46
; %bb.6280:                             ;   in Loop: Header=BB4_4959 Depth=2
	s_or_b32 exec_lo, exec_lo, s7
                                        ; implicit-def: $vgpr86
                                        ; implicit-def: $vgpr14_vgpr15
                                        ; implicit-def: $vgpr20
.LBB4_6281:                             ;   in Loop: Header=BB4_4959 Depth=2
	s_and_not1_saveexec_b32 s7, s28
	s_cbranch_execz .LBB4_6287
; %bb.6282:                             ;   in Loop: Header=BB4_4959 Depth=2
	s_mov_b32 s28, exec_lo
                                        ; implicit-def: $vgpr97
	v_cmpx_ne_u64_e32 0, v[14:15]
	s_xor_b32 s28, exec_lo, s28
; %bb.6283:                             ;   in Loop: Header=BB4_4959 Depth=2
	v_or_b32_e32 v97, 0x7f, v20
                                        ; implicit-def: $vgpr86
; %bb.6284:                             ;   in Loop: Header=BB4_4959 Depth=2
	s_and_not1_saveexec_b32 s28, s28
; %bb.6285:                             ;   in Loop: Header=BB4_4959 Depth=2
	v_cmp_lt_i32_e32 vcc_lo, -1, v86
	v_cndmask_b32_e32 v97, 0xfc, v110, vcc_lo
; %bb.6286:                             ;   in Loop: Header=BB4_4959 Depth=2
	s_or_b32 exec_lo, exec_lo, s28
.LBB4_6287:                             ;   in Loop: Header=BB4_4959 Depth=2
	s_delay_alu instid0(SALU_CYCLE_1) | instskip(SKIP_3) | instid1(VALU_DEP_2)
	s_or_b32 exec_lo, exec_lo, s7
	v_lshrrev_b16 v14, 8, v2
	v_dual_mov_b32 v86, 0 :: v_dual_mov_b32 v87, 0
	s_mov_b32 s7, exec_lo
	v_cmpx_ne_u16_e32 0, v14
	s_cbranch_execz .LBB4_6297
; %bb.6288:                             ;   in Loop: Header=BB4_4959 Depth=2
	v_bfrev_b32_e32 v87, 1
	s_mov_b32 s28, exec_lo
	v_cmpx_ne_u16_e32 0x80, v14
	s_cbranch_execz .LBB4_6296
; %bb.6289:                             ;   in Loop: Header=BB4_4959 Depth=2
	v_and_b32_e32 v20, 0xffff, v14
	s_mov_b32 s29, exec_lo
                                        ; implicit-def: $vgpr87
	s_delay_alu instid0(VALU_DEP_1) | instskip(SKIP_1) | instid1(VALU_DEP_2)
	v_and_b32_e32 v21, 0x7c, v20
	v_and_b32_e32 v15, 3, v20
	v_cmpx_ne_u32_e32 0x7c, v21
	s_xor_b32 s29, exec_lo, s29
	s_cbranch_execz .LBB4_6293
; %bb.6290:                             ;   in Loop: Header=BB4_4959 Depth=2
	v_bfe_u32 v20, v20, 2, 5
	s_mov_b32 s40, exec_lo
	s_delay_alu instid0(VALU_DEP_1)
	v_cmpx_eq_u32_e32 0, v20
	s_cbranch_execz .LBB4_6292
; %bb.6291:                             ;   in Loop: Header=BB4_4959 Depth=2
	v_clz_i32_u32_e32 v15, v15
	s_delay_alu instid0(VALU_DEP_1) | instskip(SKIP_1) | instid1(VALU_DEP_2)
	v_min_u32_e32 v20, 32, v15
	v_mov_b32_e32 v15, v37
	v_subrev_nc_u32_e32 v21, 29, v20
	v_sub_nc_u32_e32 v20, 30, v20
	s_delay_alu instid0(VALU_DEP_2) | instskip(NEXT) | instid1(VALU_DEP_1)
	v_lshlrev_b64_e32 v[14:15], v21, v[14:15]
	v_and_b32_e32 v15, 3, v14
.LBB4_6292:                             ;   in Loop: Header=BB4_4959 Depth=2
	s_or_b32 exec_lo, exec_lo, s40
	v_lshlrev_b32_e32 v2, 16, v2
	s_delay_alu instid0(VALU_DEP_1) | instskip(NEXT) | instid1(VALU_DEP_1)
	v_and_b32_e32 v2, 0x80000000, v2
	v_lshl_add_u32 v2, v20, 23, v2
	s_delay_alu instid0(VALU_DEP_1) | instskip(NEXT) | instid1(VALU_DEP_1)
	v_lshl_or_b32 v2, v15, 21, v2
                                        ; implicit-def: $vgpr15
	v_add_nc_u32_e32 v87, 0x38000000, v2
                                        ; implicit-def: $vgpr2
.LBB4_6293:                             ;   in Loop: Header=BB4_4959 Depth=2
	s_and_not1_saveexec_b32 s29, s29
; %bb.6294:                             ;   in Loop: Header=BB4_4959 Depth=2
	v_cmp_lt_i16_e32 vcc_lo, -1, v2
	v_cndmask_b32_e32 v2, 0xff800000, v109, vcc_lo
	v_cmp_eq_u32_e32 vcc_lo, 0, v15
	s_delay_alu instid0(VALU_DEP_2)
	v_cndmask_b32_e32 v87, 0x7f800001, v2, vcc_lo
; %bb.6295:                             ;   in Loop: Header=BB4_4959 Depth=2
	s_or_b32 exec_lo, exec_lo, s29
.LBB4_6296:                             ;   in Loop: Header=BB4_4959 Depth=2
	s_delay_alu instid0(SALU_CYCLE_1)
	s_or_b32 exec_lo, exec_lo, s28
.LBB4_6297:                             ;   in Loop: Header=BB4_4959 Depth=2
	s_delay_alu instid0(SALU_CYCLE_1) | instskip(SKIP_2) | instid1(VALU_DEP_1)
	s_or_b32 exec_lo, exec_lo, s7
	v_lshrrev_b16 v14, 8, v16
	s_mov_b32 s7, exec_lo
	v_cmpx_ne_u16_e32 0, v14
	s_cbranch_execz .LBB4_6307
; %bb.6298:                             ;   in Loop: Header=BB4_4959 Depth=2
	v_bfrev_b32_e32 v86, 1
	s_mov_b32 s28, exec_lo
	v_cmpx_ne_u16_e32 0x80, v14
	s_cbranch_execz .LBB4_6306
; %bb.6299:                             ;   in Loop: Header=BB4_4959 Depth=2
	v_and_b32_e32 v15, 0xffff, v14
	s_mov_b32 s29, exec_lo
                                        ; implicit-def: $vgpr86
	s_delay_alu instid0(VALU_DEP_1) | instskip(SKIP_1) | instid1(VALU_DEP_2)
	v_and_b32_e32 v20, 0x7c, v15
	v_and_b32_e32 v2, 3, v15
	v_cmpx_ne_u32_e32 0x7c, v20
	s_xor_b32 s29, exec_lo, s29
	s_cbranch_execz .LBB4_6303
; %bb.6300:                             ;   in Loop: Header=BB4_4959 Depth=2
	v_bfe_u32 v15, v15, 2, 5
	s_mov_b32 s40, exec_lo
	s_delay_alu instid0(VALU_DEP_1)
	v_cmpx_eq_u32_e32 0, v15
	s_cbranch_execz .LBB4_6302
; %bb.6301:                             ;   in Loop: Header=BB4_4959 Depth=2
	v_clz_i32_u32_e32 v2, v2
	v_mov_b32_e32 v15, v37
	s_delay_alu instid0(VALU_DEP_2) | instskip(NEXT) | instid1(VALU_DEP_1)
	v_min_u32_e32 v2, 32, v2
	v_subrev_nc_u32_e32 v20, 29, v2
	s_delay_alu instid0(VALU_DEP_1) | instskip(SKIP_1) | instid1(VALU_DEP_2)
	v_lshlrev_b64_e32 v[14:15], v20, v[14:15]
	v_sub_nc_u32_e32 v15, 30, v2
	v_and_b32_e32 v2, 3, v14
.LBB4_6302:                             ;   in Loop: Header=BB4_4959 Depth=2
	s_or_b32 exec_lo, exec_lo, s40
	v_lshlrev_b32_e32 v14, 16, v16
	s_delay_alu instid0(VALU_DEP_1) | instskip(NEXT) | instid1(VALU_DEP_1)
	v_and_b32_e32 v14, 0x80000000, v14
	v_lshl_add_u32 v14, v15, 23, v14
	s_delay_alu instid0(VALU_DEP_1) | instskip(NEXT) | instid1(VALU_DEP_1)
	v_lshl_or_b32 v2, v2, 21, v14
	v_add_nc_u32_e32 v86, 0x38000000, v2
                                        ; implicit-def: $vgpr2
.LBB4_6303:                             ;   in Loop: Header=BB4_4959 Depth=2
	s_and_not1_saveexec_b32 s29, s29
; %bb.6304:                             ;   in Loop: Header=BB4_4959 Depth=2
	v_cmp_lt_i16_e32 vcc_lo, -1, v16
	v_cndmask_b32_e32 v14, 0xff800000, v109, vcc_lo
	v_cmp_eq_u32_e32 vcc_lo, 0, v2
	s_delay_alu instid0(VALU_DEP_2)
	v_cndmask_b32_e32 v86, 0x7f800001, v14, vcc_lo
; %bb.6305:                             ;   in Loop: Header=BB4_4959 Depth=2
	s_or_b32 exec_lo, exec_lo, s29
.LBB4_6306:                             ;   in Loop: Header=BB4_4959 Depth=2
	s_delay_alu instid0(SALU_CYCLE_1)
	s_or_b32 exec_lo, exec_lo, s28
.LBB4_6307:                             ;   in Loop: Header=BB4_4959 Depth=2
	s_delay_alu instid0(SALU_CYCLE_1) | instskip(NEXT) | instid1(VALU_DEP_1)
	s_or_b32 exec_lo, exec_lo, s7
	v_dual_add_f32 v86, v87, v86 :: v_dual_mov_b32 v21, v37
	v_mov_b32_e32 v15, v37
                                        ; implicit-def: $vgpr46
	s_mov_b32 s7, exec_lo
	s_delay_alu instid0(VALU_DEP_2) | instskip(SKIP_2) | instid1(VALU_DEP_3)
	v_and_b32_e32 v20, 0x7f800000, v86
	v_and_b32_e32 v14, 0x7fffff, v86
	v_lshrrev_b32_e32 v2, 24, v86
	v_cmpx_ne_u64_e32 0x7f800000, v[20:21]
	s_xor_b32 s28, exec_lo, s7
	s_cbranch_execz .LBB4_6321
; %bb.6308:                             ;   in Loop: Header=BB4_4959 Depth=2
	v_and_b32_e32 v20, 0x7fffffff, v86
	v_mov_b32_e32 v21, v37
	v_and_b32_e32 v2, 0x80, v2
                                        ; implicit-def: $vgpr46
	s_mov_b32 s7, exec_lo
	s_delay_alu instid0(VALU_DEP_2)
	v_cmpx_gt_u64_e32 0x47600001, v[20:21]
	s_xor_b32 s29, exec_lo, s7
	s_cbranch_execz .LBB4_6318
; %bb.6309:                             ;   in Loop: Header=BB4_4959 Depth=2
	v_mov_b32_e32 v46, 0
	s_mov_b32 s40, exec_lo
	v_cmpx_ne_u32_e32 0, v86
	s_cbranch_execz .LBB4_6317
; %bb.6310:                             ;   in Loop: Header=BB4_4959 Depth=2
	v_bfe_u32 v20, v86, 23, 8
	v_or_b32_e32 v31, 0x800000, v14
	s_delay_alu instid0(VALU_DEP_2) | instskip(SKIP_1) | instid1(VALU_DEP_2)
	v_sub_nc_u32_e32 v21, 0x71, v20
	v_cmp_gt_u32_e32 vcc_lo, 0x72, v20
	v_cndmask_b32_e32 v21, 0, v21, vcc_lo
	v_cmp_eq_u32_e32 vcc_lo, 0, v20
	s_delay_alu instid0(VALU_DEP_2) | instskip(NEXT) | instid1(VALU_DEP_1)
	v_cndmask_b32_e64 v21, v21, 0x70, vcc_lo
	v_dual_cndmask_b32 v14, v31, v14, vcc_lo :: v_dual_add_nc_u32 v24, 21, v21
	v_add_nc_u32_e32 v86, 20, v21
	s_delay_alu instid0(VALU_DEP_2) | instskip(NEXT) | instid1(VALU_DEP_2)
	v_lshlrev_b64_e64 v[24:25], v24, -1
	v_lshlrev_b64_e64 v[86:87], v86, 1
	s_delay_alu instid0(VALU_DEP_2) | instskip(SKIP_1) | instid1(VALU_DEP_4)
	v_bfi_b32 v24, v24, 0, v14
	v_lshrrev_b64 v[14:15], v21, v[14:15]
	v_bfi_b32 v25, v25, 0, 0
	s_delay_alu instid0(VALU_DEP_1) | instskip(NEXT) | instid1(VALU_DEP_3)
	v_cmp_eq_u64_e64 s7, v[24:25], v[86:87]
	v_mov_b64_e32 v[86:87], v[14:15]
	s_and_saveexec_b32 s41, s7
; %bb.6311:                             ;   in Loop: Header=BB4_4959 Depth=2
	v_bfe_u32 v24, v14, 21, 1
	v_mov_b32_e32 v25, v37
	s_delay_alu instid0(VALU_DEP_1) | instskip(NEXT) | instid1(VALU_DEP_1)
	v_add_nc_u64_e32 v[24:25], v[14:15], v[24:25]
	v_add_nc_u64_e32 v[86:87], -1, v[24:25]
; %bb.6312:                             ;   in Loop: Header=BB4_4959 Depth=2
	s_or_b32 exec_lo, exec_lo, s41
	v_add_nc_u32_e32 v15, 0xffffff81, v20
	v_lshrrev_b32_e32 v20, 23, v14
	s_mov_b32 s7, exec_lo
	s_delay_alu instid0(VALU_DEP_2) | instskip(NEXT) | instid1(VALU_DEP_1)
	v_cndmask_b32_e64 v15, v15, 0xffffff82, vcc_lo
	v_add3_u32 v21, v21, v15, v20
	v_and_b32_e32 v15, 0x1fffff, v86
                                        ; implicit-def: $vgpr20
	s_delay_alu instid0(VALU_DEP_1) | instskip(SKIP_1) | instid1(VALU_DEP_2)
	v_dual_add_nc_u32 v86, 14, v21 :: v_dual_add_nc_u32 v14, v15, v14
	v_mov_b32_e32 v15, v37
	v_cmpx_ne_u32_e32 0, v86
	s_xor_b32 s7, exec_lo, s7
; %bb.6313:                             ;   in Loop: Header=BB4_4959 Depth=2
	s_delay_alu instid0(VALU_DEP_2) | instskip(SKIP_2) | instid1(VALU_DEP_2)
	v_cmp_lt_u64_e32 vcc_lo, 0xffffff, v[14:15]
	v_add_nc_u32_e32 v20, 15, v21
	v_cndmask_b32_e64 v21, 0, 1, vcc_lo
	v_cndmask_b32_e32 v20, v86, v20, vcc_lo
	s_delay_alu instid0(VALU_DEP_2)
	v_lshrrev_b64 v[14:15], v21, v[14:15]
; %bb.6314:                             ;   in Loop: Header=BB4_4959 Depth=2
	s_and_not1_saveexec_b32 s7, s7
; %bb.6315:                             ;   in Loop: Header=BB4_4959 Depth=2
	s_delay_alu instid0(VALU_DEP_1)
	v_bfe_u32 v20, v14, 23, 1
; %bb.6316:                             ;   in Loop: Header=BB4_4959 Depth=2
	s_or_b32 exec_lo, exec_lo, s7
	s_delay_alu instid0(VALU_DEP_2) | instskip(NEXT) | instid1(VALU_DEP_2)
	v_lshrrev_b64 v[14:15], 21, v[14:15]
	v_cmp_gt_i32_e32 vcc_lo, 32, v20
	v_min_i32_e32 v21, 31, v20
	v_cmp_eq_u32_e64 s7, 0, v20
	s_delay_alu instid0(VALU_DEP_2) | instskip(SKIP_1) | instid1(VALU_DEP_2)
	v_dual_cndmask_b32 v15, 0, v15, vcc_lo :: v_dual_lshlrev_b32 v21, 2, v21
	v_cndmask_b32_e32 v14, 3, v14, vcc_lo
	v_and_b32_e32 v21, 0xfc, v21
	s_delay_alu instid0(VALU_DEP_2) | instskip(NEXT) | instid1(VALU_DEP_2)
	v_cmp_eq_u64_e32 vcc_lo, 0, v[14:15]
	v_and_or_b32 v14, v14, 3, v21
	s_and_b32 s7, s7, vcc_lo
	s_delay_alu instid0(VALU_DEP_1) | instid1(SALU_CYCLE_1)
	v_cndmask_b32_e64 v14, v14, 0, s7
	s_delay_alu instid0(VALU_DEP_1)
	v_or_b32_e32 v46, v14, v2
.LBB4_6317:                             ;   in Loop: Header=BB4_4959 Depth=2
	s_or_b32 exec_lo, exec_lo, s40
                                        ; implicit-def: $vgpr2
.LBB4_6318:                             ;   in Loop: Header=BB4_4959 Depth=2
	s_and_not1_saveexec_b32 s7, s29
; %bb.6319:                             ;   in Loop: Header=BB4_4959 Depth=2
	v_or_b32_e32 v46, 0x7b, v2
; %bb.6320:                             ;   in Loop: Header=BB4_4959 Depth=2
	s_or_b32 exec_lo, exec_lo, s7
                                        ; implicit-def: $vgpr86
                                        ; implicit-def: $vgpr14_vgpr15
                                        ; implicit-def: $vgpr2
.LBB4_6321:                             ;   in Loop: Header=BB4_4959 Depth=2
	s_and_not1_saveexec_b32 s7, s28
	s_cbranch_execz .LBB4_6327
; %bb.6322:                             ;   in Loop: Header=BB4_4959 Depth=2
	s_mov_b32 s28, exec_lo
                                        ; implicit-def: $vgpr46
	v_cmpx_ne_u64_e32 0, v[14:15]
	s_xor_b32 s28, exec_lo, s28
; %bb.6323:                             ;   in Loop: Header=BB4_4959 Depth=2
	v_or_b32_e32 v46, 0x7f, v2
                                        ; implicit-def: $vgpr86
; %bb.6324:                             ;   in Loop: Header=BB4_4959 Depth=2
	s_and_not1_saveexec_b32 s28, s28
; %bb.6325:                             ;   in Loop: Header=BB4_4959 Depth=2
	v_cmp_lt_i32_e32 vcc_lo, -1, v86
	v_cndmask_b32_e32 v46, 0xfc, v110, vcc_lo
; %bb.6326:                             ;   in Loop: Header=BB4_4959 Depth=2
	s_or_b32 exec_lo, exec_lo, s28
.LBB4_6327:                             ;   in Loop: Header=BB4_4959 Depth=2
	s_delay_alu instid0(SALU_CYCLE_1) | instskip(SKIP_3) | instid1(VALU_DEP_2)
	s_or_b32 exec_lo, exec_lo, s7
	v_dual_lshrrev_b32 v14, 16, v36 :: v_dual_mov_b32 v2, 0
	v_mov_b32_e32 v15, 0
	s_mov_b32 s7, exec_lo
	v_and_b32_e32 v20, 0xff, v14
	s_delay_alu instid0(VALU_DEP_1)
	v_cmpx_ne_u16_e32 0, v20
	s_cbranch_execz .LBB4_6337
; %bb.6328:                             ;   in Loop: Header=BB4_4959 Depth=2
	v_bfrev_b32_e32 v15, 1
	s_mov_b32 s28, exec_lo
	v_cmpx_ne_u16_e32 0x80, v20
	s_cbranch_execz .LBB4_6336
; %bb.6329:                             ;   in Loop: Header=BB4_4959 Depth=2
	v_and_b32_e32 v15, 0x7c0000, v36
	v_bfe_u32 v20, v36, 16, 2
	s_delay_alu instid0(VALU_DEP_2) | instskip(SKIP_1) | instid1(SALU_CYCLE_1)
	v_cmp_ne_u32_e32 vcc_lo, 0x7c0000, v15
                                        ; implicit-def: $vgpr15
	s_and_saveexec_b32 s29, vcc_lo
	s_xor_b32 s29, exec_lo, s29
	s_cbranch_execz .LBB4_6333
; %bb.6330:                             ;   in Loop: Header=BB4_4959 Depth=2
	v_bfe_u32 v15, v36, 18, 5
	s_mov_b32 s40, exec_lo
	s_delay_alu instid0(VALU_DEP_1)
	v_cmpx_eq_u32_e32 0, v15
; %bb.6331:                             ;   in Loop: Header=BB4_4959 Depth=2
	v_clz_i32_u32_e32 v15, v20
	s_delay_alu instid0(VALU_DEP_1) | instskip(NEXT) | instid1(VALU_DEP_1)
	v_min_u32_e32 v15, 32, v15
	v_subrev_nc_u32_e32 v20, 29, v15
	s_delay_alu instid0(VALU_DEP_1) | instskip(NEXT) | instid1(VALU_DEP_1)
	v_lshlrev_b64_e32 v[20:21], v20, v[14:15]
	v_dual_sub_nc_u32 v15, 30, v15 :: v_dual_bitop2_b32 v20, 3, v20 bitop3:0x40
; %bb.6332:                             ;   in Loop: Header=BB4_4959 Depth=2
	s_or_b32 exec_lo, exec_lo, s40
	v_lshlrev_b32_e32 v14, 24, v14
	s_delay_alu instid0(VALU_DEP_1) | instskip(NEXT) | instid1(VALU_DEP_1)
	v_and_b32_e32 v14, 0x80000000, v14
	v_lshl_add_u32 v14, v15, 23, v14
	s_delay_alu instid0(VALU_DEP_1) | instskip(NEXT) | instid1(VALU_DEP_1)
	v_lshl_or_b32 v14, v20, 21, v14
                                        ; implicit-def: $vgpr20
	v_add_nc_u32_e32 v15, 0x38000000, v14
                                        ; implicit-def: $vgpr14
.LBB4_6333:                             ;   in Loop: Header=BB4_4959 Depth=2
	s_and_not1_saveexec_b32 s29, s29
; %bb.6334:                             ;   in Loop: Header=BB4_4959 Depth=2
	v_bfe_i32 v14, v14, 0, 8
	s_delay_alu instid0(VALU_DEP_1) | instskip(SKIP_2) | instid1(VALU_DEP_2)
	v_cmp_lt_i16_e32 vcc_lo, -1, v14
	v_cndmask_b32_e32 v14, 0xff800000, v109, vcc_lo
	v_cmp_eq_u32_e32 vcc_lo, 0, v20
	v_cndmask_b32_e32 v15, 0x7f800001, v14, vcc_lo
; %bb.6335:                             ;   in Loop: Header=BB4_4959 Depth=2
	s_or_b32 exec_lo, exec_lo, s29
.LBB4_6336:                             ;   in Loop: Header=BB4_4959 Depth=2
	s_delay_alu instid0(SALU_CYCLE_1)
	s_or_b32 exec_lo, exec_lo, s28
.LBB4_6337:                             ;   in Loop: Header=BB4_4959 Depth=2
	s_delay_alu instid0(SALU_CYCLE_1) | instskip(SKIP_2) | instid1(VALU_DEP_1)
	s_or_b32 exec_lo, exec_lo, s7
	v_lshrrev_b32_e32 v14, 16, v16
	s_mov_b32 s7, exec_lo
	v_and_b32_e32 v20, 0xff, v14
	s_delay_alu instid0(VALU_DEP_1)
	v_cmpx_ne_u16_e32 0, v20
	s_cbranch_execz .LBB4_6347
; %bb.6338:                             ;   in Loop: Header=BB4_4959 Depth=2
	v_bfrev_b32_e32 v2, 1
	s_mov_b32 s28, exec_lo
	v_cmpx_ne_u16_e32 0x80, v20
	s_cbranch_execz .LBB4_6346
; %bb.6339:                             ;   in Loop: Header=BB4_4959 Depth=2
	v_and_b32_e32 v2, 0x7c0000, v16
	v_bfe_u32 v20, v16, 16, 2
	s_delay_alu instid0(VALU_DEP_2) | instskip(SKIP_1) | instid1(SALU_CYCLE_1)
	v_cmp_ne_u32_e32 vcc_lo, 0x7c0000, v2
                                        ; implicit-def: $vgpr2
	s_and_saveexec_b32 s29, vcc_lo
	s_xor_b32 s29, exec_lo, s29
	s_cbranch_execz .LBB4_6343
; %bb.6340:                             ;   in Loop: Header=BB4_4959 Depth=2
	v_bfe_u32 v2, v16, 18, 5
	s_mov_b32 s40, exec_lo
	s_delay_alu instid0(VALU_DEP_1)
	v_cmpx_eq_u32_e32 0, v2
; %bb.6341:                             ;   in Loop: Header=BB4_4959 Depth=2
	v_clz_i32_u32_e32 v2, v20
	s_delay_alu instid0(VALU_DEP_1) | instskip(NEXT) | instid1(VALU_DEP_1)
	v_min_u32_e32 v2, 32, v2
	v_subrev_nc_u32_e32 v20, 29, v2
	s_delay_alu instid0(VALU_DEP_1) | instskip(NEXT) | instid1(VALU_DEP_1)
	v_lshlrev_b64_e32 v[20:21], v20, v[14:15]
	v_dual_sub_nc_u32 v2, 30, v2 :: v_dual_bitop2_b32 v20, 3, v20 bitop3:0x40
; %bb.6342:                             ;   in Loop: Header=BB4_4959 Depth=2
	s_or_b32 exec_lo, exec_lo, s40
	v_lshlrev_b32_e32 v14, 24, v14
	s_delay_alu instid0(VALU_DEP_1) | instskip(NEXT) | instid1(VALU_DEP_1)
	v_and_b32_e32 v14, 0x80000000, v14
	v_lshl_add_u32 v2, v2, 23, v14
                                        ; implicit-def: $vgpr14
	s_delay_alu instid0(VALU_DEP_1) | instskip(NEXT) | instid1(VALU_DEP_1)
	v_lshl_or_b32 v2, v20, 21, v2
                                        ; implicit-def: $vgpr20
	v_add_nc_u32_e32 v2, 0x38000000, v2
.LBB4_6343:                             ;   in Loop: Header=BB4_4959 Depth=2
	s_and_not1_saveexec_b32 s29, s29
; %bb.6344:                             ;   in Loop: Header=BB4_4959 Depth=2
	v_bfe_i32 v2, v14, 0, 8
	s_delay_alu instid0(VALU_DEP_1) | instskip(SKIP_2) | instid1(VALU_DEP_2)
	v_cmp_lt_i16_e32 vcc_lo, -1, v2
	v_cndmask_b32_e32 v2, 0xff800000, v109, vcc_lo
	v_cmp_eq_u32_e32 vcc_lo, 0, v20
	v_cndmask_b32_e32 v2, 0x7f800001, v2, vcc_lo
; %bb.6345:                             ;   in Loop: Header=BB4_4959 Depth=2
	s_or_b32 exec_lo, exec_lo, s29
.LBB4_6346:                             ;   in Loop: Header=BB4_4959 Depth=2
	s_delay_alu instid0(SALU_CYCLE_1)
	s_or_b32 exec_lo, exec_lo, s28
.LBB4_6347:                             ;   in Loop: Header=BB4_4959 Depth=2
	s_delay_alu instid0(SALU_CYCLE_1) | instskip(NEXT) | instid1(VALU_DEP_1)
	s_or_b32 exec_lo, exec_lo, s7
	v_dual_add_f32 v86, v15, v2 :: v_dual_mov_b32 v21, v37
	v_mov_b32_e32 v15, v37
                                        ; implicit-def: $vgpr59
	s_mov_b32 s7, exec_lo
	s_delay_alu instid0(VALU_DEP_2) | instskip(SKIP_2) | instid1(VALU_DEP_3)
	v_and_b32_e32 v20, 0x7f800000, v86
	v_and_b32_e32 v14, 0x7fffff, v86
	v_lshrrev_b32_e32 v2, 24, v86
	v_cmpx_ne_u64_e32 0x7f800000, v[20:21]
	s_xor_b32 s28, exec_lo, s7
	s_cbranch_execz .LBB4_6361
; %bb.6348:                             ;   in Loop: Header=BB4_4959 Depth=2
	v_and_b32_e32 v20, 0x7fffffff, v86
	v_mov_b32_e32 v21, v37
	v_and_b32_e32 v2, 0x80, v2
                                        ; implicit-def: $vgpr59
	s_mov_b32 s7, exec_lo
	s_delay_alu instid0(VALU_DEP_2)
	v_cmpx_gt_u64_e32 0x47600001, v[20:21]
	s_xor_b32 s29, exec_lo, s7
	s_cbranch_execz .LBB4_6358
; %bb.6349:                             ;   in Loop: Header=BB4_4959 Depth=2
	v_mov_b32_e32 v59, 0
	s_mov_b32 s40, exec_lo
	v_cmpx_ne_u32_e32 0, v86
	s_cbranch_execz .LBB4_6357
; %bb.6350:                             ;   in Loop: Header=BB4_4959 Depth=2
	v_bfe_u32 v20, v86, 23, 8
	v_or_b32_e32 v31, 0x800000, v14
	s_delay_alu instid0(VALU_DEP_2) | instskip(SKIP_1) | instid1(VALU_DEP_2)
	v_sub_nc_u32_e32 v21, 0x71, v20
	v_cmp_gt_u32_e32 vcc_lo, 0x72, v20
	v_cndmask_b32_e32 v21, 0, v21, vcc_lo
	v_cmp_eq_u32_e32 vcc_lo, 0, v20
	s_delay_alu instid0(VALU_DEP_2) | instskip(NEXT) | instid1(VALU_DEP_1)
	v_cndmask_b32_e64 v21, v21, 0x70, vcc_lo
	v_dual_cndmask_b32 v14, v31, v14, vcc_lo :: v_dual_add_nc_u32 v24, 21, v21
	v_add_nc_u32_e32 v86, 20, v21
	s_delay_alu instid0(VALU_DEP_2) | instskip(NEXT) | instid1(VALU_DEP_2)
	v_lshlrev_b64_e64 v[24:25], v24, -1
	v_lshlrev_b64_e64 v[86:87], v86, 1
	s_delay_alu instid0(VALU_DEP_2) | instskip(SKIP_1) | instid1(VALU_DEP_4)
	v_bfi_b32 v24, v24, 0, v14
	v_lshrrev_b64 v[14:15], v21, v[14:15]
	v_bfi_b32 v25, v25, 0, 0
	s_delay_alu instid0(VALU_DEP_1) | instskip(NEXT) | instid1(VALU_DEP_3)
	v_cmp_eq_u64_e64 s7, v[24:25], v[86:87]
	v_mov_b64_e32 v[86:87], v[14:15]
	s_and_saveexec_b32 s41, s7
; %bb.6351:                             ;   in Loop: Header=BB4_4959 Depth=2
	v_bfe_u32 v24, v14, 21, 1
	v_mov_b32_e32 v25, v37
	s_delay_alu instid0(VALU_DEP_1) | instskip(NEXT) | instid1(VALU_DEP_1)
	v_add_nc_u64_e32 v[24:25], v[14:15], v[24:25]
	v_add_nc_u64_e32 v[86:87], -1, v[24:25]
; %bb.6352:                             ;   in Loop: Header=BB4_4959 Depth=2
	s_or_b32 exec_lo, exec_lo, s41
	v_add_nc_u32_e32 v15, 0xffffff81, v20
	v_lshrrev_b32_e32 v20, 23, v14
	s_mov_b32 s7, exec_lo
	s_delay_alu instid0(VALU_DEP_2) | instskip(NEXT) | instid1(VALU_DEP_1)
	v_cndmask_b32_e64 v15, v15, 0xffffff82, vcc_lo
	v_add3_u32 v21, v21, v15, v20
	v_and_b32_e32 v15, 0x1fffff, v86
                                        ; implicit-def: $vgpr20
	s_delay_alu instid0(VALU_DEP_1) | instskip(SKIP_1) | instid1(VALU_DEP_2)
	v_dual_add_nc_u32 v86, 14, v21 :: v_dual_add_nc_u32 v14, v15, v14
	v_mov_b32_e32 v15, v37
	v_cmpx_ne_u32_e32 0, v86
	s_xor_b32 s7, exec_lo, s7
; %bb.6353:                             ;   in Loop: Header=BB4_4959 Depth=2
	s_delay_alu instid0(VALU_DEP_2) | instskip(SKIP_2) | instid1(VALU_DEP_2)
	v_cmp_lt_u64_e32 vcc_lo, 0xffffff, v[14:15]
	v_add_nc_u32_e32 v20, 15, v21
	v_cndmask_b32_e64 v21, 0, 1, vcc_lo
	v_cndmask_b32_e32 v20, v86, v20, vcc_lo
	s_delay_alu instid0(VALU_DEP_2)
	v_lshrrev_b64 v[14:15], v21, v[14:15]
; %bb.6354:                             ;   in Loop: Header=BB4_4959 Depth=2
	s_and_not1_saveexec_b32 s7, s7
; %bb.6355:                             ;   in Loop: Header=BB4_4959 Depth=2
	s_delay_alu instid0(VALU_DEP_1)
	v_bfe_u32 v20, v14, 23, 1
; %bb.6356:                             ;   in Loop: Header=BB4_4959 Depth=2
	s_or_b32 exec_lo, exec_lo, s7
	s_delay_alu instid0(VALU_DEP_2) | instskip(NEXT) | instid1(VALU_DEP_2)
	v_lshrrev_b64 v[14:15], 21, v[14:15]
	v_cmp_gt_i32_e32 vcc_lo, 32, v20
	v_min_i32_e32 v21, 31, v20
	v_cmp_eq_u32_e64 s7, 0, v20
	s_delay_alu instid0(VALU_DEP_2) | instskip(SKIP_1) | instid1(VALU_DEP_2)
	v_dual_cndmask_b32 v15, 0, v15, vcc_lo :: v_dual_lshlrev_b32 v21, 2, v21
	v_cndmask_b32_e32 v14, 3, v14, vcc_lo
	v_and_b32_e32 v21, 0xfc, v21
	s_delay_alu instid0(VALU_DEP_2) | instskip(NEXT) | instid1(VALU_DEP_2)
	v_cmp_eq_u64_e32 vcc_lo, 0, v[14:15]
	v_and_or_b32 v14, v14, 3, v21
	s_and_b32 s7, s7, vcc_lo
	s_delay_alu instid0(VALU_DEP_1) | instid1(SALU_CYCLE_1)
	v_cndmask_b32_e64 v14, v14, 0, s7
	s_delay_alu instid0(VALU_DEP_1)
	v_or_b32_e32 v59, v14, v2
.LBB4_6357:                             ;   in Loop: Header=BB4_4959 Depth=2
	s_or_b32 exec_lo, exec_lo, s40
                                        ; implicit-def: $vgpr2
.LBB4_6358:                             ;   in Loop: Header=BB4_4959 Depth=2
	s_and_not1_saveexec_b32 s7, s29
; %bb.6359:                             ;   in Loop: Header=BB4_4959 Depth=2
	v_or_b32_e32 v59, 0x7b, v2
; %bb.6360:                             ;   in Loop: Header=BB4_4959 Depth=2
	s_or_b32 exec_lo, exec_lo, s7
                                        ; implicit-def: $vgpr86
                                        ; implicit-def: $vgpr14_vgpr15
                                        ; implicit-def: $vgpr2
.LBB4_6361:                             ;   in Loop: Header=BB4_4959 Depth=2
	s_and_not1_saveexec_b32 s7, s28
	s_cbranch_execz .LBB4_6367
; %bb.6362:                             ;   in Loop: Header=BB4_4959 Depth=2
	s_mov_b32 s28, exec_lo
                                        ; implicit-def: $vgpr59
	v_cmpx_ne_u64_e32 0, v[14:15]
	s_xor_b32 s28, exec_lo, s28
; %bb.6363:                             ;   in Loop: Header=BB4_4959 Depth=2
	v_or_b32_e32 v59, 0x7f, v2
                                        ; implicit-def: $vgpr86
; %bb.6364:                             ;   in Loop: Header=BB4_4959 Depth=2
	s_and_not1_saveexec_b32 s28, s28
; %bb.6365:                             ;   in Loop: Header=BB4_4959 Depth=2
	v_cmp_lt_i32_e32 vcc_lo, -1, v86
	v_cndmask_b32_e32 v59, 0xfc, v110, vcc_lo
; %bb.6366:                             ;   in Loop: Header=BB4_4959 Depth=2
	s_or_b32 exec_lo, exec_lo, s28
.LBB4_6367:                             ;   in Loop: Header=BB4_4959 Depth=2
	s_delay_alu instid0(SALU_CYCLE_1)
	s_or_b32 exec_lo, exec_lo, s7
	v_dual_mov_b32 v2, 0 :: v_dual_mov_b32 v15, 0
	s_mov_b32 s7, exec_lo
	v_cmpx_lt_u32_e32 0xffffff, v36
	s_cbranch_execz .LBB4_6377
; %bb.6368:                             ;   in Loop: Header=BB4_4959 Depth=2
	v_lshrrev_b32_e32 v14, 24, v36
	v_bfrev_b32_e32 v15, 1
	s_mov_b32 s28, exec_lo
	s_delay_alu instid0(VALU_DEP_2)
	v_cmpx_ne_u32_e32 0x80, v14
	s_cbranch_execz .LBB4_6376
; %bb.6369:                             ;   in Loop: Header=BB4_4959 Depth=2
	v_and_b32_e32 v15, 0x7c000000, v36
	v_bfe_u32 v20, v36, 24, 2
	s_delay_alu instid0(VALU_DEP_2) | instskip(SKIP_1) | instid1(SALU_CYCLE_1)
	v_cmp_ne_u32_e32 vcc_lo, 0x7c000000, v15
                                        ; implicit-def: $vgpr15
	s_and_saveexec_b32 s29, vcc_lo
	s_xor_b32 s29, exec_lo, s29
	s_cbranch_execz .LBB4_6373
; %bb.6370:                             ;   in Loop: Header=BB4_4959 Depth=2
	v_bfe_u32 v15, v36, 26, 5
	s_mov_b32 s40, exec_lo
	s_delay_alu instid0(VALU_DEP_1)
	v_cmpx_eq_u32_e32 0, v15
; %bb.6371:                             ;   in Loop: Header=BB4_4959 Depth=2
	v_clz_i32_u32_e32 v15, v20
	s_delay_alu instid0(VALU_DEP_1) | instskip(NEXT) | instid1(VALU_DEP_1)
	v_min_u32_e32 v20, 32, v15
	v_subrev_nc_u32_e32 v15, 29, v20
	s_delay_alu instid0(VALU_DEP_1) | instskip(NEXT) | instid1(VALU_DEP_1)
	v_lshlrev_b64_e32 v[14:15], v15, v[14:15]
	v_dual_sub_nc_u32 v15, 30, v20 :: v_dual_bitop2_b32 v20, 3, v14 bitop3:0x40
; %bb.6372:                             ;   in Loop: Header=BB4_4959 Depth=2
	s_or_b32 exec_lo, exec_lo, s40
	v_and_b32_e32 v14, 0x80000000, v36
	s_delay_alu instid0(VALU_DEP_1) | instskip(NEXT) | instid1(VALU_DEP_1)
	v_lshl_add_u32 v14, v15, 23, v14
	v_lshl_or_b32 v14, v20, 21, v14
                                        ; implicit-def: $vgpr20
	s_delay_alu instid0(VALU_DEP_1)
	v_add_nc_u32_e32 v15, 0x38000000, v14
.LBB4_6373:                             ;   in Loop: Header=BB4_4959 Depth=2
	s_and_not1_saveexec_b32 s29, s29
; %bb.6374:                             ;   in Loop: Header=BB4_4959 Depth=2
	v_cmp_lt_i32_e32 vcc_lo, -1, v36
	v_cndmask_b32_e32 v14, 0xff800000, v109, vcc_lo
	v_cmp_eq_u32_e32 vcc_lo, 0, v20
	s_delay_alu instid0(VALU_DEP_2)
	v_cndmask_b32_e32 v15, 0x7f800001, v14, vcc_lo
; %bb.6375:                             ;   in Loop: Header=BB4_4959 Depth=2
	s_or_b32 exec_lo, exec_lo, s29
.LBB4_6376:                             ;   in Loop: Header=BB4_4959 Depth=2
	s_delay_alu instid0(SALU_CYCLE_1)
	s_or_b32 exec_lo, exec_lo, s28
.LBB4_6377:                             ;   in Loop: Header=BB4_4959 Depth=2
	s_delay_alu instid0(SALU_CYCLE_1) | instskip(NEXT) | instid1(SALU_CYCLE_1)
	s_or_b32 exec_lo, exec_lo, s7
	s_mov_b32 s7, exec_lo
	v_cmpx_lt_u32_e32 0xffffff, v16
	s_cbranch_execz .LBB4_6387
; %bb.6378:                             ;   in Loop: Header=BB4_4959 Depth=2
	v_lshrrev_b32_e32 v14, 24, v16
	v_bfrev_b32_e32 v2, 1
	s_mov_b32 s28, exec_lo
	s_delay_alu instid0(VALU_DEP_2)
	v_cmpx_ne_u32_e32 0x80, v14
	s_cbranch_execz .LBB4_6386
; %bb.6379:                             ;   in Loop: Header=BB4_4959 Depth=2
	v_and_b32_e32 v2, 0x7c000000, v16
	v_bfe_u32 v20, v16, 24, 2
	s_delay_alu instid0(VALU_DEP_2) | instskip(SKIP_1) | instid1(SALU_CYCLE_1)
	v_cmp_ne_u32_e32 vcc_lo, 0x7c000000, v2
                                        ; implicit-def: $vgpr2
	s_and_saveexec_b32 s29, vcc_lo
	s_xor_b32 s29, exec_lo, s29
	s_cbranch_execz .LBB4_6383
; %bb.6380:                             ;   in Loop: Header=BB4_4959 Depth=2
	v_bfe_u32 v2, v16, 26, 5
	s_mov_b32 s40, exec_lo
	s_delay_alu instid0(VALU_DEP_1)
	v_cmpx_eq_u32_e32 0, v2
; %bb.6381:                             ;   in Loop: Header=BB4_4959 Depth=2
	v_clz_i32_u32_e32 v2, v20
	s_delay_alu instid0(VALU_DEP_1) | instskip(NEXT) | instid1(VALU_DEP_1)
	v_min_u32_e32 v2, 32, v2
	v_subrev_nc_u32_e32 v20, 29, v2
	s_delay_alu instid0(VALU_DEP_1) | instskip(NEXT) | instid1(VALU_DEP_1)
	v_lshlrev_b64_e32 v[20:21], v20, v[14:15]
	v_dual_sub_nc_u32 v2, 30, v2 :: v_dual_bitop2_b32 v20, 3, v20 bitop3:0x40
; %bb.6382:                             ;   in Loop: Header=BB4_4959 Depth=2
	s_or_b32 exec_lo, exec_lo, s40
	v_and_b32_e32 v14, 0x80000000, v16
	s_delay_alu instid0(VALU_DEP_1) | instskip(NEXT) | instid1(VALU_DEP_1)
	v_lshl_add_u32 v2, v2, 23, v14
	v_lshl_or_b32 v2, v20, 21, v2
                                        ; implicit-def: $vgpr20
	s_delay_alu instid0(VALU_DEP_1)
	v_add_nc_u32_e32 v2, 0x38000000, v2
.LBB4_6383:                             ;   in Loop: Header=BB4_4959 Depth=2
	s_and_not1_saveexec_b32 s29, s29
; %bb.6384:                             ;   in Loop: Header=BB4_4959 Depth=2
	v_cmp_lt_i32_e32 vcc_lo, -1, v16
	v_cndmask_b32_e32 v2, 0xff800000, v109, vcc_lo
	v_cmp_eq_u32_e32 vcc_lo, 0, v20
	s_delay_alu instid0(VALU_DEP_2)
	v_cndmask_b32_e32 v2, 0x7f800001, v2, vcc_lo
; %bb.6385:                             ;   in Loop: Header=BB4_4959 Depth=2
	s_or_b32 exec_lo, exec_lo, s29
.LBB4_6386:                             ;   in Loop: Header=BB4_4959 Depth=2
	s_delay_alu instid0(SALU_CYCLE_1)
	s_or_b32 exec_lo, exec_lo, s28
.LBB4_6387:                             ;   in Loop: Header=BB4_4959 Depth=2
	s_delay_alu instid0(SALU_CYCLE_1) | instskip(NEXT) | instid1(VALU_DEP_1)
	s_or_b32 exec_lo, exec_lo, s7
	v_dual_add_f32 v14, v15, v2 :: v_dual_mov_b32 v21, v37
                                        ; implicit-def: $vgpr61
	s_mov_b32 s7, exec_lo
	s_delay_alu instid0(VALU_DEP_1) | instskip(SKIP_2) | instid1(VALU_DEP_3)
	v_and_b32_e32 v20, 0x7f800000, v14
	v_and_b32_e32 v36, 0x7fffff, v14
	v_lshrrev_b32_e32 v2, 24, v14
	v_cmpx_ne_u64_e32 0x7f800000, v[20:21]
	s_xor_b32 s28, exec_lo, s7
	s_cbranch_execz .LBB4_6401
; %bb.6388:                             ;   in Loop: Header=BB4_4959 Depth=2
	v_and_b32_e32 v20, 0x7fffffff, v14
	v_mov_b32_e32 v21, v37
	v_and_b32_e32 v2, 0x80, v2
                                        ; implicit-def: $vgpr61
	s_mov_b32 s7, exec_lo
	s_delay_alu instid0(VALU_DEP_2)
	v_cmpx_gt_u64_e32 0x47600001, v[20:21]
	s_xor_b32 s29, exec_lo, s7
	s_cbranch_execz .LBB4_6398
; %bb.6389:                             ;   in Loop: Header=BB4_4959 Depth=2
	v_mov_b32_e32 v61, 0
	s_mov_b32 s40, exec_lo
	v_cmpx_ne_u32_e32 0, v14
	s_cbranch_execz .LBB4_6397
; %bb.6390:                             ;   in Loop: Header=BB4_4959 Depth=2
	v_bfe_u32 v20, v14, 23, 8
	v_or_b32_e32 v24, 0x800000, v36
	s_delay_alu instid0(VALU_DEP_2) | instskip(SKIP_1) | instid1(VALU_DEP_2)
	v_dual_mov_b32 v25, v37 :: v_dual_sub_nc_u32 v14, 0x71, v20
	v_cmp_gt_u32_e32 vcc_lo, 0x72, v20
	v_cndmask_b32_e32 v14, 0, v14, vcc_lo
	v_cmp_eq_u32_e32 vcc_lo, 0, v20
	s_delay_alu instid0(VALU_DEP_2) | instskip(NEXT) | instid1(VALU_DEP_1)
	v_cndmask_b32_e64 v21, v14, 0x70, vcc_lo
	v_dual_cndmask_b32 v24, v24, v36, vcc_lo :: v_dual_add_nc_u32 v14, 21, v21
	v_add_nc_u32_e32 v31, 20, v21
	s_delay_alu instid0(VALU_DEP_2) | instskip(NEXT) | instid1(VALU_DEP_2)
	v_lshlrev_b64_e64 v[14:15], v14, -1
	v_lshlrev_b64_e64 v[86:87], v31, 1
	s_delay_alu instid0(VALU_DEP_2) | instskip(NEXT) | instid1(VALU_DEP_3)
	v_bfi_b32 v63, v15, 0, 0
	v_bfi_b32 v62, v14, 0, v24
	v_lshrrev_b64 v[14:15], v21, v[24:25]
	s_delay_alu instid0(VALU_DEP_2) | instskip(NEXT) | instid1(VALU_DEP_2)
	v_cmp_eq_u64_e64 s7, v[62:63], v[86:87]
	v_mov_b64_e32 v[86:87], v[14:15]
	s_and_saveexec_b32 s41, s7
; %bb.6391:                             ;   in Loop: Header=BB4_4959 Depth=2
	v_bfe_u32 v24, v14, 21, 1
	v_mov_b32_e32 v25, v37
	s_delay_alu instid0(VALU_DEP_1) | instskip(NEXT) | instid1(VALU_DEP_1)
	v_add_nc_u64_e32 v[24:25], v[14:15], v[24:25]
	v_add_nc_u64_e32 v[86:87], -1, v[24:25]
; %bb.6392:                             ;   in Loop: Header=BB4_4959 Depth=2
	s_or_b32 exec_lo, exec_lo, s41
	v_add_nc_u32_e32 v15, 0xffffff81, v20
	v_lshrrev_b32_e32 v20, 23, v14
	s_mov_b32 s7, exec_lo
	s_delay_alu instid0(VALU_DEP_2) | instskip(NEXT) | instid1(VALU_DEP_1)
	v_cndmask_b32_e64 v15, v15, 0xffffff82, vcc_lo
	v_add3_u32 v21, v21, v15, v20
	v_and_b32_e32 v15, 0x1fffff, v86
                                        ; implicit-def: $vgpr20
	s_delay_alu instid0(VALU_DEP_1) | instskip(NEXT) | instid1(VALU_DEP_1)
	v_dual_add_nc_u32 v86, 14, v21 :: v_dual_add_nc_u32 v36, v15, v14
                                        ; implicit-def: $vgpr14_vgpr15
	v_cmpx_ne_u32_e32 0, v86
	s_xor_b32 s7, exec_lo, s7
; %bb.6393:                             ;   in Loop: Header=BB4_4959 Depth=2
	s_delay_alu instid0(VALU_DEP_2) | instskip(SKIP_1) | instid1(VALU_DEP_1)
	v_cmp_lt_u64_e32 vcc_lo, 0xffffff, v[36:37]
	v_add_nc_u32_e32 v14, 15, v21
	v_cndmask_b32_e32 v20, v86, v14, vcc_lo
	v_cndmask_b32_e64 v14, 0, 1, vcc_lo
	s_delay_alu instid0(VALU_DEP_1)
	v_lshrrev_b64 v[14:15], v14, v[36:37]
; %bb.6394:                             ;   in Loop: Header=BB4_4959 Depth=2
	s_and_not1_saveexec_b32 s7, s7
; %bb.6395:                             ;   in Loop: Header=BB4_4959 Depth=2
	v_mov_b64_e32 v[14:15], v[36:37]
	v_bfe_u32 v20, v36, 23, 1
; %bb.6396:                             ;   in Loop: Header=BB4_4959 Depth=2
	s_or_b32 exec_lo, exec_lo, s7
	s_delay_alu instid0(VALU_DEP_2) | instskip(NEXT) | instid1(VALU_DEP_2)
	v_lshrrev_b64 v[14:15], 21, v[14:15]
	v_cmp_gt_i32_e32 vcc_lo, 32, v20
	v_min_i32_e32 v21, 31, v20
	v_cmp_eq_u32_e64 s7, 0, v20
	s_delay_alu instid0(VALU_DEP_2) | instskip(SKIP_1) | instid1(VALU_DEP_2)
	v_dual_cndmask_b32 v15, 0, v15, vcc_lo :: v_dual_lshlrev_b32 v21, 2, v21
	v_cndmask_b32_e32 v14, 3, v14, vcc_lo
	v_and_b32_e32 v21, 0xfc, v21
	s_delay_alu instid0(VALU_DEP_2) | instskip(NEXT) | instid1(VALU_DEP_2)
	v_cmp_eq_u64_e32 vcc_lo, 0, v[14:15]
	v_and_or_b32 v14, v14, 3, v21
	s_and_b32 s7, s7, vcc_lo
	s_delay_alu instid0(VALU_DEP_1) | instid1(SALU_CYCLE_1)
	v_cndmask_b32_e64 v14, v14, 0, s7
	s_delay_alu instid0(VALU_DEP_1)
	v_or_b32_e32 v61, v14, v2
.LBB4_6397:                             ;   in Loop: Header=BB4_4959 Depth=2
	s_or_b32 exec_lo, exec_lo, s40
                                        ; implicit-def: $vgpr2
.LBB4_6398:                             ;   in Loop: Header=BB4_4959 Depth=2
	s_and_not1_saveexec_b32 s7, s29
; %bb.6399:                             ;   in Loop: Header=BB4_4959 Depth=2
	v_or_b32_e32 v61, 0x7b, v2
; %bb.6400:                             ;   in Loop: Header=BB4_4959 Depth=2
	s_or_b32 exec_lo, exec_lo, s7
                                        ; implicit-def: $vgpr14
                                        ; implicit-def: $vgpr2
.LBB4_6401:                             ;   in Loop: Header=BB4_4959 Depth=2
	s_and_not1_saveexec_b32 s7, s28
	s_cbranch_execz .LBB4_6407
; %bb.6402:                             ;   in Loop: Header=BB4_4959 Depth=2
	s_mov_b32 s28, exec_lo
                                        ; implicit-def: $vgpr61
	v_cmpx_ne_u64_e32 0, v[36:37]
	s_xor_b32 s28, exec_lo, s28
; %bb.6403:                             ;   in Loop: Header=BB4_4959 Depth=2
	v_or_b32_e32 v61, 0x7f, v2
                                        ; implicit-def: $vgpr14
; %bb.6404:                             ;   in Loop: Header=BB4_4959 Depth=2
	s_and_not1_saveexec_b32 s28, s28
; %bb.6405:                             ;   in Loop: Header=BB4_4959 Depth=2
	v_cmp_lt_i32_e32 vcc_lo, -1, v14
	v_cndmask_b32_e32 v61, 0xfc, v110, vcc_lo
; %bb.6406:                             ;   in Loop: Header=BB4_4959 Depth=2
	s_or_b32 exec_lo, exec_lo, s28
.LBB4_6407:                             ;   in Loop: Header=BB4_4959 Depth=2
	s_delay_alu instid0(SALU_CYCLE_1) | instskip(SKIP_4) | instid1(VALU_DEP_2)
	s_or_b32 exec_lo, exec_lo, s7
	v_dual_lshlrev_b32 v14, 24, v60 :: v_dual_lshlrev_b32 v20, 16, v58
	v_lshl_or_b32 v2, v47, 8, v42
	v_mov_b32_e32 v15, 0
	s_mov_b32 s7, exec_lo
	v_or3_b32 v36, v20, v14, v2
	v_mov_b32_e32 v14, 0
	v_cmpx_ne_u32_e32 0, v42
	s_cbranch_execz .LBB4_6417
; %bb.6408:                             ;   in Loop: Header=BB4_4959 Depth=2
	v_bfrev_b32_e32 v14, 1
	s_mov_b32 s28, exec_lo
	v_cmpx_ne_u32_e32 0x80, v42
	s_cbranch_execz .LBB4_6416
; %bb.6409:                             ;   in Loop: Header=BB4_4959 Depth=2
	v_and_b32_e32 v14, 0x7c, v42
	v_and_b32_e32 v20, 3, v42
	s_delay_alu instid0(VALU_DEP_2) | instskip(SKIP_1) | instid1(SALU_CYCLE_1)
	v_cmp_ne_u32_e32 vcc_lo, 0x7c, v14
                                        ; implicit-def: $vgpr14
	s_and_saveexec_b32 s29, vcc_lo
	s_xor_b32 s29, exec_lo, s29
	s_cbranch_execz .LBB4_6413
; %bb.6410:                             ;   in Loop: Header=BB4_4959 Depth=2
	v_bfe_u32 v14, v42, 2, 5
	s_mov_b32 s40, exec_lo
	s_delay_alu instid0(VALU_DEP_1)
	v_cmpx_eq_u32_e32 0, v14
; %bb.6411:                             ;   in Loop: Header=BB4_4959 Depth=2
	v_clz_i32_u32_e32 v14, v20
	s_delay_alu instid0(VALU_DEP_1) | instskip(NEXT) | instid1(VALU_DEP_1)
	v_min_u32_e32 v14, 32, v14
	v_subrev_nc_u32_e32 v20, 29, v14
	s_delay_alu instid0(VALU_DEP_1) | instskip(NEXT) | instid1(VALU_DEP_1)
	v_lshlrev_b64_e32 v[20:21], v20, v[36:37]
	v_dual_sub_nc_u32 v14, 30, v14 :: v_dual_bitop2_b32 v20, 3, v20 bitop3:0x40
; %bb.6412:                             ;   in Loop: Header=BB4_4959 Depth=2
	s_or_b32 exec_lo, exec_lo, s40
	v_lshlrev_b32_e32 v21, 24, v42
                                        ; implicit-def: $vgpr42
	s_delay_alu instid0(VALU_DEP_1) | instskip(NEXT) | instid1(VALU_DEP_1)
	v_and_b32_e32 v21, 0x80000000, v21
	v_lshl_add_u32 v14, v14, 23, v21
	s_delay_alu instid0(VALU_DEP_1) | instskip(NEXT) | instid1(VALU_DEP_1)
	v_lshl_or_b32 v14, v20, 21, v14
                                        ; implicit-def: $vgpr20
	v_add_nc_u32_e32 v14, 0x38000000, v14
.LBB4_6413:                             ;   in Loop: Header=BB4_4959 Depth=2
	s_and_not1_saveexec_b32 s29, s29
; %bb.6414:                             ;   in Loop: Header=BB4_4959 Depth=2
	v_and_b32_e32 v14, 0x80, v42
	s_delay_alu instid0(VALU_DEP_1) | instskip(SKIP_2) | instid1(VALU_DEP_2)
	v_cmp_eq_u32_e32 vcc_lo, 0, v14
	v_cndmask_b32_e32 v14, 0xff800000, v109, vcc_lo
	v_cmp_eq_u32_e32 vcc_lo, 0, v20
	v_cndmask_b32_e32 v14, 0x7f800001, v14, vcc_lo
; %bb.6415:                             ;   in Loop: Header=BB4_4959 Depth=2
	s_or_b32 exec_lo, exec_lo, s29
.LBB4_6416:                             ;   in Loop: Header=BB4_4959 Depth=2
	s_delay_alu instid0(SALU_CYCLE_1)
	s_or_b32 exec_lo, exec_lo, s28
.LBB4_6417:                             ;   in Loop: Header=BB4_4959 Depth=2
	s_delay_alu instid0(SALU_CYCLE_1) | instskip(SKIP_2) | instid1(VALU_DEP_1)
	s_or_b32 exec_lo, exec_lo, s7
	v_and_b32_e32 v20, 0xff, v17
	s_mov_b32 s7, exec_lo
	v_cmpx_ne_u16_e32 0, v20
	s_cbranch_execz .LBB4_6427
; %bb.6418:                             ;   in Loop: Header=BB4_4959 Depth=2
	v_bfrev_b32_e32 v15, 1
	s_mov_b32 s28, exec_lo
	v_cmpx_ne_u16_e32 0x80, v20
	s_cbranch_execz .LBB4_6426
; %bb.6419:                             ;   in Loop: Header=BB4_4959 Depth=2
	v_and_b32_e32 v15, 0x7c, v17
	v_and_b32_e32 v20, 3, v17
	s_delay_alu instid0(VALU_DEP_2) | instskip(SKIP_1) | instid1(SALU_CYCLE_1)
	v_cmp_ne_u32_e32 vcc_lo, 0x7c, v15
                                        ; implicit-def: $vgpr15
	s_and_saveexec_b32 s29, vcc_lo
	s_xor_b32 s29, exec_lo, s29
	s_cbranch_execz .LBB4_6423
; %bb.6420:                             ;   in Loop: Header=BB4_4959 Depth=2
	v_bfe_u32 v15, v17, 2, 5
	s_mov_b32 s40, exec_lo
	s_delay_alu instid0(VALU_DEP_1)
	v_cmpx_eq_u32_e32 0, v15
; %bb.6421:                             ;   in Loop: Header=BB4_4959 Depth=2
	v_clz_i32_u32_e32 v15, v20
	v_dual_mov_b32 v20, v17 :: v_dual_mov_b32 v21, v37
	s_delay_alu instid0(VALU_DEP_2) | instskip(NEXT) | instid1(VALU_DEP_1)
	v_min_u32_e32 v15, 32, v15
	v_subrev_nc_u32_e32 v24, 29, v15
	s_delay_alu instid0(VALU_DEP_1) | instskip(NEXT) | instid1(VALU_DEP_1)
	v_lshlrev_b64_e32 v[20:21], v24, v[20:21]
	v_dual_sub_nc_u32 v15, 30, v15 :: v_dual_bitop2_b32 v20, 3, v20 bitop3:0x40
; %bb.6422:                             ;   in Loop: Header=BB4_4959 Depth=2
	s_or_b32 exec_lo, exec_lo, s40
	v_lshlrev_b32_e32 v21, 24, v17
	s_delay_alu instid0(VALU_DEP_1) | instskip(NEXT) | instid1(VALU_DEP_1)
	v_and_b32_e32 v21, 0x80000000, v21
	v_lshl_add_u32 v15, v15, 23, v21
	s_delay_alu instid0(VALU_DEP_1) | instskip(NEXT) | instid1(VALU_DEP_1)
	v_lshl_or_b32 v15, v20, 21, v15
                                        ; implicit-def: $vgpr20
	v_add_nc_u32_e32 v15, 0x38000000, v15
.LBB4_6423:                             ;   in Loop: Header=BB4_4959 Depth=2
	s_and_not1_saveexec_b32 s29, s29
; %bb.6424:                             ;   in Loop: Header=BB4_4959 Depth=2
	v_bfe_i32 v15, v17, 0, 8
	s_delay_alu instid0(VALU_DEP_1) | instskip(SKIP_2) | instid1(VALU_DEP_2)
	v_cmp_lt_i16_e32 vcc_lo, -1, v15
	v_cndmask_b32_e32 v15, 0xff800000, v109, vcc_lo
	v_cmp_eq_u32_e32 vcc_lo, 0, v20
	v_cndmask_b32_e32 v15, 0x7f800001, v15, vcc_lo
; %bb.6425:                             ;   in Loop: Header=BB4_4959 Depth=2
	s_or_b32 exec_lo, exec_lo, s29
.LBB4_6426:                             ;   in Loop: Header=BB4_4959 Depth=2
	s_delay_alu instid0(SALU_CYCLE_1)
	s_or_b32 exec_lo, exec_lo, s28
.LBB4_6427:                             ;   in Loop: Header=BB4_4959 Depth=2
	s_delay_alu instid0(SALU_CYCLE_1) | instskip(NEXT) | instid1(VALU_DEP_1)
	s_or_b32 exec_lo, exec_lo, s7
	v_dual_add_f32 v86, v14, v15 :: v_dual_mov_b32 v21, v37
	v_mov_b32_e32 v15, v37
                                        ; implicit-def: $vgpr42
	s_delay_alu instid0(VALU_DEP_2) | instskip(SKIP_1) | instid1(VALU_DEP_2)
	v_and_b32_e32 v20, 0x7f800000, v86
	v_and_b32_e32 v14, 0x7fffff, v86
	v_cmp_ne_u64_e32 vcc_lo, 0x7f800000, v[20:21]
	v_lshrrev_b32_e32 v20, 24, v86
	s_and_saveexec_b32 s7, vcc_lo
	s_delay_alu instid0(SALU_CYCLE_1)
	s_xor_b32 s28, exec_lo, s7
	s_cbranch_execz .LBB4_6441
; %bb.6428:                             ;   in Loop: Header=BB4_4959 Depth=2
	v_and_b32_e32 v24, 0x7fffffff, v86
	v_mov_b32_e32 v25, v37
	v_and_b32_e32 v47, 0x80, v20
                                        ; implicit-def: $vgpr42
	s_mov_b32 s7, exec_lo
	s_delay_alu instid0(VALU_DEP_2)
	v_cmpx_gt_u64_e32 0x47600001, v[24:25]
	s_xor_b32 s29, exec_lo, s7
	s_cbranch_execz .LBB4_6438
; %bb.6429:                             ;   in Loop: Header=BB4_4959 Depth=2
	v_mov_b32_e32 v42, 0
	s_mov_b32 s40, exec_lo
	v_cmpx_ne_u32_e32 0, v86
	s_cbranch_execz .LBB4_6437
; %bb.6430:                             ;   in Loop: Header=BB4_4959 Depth=2
	v_bfe_u32 v20, v86, 23, 8
	v_or_b32_e32 v31, 0x800000, v14
	s_delay_alu instid0(VALU_DEP_2) | instskip(SKIP_1) | instid1(VALU_DEP_2)
	v_sub_nc_u32_e32 v21, 0x71, v20
	v_cmp_gt_u32_e32 vcc_lo, 0x72, v20
	v_cndmask_b32_e32 v21, 0, v21, vcc_lo
	v_cmp_eq_u32_e32 vcc_lo, 0, v20
	s_delay_alu instid0(VALU_DEP_2) | instskip(NEXT) | instid1(VALU_DEP_1)
	v_cndmask_b32_e64 v21, v21, 0x70, vcc_lo
	v_dual_cndmask_b32 v14, v31, v14, vcc_lo :: v_dual_add_nc_u32 v24, 21, v21
	v_add_nc_u32_e32 v86, 20, v21
	s_delay_alu instid0(VALU_DEP_2) | instskip(NEXT) | instid1(VALU_DEP_2)
	v_lshlrev_b64_e64 v[24:25], v24, -1
	v_lshlrev_b64_e64 v[86:87], v86, 1
	s_delay_alu instid0(VALU_DEP_2) | instskip(SKIP_1) | instid1(VALU_DEP_4)
	v_bfi_b32 v24, v24, 0, v14
	v_lshrrev_b64 v[14:15], v21, v[14:15]
	v_bfi_b32 v25, v25, 0, 0
	s_delay_alu instid0(VALU_DEP_1) | instskip(NEXT) | instid1(VALU_DEP_3)
	v_cmp_eq_u64_e64 s7, v[24:25], v[86:87]
	v_mov_b64_e32 v[86:87], v[14:15]
	s_and_saveexec_b32 s41, s7
; %bb.6431:                             ;   in Loop: Header=BB4_4959 Depth=2
	v_bfe_u32 v24, v14, 21, 1
	v_mov_b32_e32 v25, v37
	s_delay_alu instid0(VALU_DEP_1) | instskip(NEXT) | instid1(VALU_DEP_1)
	v_add_nc_u64_e32 v[24:25], v[14:15], v[24:25]
	v_add_nc_u64_e32 v[86:87], -1, v[24:25]
; %bb.6432:                             ;   in Loop: Header=BB4_4959 Depth=2
	s_or_b32 exec_lo, exec_lo, s41
	v_add_nc_u32_e32 v15, 0xffffff81, v20
	v_lshrrev_b32_e32 v20, 23, v14
	s_mov_b32 s7, exec_lo
	s_delay_alu instid0(VALU_DEP_2) | instskip(NEXT) | instid1(VALU_DEP_1)
	v_cndmask_b32_e64 v15, v15, 0xffffff82, vcc_lo
	v_add3_u32 v21, v21, v15, v20
	v_and_b32_e32 v15, 0x1fffff, v86
                                        ; implicit-def: $vgpr20
	s_delay_alu instid0(VALU_DEP_1) | instskip(SKIP_1) | instid1(VALU_DEP_2)
	v_dual_add_nc_u32 v86, 14, v21 :: v_dual_add_nc_u32 v14, v15, v14
	v_mov_b32_e32 v15, v37
	v_cmpx_ne_u32_e32 0, v86
	s_xor_b32 s7, exec_lo, s7
; %bb.6433:                             ;   in Loop: Header=BB4_4959 Depth=2
	s_delay_alu instid0(VALU_DEP_2) | instskip(SKIP_2) | instid1(VALU_DEP_2)
	v_cmp_lt_u64_e32 vcc_lo, 0xffffff, v[14:15]
	v_add_nc_u32_e32 v20, 15, v21
	v_cndmask_b32_e64 v21, 0, 1, vcc_lo
	v_cndmask_b32_e32 v20, v86, v20, vcc_lo
	s_delay_alu instid0(VALU_DEP_2)
	v_lshrrev_b64 v[14:15], v21, v[14:15]
; %bb.6434:                             ;   in Loop: Header=BB4_4959 Depth=2
	s_and_not1_saveexec_b32 s7, s7
; %bb.6435:                             ;   in Loop: Header=BB4_4959 Depth=2
	s_delay_alu instid0(VALU_DEP_1)
	v_bfe_u32 v20, v14, 23, 1
; %bb.6436:                             ;   in Loop: Header=BB4_4959 Depth=2
	s_or_b32 exec_lo, exec_lo, s7
	s_delay_alu instid0(VALU_DEP_2) | instskip(NEXT) | instid1(VALU_DEP_2)
	v_lshrrev_b64 v[14:15], 21, v[14:15]
	v_cmp_gt_i32_e32 vcc_lo, 32, v20
	v_min_i32_e32 v21, 31, v20
	v_cmp_eq_u32_e64 s7, 0, v20
	s_delay_alu instid0(VALU_DEP_2) | instskip(SKIP_1) | instid1(VALU_DEP_2)
	v_dual_cndmask_b32 v15, 0, v15, vcc_lo :: v_dual_lshlrev_b32 v21, 2, v21
	v_cndmask_b32_e32 v14, 3, v14, vcc_lo
	v_and_b32_e32 v21, 0xfc, v21
	s_delay_alu instid0(VALU_DEP_2) | instskip(NEXT) | instid1(VALU_DEP_2)
	v_cmp_eq_u64_e32 vcc_lo, 0, v[14:15]
	v_and_or_b32 v14, v14, 3, v21
	s_and_b32 s7, s7, vcc_lo
	s_delay_alu instid0(VALU_DEP_1) | instid1(SALU_CYCLE_1)
	v_cndmask_b32_e64 v14, v14, 0, s7
	s_delay_alu instid0(VALU_DEP_1)
	v_or_b32_e32 v42, v14, v47
.LBB4_6437:                             ;   in Loop: Header=BB4_4959 Depth=2
	s_or_b32 exec_lo, exec_lo, s40
                                        ; implicit-def: $vgpr47
.LBB4_6438:                             ;   in Loop: Header=BB4_4959 Depth=2
	s_and_not1_saveexec_b32 s7, s29
; %bb.6439:                             ;   in Loop: Header=BB4_4959 Depth=2
	v_or_b32_e32 v42, 0x7b, v47
; %bb.6440:                             ;   in Loop: Header=BB4_4959 Depth=2
	s_or_b32 exec_lo, exec_lo, s7
                                        ; implicit-def: $vgpr86
                                        ; implicit-def: $vgpr14_vgpr15
                                        ; implicit-def: $vgpr20
.LBB4_6441:                             ;   in Loop: Header=BB4_4959 Depth=2
	s_and_not1_saveexec_b32 s7, s28
	s_cbranch_execz .LBB4_6447
; %bb.6442:                             ;   in Loop: Header=BB4_4959 Depth=2
	s_mov_b32 s28, exec_lo
                                        ; implicit-def: $vgpr42
	v_cmpx_ne_u64_e32 0, v[14:15]
	s_xor_b32 s28, exec_lo, s28
; %bb.6443:                             ;   in Loop: Header=BB4_4959 Depth=2
	v_or_b32_e32 v42, 0x7f, v20
                                        ; implicit-def: $vgpr86
; %bb.6444:                             ;   in Loop: Header=BB4_4959 Depth=2
	s_and_not1_saveexec_b32 s28, s28
; %bb.6445:                             ;   in Loop: Header=BB4_4959 Depth=2
	v_cmp_lt_i32_e32 vcc_lo, -1, v86
	v_cndmask_b32_e32 v42, 0xfc, v110, vcc_lo
; %bb.6446:                             ;   in Loop: Header=BB4_4959 Depth=2
	s_or_b32 exec_lo, exec_lo, s28
.LBB4_6447:                             ;   in Loop: Header=BB4_4959 Depth=2
	s_delay_alu instid0(SALU_CYCLE_1) | instskip(SKIP_3) | instid1(VALU_DEP_2)
	s_or_b32 exec_lo, exec_lo, s7
	v_lshrrev_b16 v14, 8, v2
	v_dual_mov_b32 v86, 0 :: v_dual_mov_b32 v87, 0
	s_mov_b32 s7, exec_lo
	v_cmpx_ne_u16_e32 0, v14
	s_cbranch_execz .LBB4_6457
; %bb.6448:                             ;   in Loop: Header=BB4_4959 Depth=2
	v_bfrev_b32_e32 v87, 1
	s_mov_b32 s28, exec_lo
	v_cmpx_ne_u16_e32 0x80, v14
	s_cbranch_execz .LBB4_6456
; %bb.6449:                             ;   in Loop: Header=BB4_4959 Depth=2
	v_and_b32_e32 v20, 0xffff, v14
	s_mov_b32 s29, exec_lo
                                        ; implicit-def: $vgpr87
	s_delay_alu instid0(VALU_DEP_1) | instskip(SKIP_1) | instid1(VALU_DEP_2)
	v_and_b32_e32 v21, 0x7c, v20
	v_and_b32_e32 v15, 3, v20
	v_cmpx_ne_u32_e32 0x7c, v21
	s_xor_b32 s29, exec_lo, s29
	s_cbranch_execz .LBB4_6453
; %bb.6450:                             ;   in Loop: Header=BB4_4959 Depth=2
	v_bfe_u32 v20, v20, 2, 5
	s_mov_b32 s40, exec_lo
	s_delay_alu instid0(VALU_DEP_1)
	v_cmpx_eq_u32_e32 0, v20
	s_cbranch_execz .LBB4_6452
; %bb.6451:                             ;   in Loop: Header=BB4_4959 Depth=2
	v_clz_i32_u32_e32 v15, v15
	s_delay_alu instid0(VALU_DEP_1) | instskip(SKIP_1) | instid1(VALU_DEP_2)
	v_min_u32_e32 v20, 32, v15
	v_mov_b32_e32 v15, v37
	v_subrev_nc_u32_e32 v21, 29, v20
	v_sub_nc_u32_e32 v20, 30, v20
	s_delay_alu instid0(VALU_DEP_2) | instskip(NEXT) | instid1(VALU_DEP_1)
	v_lshlrev_b64_e32 v[14:15], v21, v[14:15]
	v_and_b32_e32 v15, 3, v14
.LBB4_6452:                             ;   in Loop: Header=BB4_4959 Depth=2
	s_or_b32 exec_lo, exec_lo, s40
	v_lshlrev_b32_e32 v2, 16, v2
	s_delay_alu instid0(VALU_DEP_1) | instskip(NEXT) | instid1(VALU_DEP_1)
	v_and_b32_e32 v2, 0x80000000, v2
	v_lshl_add_u32 v2, v20, 23, v2
	s_delay_alu instid0(VALU_DEP_1) | instskip(NEXT) | instid1(VALU_DEP_1)
	v_lshl_or_b32 v2, v15, 21, v2
                                        ; implicit-def: $vgpr15
	v_add_nc_u32_e32 v87, 0x38000000, v2
                                        ; implicit-def: $vgpr2
.LBB4_6453:                             ;   in Loop: Header=BB4_4959 Depth=2
	s_and_not1_saveexec_b32 s29, s29
; %bb.6454:                             ;   in Loop: Header=BB4_4959 Depth=2
	v_cmp_lt_i16_e32 vcc_lo, -1, v2
	v_cndmask_b32_e32 v2, 0xff800000, v109, vcc_lo
	v_cmp_eq_u32_e32 vcc_lo, 0, v15
	s_delay_alu instid0(VALU_DEP_2)
	v_cndmask_b32_e32 v87, 0x7f800001, v2, vcc_lo
; %bb.6455:                             ;   in Loop: Header=BB4_4959 Depth=2
	s_or_b32 exec_lo, exec_lo, s29
.LBB4_6456:                             ;   in Loop: Header=BB4_4959 Depth=2
	s_delay_alu instid0(SALU_CYCLE_1)
	s_or_b32 exec_lo, exec_lo, s28
.LBB4_6457:                             ;   in Loop: Header=BB4_4959 Depth=2
	s_delay_alu instid0(SALU_CYCLE_1) | instskip(SKIP_2) | instid1(VALU_DEP_1)
	s_or_b32 exec_lo, exec_lo, s7
	v_lshrrev_b16 v14, 8, v17
	s_mov_b32 s7, exec_lo
	v_cmpx_ne_u16_e32 0, v14
	s_cbranch_execz .LBB4_6467
; %bb.6458:                             ;   in Loop: Header=BB4_4959 Depth=2
	v_bfrev_b32_e32 v86, 1
	s_mov_b32 s28, exec_lo
	v_cmpx_ne_u16_e32 0x80, v14
	s_cbranch_execz .LBB4_6466
; %bb.6459:                             ;   in Loop: Header=BB4_4959 Depth=2
	v_and_b32_e32 v15, 0xffff, v14
	s_mov_b32 s29, exec_lo
                                        ; implicit-def: $vgpr86
	s_delay_alu instid0(VALU_DEP_1) | instskip(SKIP_1) | instid1(VALU_DEP_2)
	v_and_b32_e32 v20, 0x7c, v15
	v_and_b32_e32 v2, 3, v15
	v_cmpx_ne_u32_e32 0x7c, v20
	s_xor_b32 s29, exec_lo, s29
	s_cbranch_execz .LBB4_6463
; %bb.6460:                             ;   in Loop: Header=BB4_4959 Depth=2
	v_bfe_u32 v15, v15, 2, 5
	s_mov_b32 s40, exec_lo
	s_delay_alu instid0(VALU_DEP_1)
	v_cmpx_eq_u32_e32 0, v15
	s_cbranch_execz .LBB4_6462
; %bb.6461:                             ;   in Loop: Header=BB4_4959 Depth=2
	v_clz_i32_u32_e32 v2, v2
	v_mov_b32_e32 v15, v37
	s_delay_alu instid0(VALU_DEP_2) | instskip(NEXT) | instid1(VALU_DEP_1)
	v_min_u32_e32 v2, 32, v2
	v_subrev_nc_u32_e32 v20, 29, v2
	s_delay_alu instid0(VALU_DEP_1) | instskip(SKIP_1) | instid1(VALU_DEP_2)
	v_lshlrev_b64_e32 v[14:15], v20, v[14:15]
	v_sub_nc_u32_e32 v15, 30, v2
	v_and_b32_e32 v2, 3, v14
.LBB4_6462:                             ;   in Loop: Header=BB4_4959 Depth=2
	s_or_b32 exec_lo, exec_lo, s40
	v_lshlrev_b32_e32 v14, 16, v17
	s_delay_alu instid0(VALU_DEP_1) | instskip(NEXT) | instid1(VALU_DEP_1)
	v_and_b32_e32 v14, 0x80000000, v14
	v_lshl_add_u32 v14, v15, 23, v14
	s_delay_alu instid0(VALU_DEP_1) | instskip(NEXT) | instid1(VALU_DEP_1)
	v_lshl_or_b32 v2, v2, 21, v14
	v_add_nc_u32_e32 v86, 0x38000000, v2
                                        ; implicit-def: $vgpr2
.LBB4_6463:                             ;   in Loop: Header=BB4_4959 Depth=2
	s_and_not1_saveexec_b32 s29, s29
; %bb.6464:                             ;   in Loop: Header=BB4_4959 Depth=2
	v_cmp_lt_i16_e32 vcc_lo, -1, v17
	v_cndmask_b32_e32 v14, 0xff800000, v109, vcc_lo
	v_cmp_eq_u32_e32 vcc_lo, 0, v2
	s_delay_alu instid0(VALU_DEP_2)
	v_cndmask_b32_e32 v86, 0x7f800001, v14, vcc_lo
; %bb.6465:                             ;   in Loop: Header=BB4_4959 Depth=2
	s_or_b32 exec_lo, exec_lo, s29
.LBB4_6466:                             ;   in Loop: Header=BB4_4959 Depth=2
	s_delay_alu instid0(SALU_CYCLE_1)
	s_or_b32 exec_lo, exec_lo, s28
.LBB4_6467:                             ;   in Loop: Header=BB4_4959 Depth=2
	s_delay_alu instid0(SALU_CYCLE_1) | instskip(NEXT) | instid1(VALU_DEP_1)
	s_or_b32 exec_lo, exec_lo, s7
	v_dual_add_f32 v86, v87, v86 :: v_dual_mov_b32 v21, v37
	v_mov_b32_e32 v15, v37
                                        ; implicit-def: $vgpr47
	s_mov_b32 s7, exec_lo
	s_delay_alu instid0(VALU_DEP_2) | instskip(SKIP_2) | instid1(VALU_DEP_3)
	v_and_b32_e32 v20, 0x7f800000, v86
	v_and_b32_e32 v14, 0x7fffff, v86
	v_lshrrev_b32_e32 v2, 24, v86
	v_cmpx_ne_u64_e32 0x7f800000, v[20:21]
	s_xor_b32 s28, exec_lo, s7
	s_cbranch_execz .LBB4_6481
; %bb.6468:                             ;   in Loop: Header=BB4_4959 Depth=2
	v_and_b32_e32 v20, 0x7fffffff, v86
	v_mov_b32_e32 v21, v37
	v_and_b32_e32 v2, 0x80, v2
                                        ; implicit-def: $vgpr47
	s_mov_b32 s7, exec_lo
	s_delay_alu instid0(VALU_DEP_2)
	v_cmpx_gt_u64_e32 0x47600001, v[20:21]
	s_xor_b32 s29, exec_lo, s7
	s_cbranch_execz .LBB4_6478
; %bb.6469:                             ;   in Loop: Header=BB4_4959 Depth=2
	v_mov_b32_e32 v47, 0
	s_mov_b32 s40, exec_lo
	v_cmpx_ne_u32_e32 0, v86
	s_cbranch_execz .LBB4_6477
; %bb.6470:                             ;   in Loop: Header=BB4_4959 Depth=2
	v_bfe_u32 v20, v86, 23, 8
	v_or_b32_e32 v31, 0x800000, v14
	s_delay_alu instid0(VALU_DEP_2) | instskip(SKIP_1) | instid1(VALU_DEP_2)
	v_sub_nc_u32_e32 v21, 0x71, v20
	v_cmp_gt_u32_e32 vcc_lo, 0x72, v20
	v_cndmask_b32_e32 v21, 0, v21, vcc_lo
	v_cmp_eq_u32_e32 vcc_lo, 0, v20
	s_delay_alu instid0(VALU_DEP_2) | instskip(NEXT) | instid1(VALU_DEP_1)
	v_cndmask_b32_e64 v21, v21, 0x70, vcc_lo
	v_dual_cndmask_b32 v14, v31, v14, vcc_lo :: v_dual_add_nc_u32 v24, 21, v21
	v_add_nc_u32_e32 v86, 20, v21
	s_delay_alu instid0(VALU_DEP_2) | instskip(NEXT) | instid1(VALU_DEP_2)
	v_lshlrev_b64_e64 v[24:25], v24, -1
	v_lshlrev_b64_e64 v[86:87], v86, 1
	s_delay_alu instid0(VALU_DEP_2) | instskip(SKIP_1) | instid1(VALU_DEP_4)
	v_bfi_b32 v24, v24, 0, v14
	v_lshrrev_b64 v[14:15], v21, v[14:15]
	v_bfi_b32 v25, v25, 0, 0
	s_delay_alu instid0(VALU_DEP_1) | instskip(NEXT) | instid1(VALU_DEP_3)
	v_cmp_eq_u64_e64 s7, v[24:25], v[86:87]
	v_mov_b64_e32 v[86:87], v[14:15]
	s_and_saveexec_b32 s41, s7
; %bb.6471:                             ;   in Loop: Header=BB4_4959 Depth=2
	v_bfe_u32 v24, v14, 21, 1
	v_mov_b32_e32 v25, v37
	s_delay_alu instid0(VALU_DEP_1) | instskip(NEXT) | instid1(VALU_DEP_1)
	v_add_nc_u64_e32 v[24:25], v[14:15], v[24:25]
	v_add_nc_u64_e32 v[86:87], -1, v[24:25]
; %bb.6472:                             ;   in Loop: Header=BB4_4959 Depth=2
	s_or_b32 exec_lo, exec_lo, s41
	v_add_nc_u32_e32 v15, 0xffffff81, v20
	v_lshrrev_b32_e32 v20, 23, v14
	s_mov_b32 s7, exec_lo
	s_delay_alu instid0(VALU_DEP_2) | instskip(NEXT) | instid1(VALU_DEP_1)
	v_cndmask_b32_e64 v15, v15, 0xffffff82, vcc_lo
	v_add3_u32 v21, v21, v15, v20
	v_and_b32_e32 v15, 0x1fffff, v86
                                        ; implicit-def: $vgpr20
	s_delay_alu instid0(VALU_DEP_1) | instskip(SKIP_1) | instid1(VALU_DEP_2)
	v_dual_add_nc_u32 v86, 14, v21 :: v_dual_add_nc_u32 v14, v15, v14
	v_mov_b32_e32 v15, v37
	v_cmpx_ne_u32_e32 0, v86
	s_xor_b32 s7, exec_lo, s7
; %bb.6473:                             ;   in Loop: Header=BB4_4959 Depth=2
	s_delay_alu instid0(VALU_DEP_2) | instskip(SKIP_2) | instid1(VALU_DEP_2)
	v_cmp_lt_u64_e32 vcc_lo, 0xffffff, v[14:15]
	v_add_nc_u32_e32 v20, 15, v21
	v_cndmask_b32_e64 v21, 0, 1, vcc_lo
	v_cndmask_b32_e32 v20, v86, v20, vcc_lo
	s_delay_alu instid0(VALU_DEP_2)
	v_lshrrev_b64 v[14:15], v21, v[14:15]
; %bb.6474:                             ;   in Loop: Header=BB4_4959 Depth=2
	s_and_not1_saveexec_b32 s7, s7
; %bb.6475:                             ;   in Loop: Header=BB4_4959 Depth=2
	s_delay_alu instid0(VALU_DEP_1)
	v_bfe_u32 v20, v14, 23, 1
; %bb.6476:                             ;   in Loop: Header=BB4_4959 Depth=2
	s_or_b32 exec_lo, exec_lo, s7
	s_delay_alu instid0(VALU_DEP_2) | instskip(NEXT) | instid1(VALU_DEP_2)
	v_lshrrev_b64 v[14:15], 21, v[14:15]
	v_cmp_gt_i32_e32 vcc_lo, 32, v20
	v_min_i32_e32 v21, 31, v20
	v_cmp_eq_u32_e64 s7, 0, v20
	s_delay_alu instid0(VALU_DEP_2) | instskip(SKIP_1) | instid1(VALU_DEP_2)
	v_dual_cndmask_b32 v15, 0, v15, vcc_lo :: v_dual_lshlrev_b32 v21, 2, v21
	v_cndmask_b32_e32 v14, 3, v14, vcc_lo
	v_and_b32_e32 v21, 0xfc, v21
	s_delay_alu instid0(VALU_DEP_2) | instskip(NEXT) | instid1(VALU_DEP_2)
	v_cmp_eq_u64_e32 vcc_lo, 0, v[14:15]
	v_and_or_b32 v14, v14, 3, v21
	s_and_b32 s7, s7, vcc_lo
	s_delay_alu instid0(VALU_DEP_1) | instid1(SALU_CYCLE_1)
	v_cndmask_b32_e64 v14, v14, 0, s7
	s_delay_alu instid0(VALU_DEP_1)
	v_or_b32_e32 v47, v14, v2
.LBB4_6477:                             ;   in Loop: Header=BB4_4959 Depth=2
	s_or_b32 exec_lo, exec_lo, s40
                                        ; implicit-def: $vgpr2
.LBB4_6478:                             ;   in Loop: Header=BB4_4959 Depth=2
	s_and_not1_saveexec_b32 s7, s29
; %bb.6479:                             ;   in Loop: Header=BB4_4959 Depth=2
	v_or_b32_e32 v47, 0x7b, v2
; %bb.6480:                             ;   in Loop: Header=BB4_4959 Depth=2
	s_or_b32 exec_lo, exec_lo, s7
                                        ; implicit-def: $vgpr86
                                        ; implicit-def: $vgpr14_vgpr15
                                        ; implicit-def: $vgpr2
.LBB4_6481:                             ;   in Loop: Header=BB4_4959 Depth=2
	s_and_not1_saveexec_b32 s7, s28
	s_cbranch_execz .LBB4_6487
; %bb.6482:                             ;   in Loop: Header=BB4_4959 Depth=2
	s_mov_b32 s28, exec_lo
                                        ; implicit-def: $vgpr47
	v_cmpx_ne_u64_e32 0, v[14:15]
	s_xor_b32 s28, exec_lo, s28
; %bb.6483:                             ;   in Loop: Header=BB4_4959 Depth=2
	v_or_b32_e32 v47, 0x7f, v2
                                        ; implicit-def: $vgpr86
; %bb.6484:                             ;   in Loop: Header=BB4_4959 Depth=2
	s_and_not1_saveexec_b32 s28, s28
; %bb.6485:                             ;   in Loop: Header=BB4_4959 Depth=2
	v_cmp_lt_i32_e32 vcc_lo, -1, v86
	v_cndmask_b32_e32 v47, 0xfc, v110, vcc_lo
; %bb.6486:                             ;   in Loop: Header=BB4_4959 Depth=2
	s_or_b32 exec_lo, exec_lo, s28
.LBB4_6487:                             ;   in Loop: Header=BB4_4959 Depth=2
	s_delay_alu instid0(SALU_CYCLE_1) | instskip(SKIP_3) | instid1(VALU_DEP_2)
	s_or_b32 exec_lo, exec_lo, s7
	v_dual_lshrrev_b32 v14, 16, v36 :: v_dual_mov_b32 v2, 0
	v_mov_b32_e32 v15, 0
	s_mov_b32 s7, exec_lo
	v_and_b32_e32 v20, 0xff, v14
	s_delay_alu instid0(VALU_DEP_1)
	v_cmpx_ne_u16_e32 0, v20
	s_cbranch_execz .LBB4_6497
; %bb.6488:                             ;   in Loop: Header=BB4_4959 Depth=2
	v_bfrev_b32_e32 v15, 1
	s_mov_b32 s28, exec_lo
	v_cmpx_ne_u16_e32 0x80, v20
	s_cbranch_execz .LBB4_6496
; %bb.6489:                             ;   in Loop: Header=BB4_4959 Depth=2
	v_and_b32_e32 v15, 0x7c0000, v36
	v_bfe_u32 v20, v36, 16, 2
	s_delay_alu instid0(VALU_DEP_2) | instskip(SKIP_1) | instid1(SALU_CYCLE_1)
	v_cmp_ne_u32_e32 vcc_lo, 0x7c0000, v15
                                        ; implicit-def: $vgpr15
	s_and_saveexec_b32 s29, vcc_lo
	s_xor_b32 s29, exec_lo, s29
	s_cbranch_execz .LBB4_6493
; %bb.6490:                             ;   in Loop: Header=BB4_4959 Depth=2
	v_bfe_u32 v15, v36, 18, 5
	s_mov_b32 s40, exec_lo
	s_delay_alu instid0(VALU_DEP_1)
	v_cmpx_eq_u32_e32 0, v15
; %bb.6491:                             ;   in Loop: Header=BB4_4959 Depth=2
	v_clz_i32_u32_e32 v15, v20
	s_delay_alu instid0(VALU_DEP_1) | instskip(NEXT) | instid1(VALU_DEP_1)
	v_min_u32_e32 v15, 32, v15
	v_subrev_nc_u32_e32 v20, 29, v15
	s_delay_alu instid0(VALU_DEP_1) | instskip(NEXT) | instid1(VALU_DEP_1)
	v_lshlrev_b64_e32 v[20:21], v20, v[14:15]
	v_dual_sub_nc_u32 v15, 30, v15 :: v_dual_bitop2_b32 v20, 3, v20 bitop3:0x40
; %bb.6492:                             ;   in Loop: Header=BB4_4959 Depth=2
	s_or_b32 exec_lo, exec_lo, s40
	v_lshlrev_b32_e32 v14, 24, v14
	s_delay_alu instid0(VALU_DEP_1) | instskip(NEXT) | instid1(VALU_DEP_1)
	v_and_b32_e32 v14, 0x80000000, v14
	v_lshl_add_u32 v14, v15, 23, v14
	s_delay_alu instid0(VALU_DEP_1) | instskip(NEXT) | instid1(VALU_DEP_1)
	v_lshl_or_b32 v14, v20, 21, v14
                                        ; implicit-def: $vgpr20
	v_add_nc_u32_e32 v15, 0x38000000, v14
                                        ; implicit-def: $vgpr14
.LBB4_6493:                             ;   in Loop: Header=BB4_4959 Depth=2
	s_and_not1_saveexec_b32 s29, s29
; %bb.6494:                             ;   in Loop: Header=BB4_4959 Depth=2
	v_bfe_i32 v14, v14, 0, 8
	s_delay_alu instid0(VALU_DEP_1) | instskip(SKIP_2) | instid1(VALU_DEP_2)
	v_cmp_lt_i16_e32 vcc_lo, -1, v14
	v_cndmask_b32_e32 v14, 0xff800000, v109, vcc_lo
	v_cmp_eq_u32_e32 vcc_lo, 0, v20
	v_cndmask_b32_e32 v15, 0x7f800001, v14, vcc_lo
; %bb.6495:                             ;   in Loop: Header=BB4_4959 Depth=2
	s_or_b32 exec_lo, exec_lo, s29
.LBB4_6496:                             ;   in Loop: Header=BB4_4959 Depth=2
	s_delay_alu instid0(SALU_CYCLE_1)
	s_or_b32 exec_lo, exec_lo, s28
.LBB4_6497:                             ;   in Loop: Header=BB4_4959 Depth=2
	s_delay_alu instid0(SALU_CYCLE_1) | instskip(SKIP_2) | instid1(VALU_DEP_1)
	s_or_b32 exec_lo, exec_lo, s7
	v_lshrrev_b32_e32 v14, 16, v17
	s_mov_b32 s7, exec_lo
	v_and_b32_e32 v20, 0xff, v14
	s_delay_alu instid0(VALU_DEP_1)
	v_cmpx_ne_u16_e32 0, v20
	s_cbranch_execz .LBB4_6507
; %bb.6498:                             ;   in Loop: Header=BB4_4959 Depth=2
	v_bfrev_b32_e32 v2, 1
	s_mov_b32 s28, exec_lo
	v_cmpx_ne_u16_e32 0x80, v20
	s_cbranch_execz .LBB4_6506
; %bb.6499:                             ;   in Loop: Header=BB4_4959 Depth=2
	v_and_b32_e32 v2, 0x7c0000, v17
	v_bfe_u32 v20, v17, 16, 2
	s_delay_alu instid0(VALU_DEP_2) | instskip(SKIP_1) | instid1(SALU_CYCLE_1)
	v_cmp_ne_u32_e32 vcc_lo, 0x7c0000, v2
                                        ; implicit-def: $vgpr2
	s_and_saveexec_b32 s29, vcc_lo
	s_xor_b32 s29, exec_lo, s29
	s_cbranch_execz .LBB4_6503
; %bb.6500:                             ;   in Loop: Header=BB4_4959 Depth=2
	v_bfe_u32 v2, v17, 18, 5
	s_mov_b32 s40, exec_lo
	s_delay_alu instid0(VALU_DEP_1)
	v_cmpx_eq_u32_e32 0, v2
; %bb.6501:                             ;   in Loop: Header=BB4_4959 Depth=2
	v_clz_i32_u32_e32 v2, v20
	s_delay_alu instid0(VALU_DEP_1) | instskip(NEXT) | instid1(VALU_DEP_1)
	v_min_u32_e32 v2, 32, v2
	v_subrev_nc_u32_e32 v20, 29, v2
	s_delay_alu instid0(VALU_DEP_1) | instskip(NEXT) | instid1(VALU_DEP_1)
	v_lshlrev_b64_e32 v[20:21], v20, v[14:15]
	v_dual_sub_nc_u32 v2, 30, v2 :: v_dual_bitop2_b32 v20, 3, v20 bitop3:0x40
; %bb.6502:                             ;   in Loop: Header=BB4_4959 Depth=2
	s_or_b32 exec_lo, exec_lo, s40
	v_lshlrev_b32_e32 v14, 24, v14
	s_delay_alu instid0(VALU_DEP_1) | instskip(NEXT) | instid1(VALU_DEP_1)
	v_and_b32_e32 v14, 0x80000000, v14
	v_lshl_add_u32 v2, v2, 23, v14
                                        ; implicit-def: $vgpr14
	s_delay_alu instid0(VALU_DEP_1) | instskip(NEXT) | instid1(VALU_DEP_1)
	v_lshl_or_b32 v2, v20, 21, v2
                                        ; implicit-def: $vgpr20
	v_add_nc_u32_e32 v2, 0x38000000, v2
.LBB4_6503:                             ;   in Loop: Header=BB4_4959 Depth=2
	s_and_not1_saveexec_b32 s29, s29
; %bb.6504:                             ;   in Loop: Header=BB4_4959 Depth=2
	v_bfe_i32 v2, v14, 0, 8
	s_delay_alu instid0(VALU_DEP_1) | instskip(SKIP_2) | instid1(VALU_DEP_2)
	v_cmp_lt_i16_e32 vcc_lo, -1, v2
	v_cndmask_b32_e32 v2, 0xff800000, v109, vcc_lo
	v_cmp_eq_u32_e32 vcc_lo, 0, v20
	v_cndmask_b32_e32 v2, 0x7f800001, v2, vcc_lo
; %bb.6505:                             ;   in Loop: Header=BB4_4959 Depth=2
	s_or_b32 exec_lo, exec_lo, s29
.LBB4_6506:                             ;   in Loop: Header=BB4_4959 Depth=2
	s_delay_alu instid0(SALU_CYCLE_1)
	s_or_b32 exec_lo, exec_lo, s28
.LBB4_6507:                             ;   in Loop: Header=BB4_4959 Depth=2
	s_delay_alu instid0(SALU_CYCLE_1) | instskip(NEXT) | instid1(VALU_DEP_1)
	s_or_b32 exec_lo, exec_lo, s7
	v_dual_add_f32 v87, v15, v2 :: v_dual_mov_b32 v21, v37
	v_mov_b32_e32 v15, v37
                                        ; implicit-def: $vgpr86
	s_mov_b32 s7, exec_lo
	s_delay_alu instid0(VALU_DEP_2) | instskip(SKIP_2) | instid1(VALU_DEP_3)
	v_and_b32_e32 v20, 0x7f800000, v87
	v_and_b32_e32 v14, 0x7fffff, v87
	v_lshrrev_b32_e32 v2, 24, v87
	v_cmpx_ne_u64_e32 0x7f800000, v[20:21]
	s_xor_b32 s28, exec_lo, s7
	s_cbranch_execz .LBB4_6521
; %bb.6508:                             ;   in Loop: Header=BB4_4959 Depth=2
	v_and_b32_e32 v20, 0x7fffffff, v87
	v_mov_b32_e32 v21, v37
	v_and_b32_e32 v2, 0x80, v2
                                        ; implicit-def: $vgpr86
	s_mov_b32 s7, exec_lo
	s_delay_alu instid0(VALU_DEP_2)
	v_cmpx_gt_u64_e32 0x47600001, v[20:21]
	s_xor_b32 s29, exec_lo, s7
	s_cbranch_execz .LBB4_6518
; %bb.6509:                             ;   in Loop: Header=BB4_4959 Depth=2
	v_mov_b32_e32 v86, 0
	s_mov_b32 s40, exec_lo
	v_cmpx_ne_u32_e32 0, v87
	s_cbranch_execz .LBB4_6517
; %bb.6510:                             ;   in Loop: Header=BB4_4959 Depth=2
	v_bfe_u32 v20, v87, 23, 8
	v_or_b32_e32 v31, 0x800000, v14
	s_delay_alu instid0(VALU_DEP_2) | instskip(SKIP_1) | instid1(VALU_DEP_2)
	v_sub_nc_u32_e32 v21, 0x71, v20
	v_cmp_gt_u32_e32 vcc_lo, 0x72, v20
	v_cndmask_b32_e32 v21, 0, v21, vcc_lo
	v_cmp_eq_u32_e32 vcc_lo, 0, v20
	s_delay_alu instid0(VALU_DEP_2) | instskip(NEXT) | instid1(VALU_DEP_1)
	v_cndmask_b32_e64 v21, v21, 0x70, vcc_lo
	v_dual_cndmask_b32 v14, v31, v14, vcc_lo :: v_dual_add_nc_u32 v24, 21, v21
	v_add_nc_u32_e32 v86, 20, v21
	s_delay_alu instid0(VALU_DEP_2) | instskip(NEXT) | instid1(VALU_DEP_2)
	v_lshlrev_b64_e64 v[24:25], v24, -1
	v_lshlrev_b64_e64 v[86:87], v86, 1
	s_delay_alu instid0(VALU_DEP_2) | instskip(SKIP_1) | instid1(VALU_DEP_4)
	v_bfi_b32 v24, v24, 0, v14
	v_lshrrev_b64 v[14:15], v21, v[14:15]
	v_bfi_b32 v25, v25, 0, 0
	s_delay_alu instid0(VALU_DEP_1) | instskip(NEXT) | instid1(VALU_DEP_3)
	v_cmp_eq_u64_e64 s7, v[24:25], v[86:87]
	v_mov_b64_e32 v[86:87], v[14:15]
	s_and_saveexec_b32 s41, s7
; %bb.6511:                             ;   in Loop: Header=BB4_4959 Depth=2
	v_bfe_u32 v24, v14, 21, 1
	v_mov_b32_e32 v25, v37
	s_delay_alu instid0(VALU_DEP_1) | instskip(NEXT) | instid1(VALU_DEP_1)
	v_add_nc_u64_e32 v[24:25], v[14:15], v[24:25]
	v_add_nc_u64_e32 v[86:87], -1, v[24:25]
; %bb.6512:                             ;   in Loop: Header=BB4_4959 Depth=2
	s_or_b32 exec_lo, exec_lo, s41
	v_add_nc_u32_e32 v15, 0xffffff81, v20
	v_lshrrev_b32_e32 v20, 23, v14
	s_mov_b32 s7, exec_lo
	s_delay_alu instid0(VALU_DEP_2) | instskip(NEXT) | instid1(VALU_DEP_1)
	v_cndmask_b32_e64 v15, v15, 0xffffff82, vcc_lo
	v_add3_u32 v21, v21, v15, v20
	v_and_b32_e32 v15, 0x1fffff, v86
                                        ; implicit-def: $vgpr20
	s_delay_alu instid0(VALU_DEP_1) | instskip(SKIP_1) | instid1(VALU_DEP_2)
	v_dual_add_nc_u32 v86, 14, v21 :: v_dual_add_nc_u32 v14, v15, v14
	v_mov_b32_e32 v15, v37
	v_cmpx_ne_u32_e32 0, v86
	s_xor_b32 s7, exec_lo, s7
; %bb.6513:                             ;   in Loop: Header=BB4_4959 Depth=2
	s_delay_alu instid0(VALU_DEP_2) | instskip(SKIP_2) | instid1(VALU_DEP_2)
	v_cmp_lt_u64_e32 vcc_lo, 0xffffff, v[14:15]
	v_add_nc_u32_e32 v20, 15, v21
	v_cndmask_b32_e64 v21, 0, 1, vcc_lo
	v_cndmask_b32_e32 v20, v86, v20, vcc_lo
	s_delay_alu instid0(VALU_DEP_2)
	v_lshrrev_b64 v[14:15], v21, v[14:15]
; %bb.6514:                             ;   in Loop: Header=BB4_4959 Depth=2
	s_and_not1_saveexec_b32 s7, s7
; %bb.6515:                             ;   in Loop: Header=BB4_4959 Depth=2
	s_delay_alu instid0(VALU_DEP_1)
	v_bfe_u32 v20, v14, 23, 1
; %bb.6516:                             ;   in Loop: Header=BB4_4959 Depth=2
	s_or_b32 exec_lo, exec_lo, s7
	s_delay_alu instid0(VALU_DEP_2) | instskip(NEXT) | instid1(VALU_DEP_2)
	v_lshrrev_b64 v[14:15], 21, v[14:15]
	v_cmp_gt_i32_e32 vcc_lo, 32, v20
	v_min_i32_e32 v21, 31, v20
	v_cmp_eq_u32_e64 s7, 0, v20
	s_delay_alu instid0(VALU_DEP_2) | instskip(SKIP_1) | instid1(VALU_DEP_2)
	v_dual_cndmask_b32 v15, 0, v15, vcc_lo :: v_dual_lshlrev_b32 v21, 2, v21
	v_cndmask_b32_e32 v14, 3, v14, vcc_lo
	v_and_b32_e32 v21, 0xfc, v21
	s_delay_alu instid0(VALU_DEP_2) | instskip(NEXT) | instid1(VALU_DEP_2)
	v_cmp_eq_u64_e32 vcc_lo, 0, v[14:15]
	v_and_or_b32 v14, v14, 3, v21
	s_and_b32 s7, s7, vcc_lo
	s_delay_alu instid0(VALU_DEP_1) | instid1(SALU_CYCLE_1)
	v_cndmask_b32_e64 v14, v14, 0, s7
	s_delay_alu instid0(VALU_DEP_1)
	v_or_b32_e32 v86, v14, v2
.LBB4_6517:                             ;   in Loop: Header=BB4_4959 Depth=2
	s_or_b32 exec_lo, exec_lo, s40
                                        ; implicit-def: $vgpr2
.LBB4_6518:                             ;   in Loop: Header=BB4_4959 Depth=2
	s_and_not1_saveexec_b32 s7, s29
; %bb.6519:                             ;   in Loop: Header=BB4_4959 Depth=2
	v_or_b32_e32 v86, 0x7b, v2
; %bb.6520:                             ;   in Loop: Header=BB4_4959 Depth=2
	s_or_b32 exec_lo, exec_lo, s7
                                        ; implicit-def: $vgpr87
                                        ; implicit-def: $vgpr14_vgpr15
                                        ; implicit-def: $vgpr2
.LBB4_6521:                             ;   in Loop: Header=BB4_4959 Depth=2
	s_and_not1_saveexec_b32 s7, s28
	s_cbranch_execz .LBB4_6527
; %bb.6522:                             ;   in Loop: Header=BB4_4959 Depth=2
	s_mov_b32 s28, exec_lo
                                        ; implicit-def: $vgpr86
	v_cmpx_ne_u64_e32 0, v[14:15]
	s_xor_b32 s28, exec_lo, s28
; %bb.6523:                             ;   in Loop: Header=BB4_4959 Depth=2
	v_or_b32_e32 v86, 0x7f, v2
                                        ; implicit-def: $vgpr87
; %bb.6524:                             ;   in Loop: Header=BB4_4959 Depth=2
	s_and_not1_saveexec_b32 s28, s28
; %bb.6525:                             ;   in Loop: Header=BB4_4959 Depth=2
	v_cmp_lt_i32_e32 vcc_lo, -1, v87
	v_cndmask_b32_e32 v86, 0xfc, v110, vcc_lo
; %bb.6526:                             ;   in Loop: Header=BB4_4959 Depth=2
	s_or_b32 exec_lo, exec_lo, s28
.LBB4_6527:                             ;   in Loop: Header=BB4_4959 Depth=2
	s_delay_alu instid0(SALU_CYCLE_1)
	s_or_b32 exec_lo, exec_lo, s7
	v_dual_mov_b32 v2, 0 :: v_dual_mov_b32 v15, 0
	s_mov_b32 s7, exec_lo
	v_cmpx_lt_u32_e32 0xffffff, v36
	s_cbranch_execz .LBB4_6537
; %bb.6528:                             ;   in Loop: Header=BB4_4959 Depth=2
	v_lshrrev_b32_e32 v14, 24, v36
	v_bfrev_b32_e32 v15, 1
	s_mov_b32 s28, exec_lo
	s_delay_alu instid0(VALU_DEP_2)
	v_cmpx_ne_u32_e32 0x80, v14
	s_cbranch_execz .LBB4_6536
; %bb.6529:                             ;   in Loop: Header=BB4_4959 Depth=2
	v_and_b32_e32 v15, 0x7c000000, v36
	v_bfe_u32 v20, v36, 24, 2
	s_delay_alu instid0(VALU_DEP_2) | instskip(SKIP_1) | instid1(SALU_CYCLE_1)
	v_cmp_ne_u32_e32 vcc_lo, 0x7c000000, v15
                                        ; implicit-def: $vgpr15
	s_and_saveexec_b32 s29, vcc_lo
	s_xor_b32 s29, exec_lo, s29
	s_cbranch_execz .LBB4_6533
; %bb.6530:                             ;   in Loop: Header=BB4_4959 Depth=2
	v_bfe_u32 v15, v36, 26, 5
	s_mov_b32 s40, exec_lo
	s_delay_alu instid0(VALU_DEP_1)
	v_cmpx_eq_u32_e32 0, v15
; %bb.6531:                             ;   in Loop: Header=BB4_4959 Depth=2
	v_clz_i32_u32_e32 v15, v20
	s_delay_alu instid0(VALU_DEP_1) | instskip(NEXT) | instid1(VALU_DEP_1)
	v_min_u32_e32 v20, 32, v15
	v_subrev_nc_u32_e32 v15, 29, v20
	s_delay_alu instid0(VALU_DEP_1) | instskip(NEXT) | instid1(VALU_DEP_1)
	v_lshlrev_b64_e32 v[14:15], v15, v[14:15]
	v_dual_sub_nc_u32 v15, 30, v20 :: v_dual_bitop2_b32 v20, 3, v14 bitop3:0x40
; %bb.6532:                             ;   in Loop: Header=BB4_4959 Depth=2
	s_or_b32 exec_lo, exec_lo, s40
	v_and_b32_e32 v14, 0x80000000, v36
	s_delay_alu instid0(VALU_DEP_1) | instskip(NEXT) | instid1(VALU_DEP_1)
	v_lshl_add_u32 v14, v15, 23, v14
	v_lshl_or_b32 v14, v20, 21, v14
                                        ; implicit-def: $vgpr20
	s_delay_alu instid0(VALU_DEP_1)
	v_add_nc_u32_e32 v15, 0x38000000, v14
.LBB4_6533:                             ;   in Loop: Header=BB4_4959 Depth=2
	s_and_not1_saveexec_b32 s29, s29
; %bb.6534:                             ;   in Loop: Header=BB4_4959 Depth=2
	v_cmp_lt_i32_e32 vcc_lo, -1, v36
	v_cndmask_b32_e32 v14, 0xff800000, v109, vcc_lo
	v_cmp_eq_u32_e32 vcc_lo, 0, v20
	s_delay_alu instid0(VALU_DEP_2)
	v_cndmask_b32_e32 v15, 0x7f800001, v14, vcc_lo
; %bb.6535:                             ;   in Loop: Header=BB4_4959 Depth=2
	s_or_b32 exec_lo, exec_lo, s29
.LBB4_6536:                             ;   in Loop: Header=BB4_4959 Depth=2
	s_delay_alu instid0(SALU_CYCLE_1)
	s_or_b32 exec_lo, exec_lo, s28
.LBB4_6537:                             ;   in Loop: Header=BB4_4959 Depth=2
	s_delay_alu instid0(SALU_CYCLE_1) | instskip(NEXT) | instid1(SALU_CYCLE_1)
	s_or_b32 exec_lo, exec_lo, s7
	s_mov_b32 s7, exec_lo
	v_cmpx_lt_u64_e64 s[12:13], v[16:17]
	s_cbranch_execz .LBB4_6547
; %bb.6538:                             ;   in Loop: Header=BB4_4959 Depth=2
	v_lshrrev_b32_e32 v14, 24, v17
	v_bfrev_b32_e32 v2, 1
	s_mov_b32 s28, exec_lo
	s_delay_alu instid0(VALU_DEP_2)
	v_cmpx_ne_u32_e32 0x80, v14
	s_cbranch_execz .LBB4_6546
; %bb.6539:                             ;   in Loop: Header=BB4_4959 Depth=2
	v_and_b32_e32 v2, 0x7c000000, v17
	v_bfe_u32 v20, v17, 24, 2
	s_delay_alu instid0(VALU_DEP_2) | instskip(SKIP_1) | instid1(SALU_CYCLE_1)
	v_cmp_ne_u32_e32 vcc_lo, 0x7c000000, v2
                                        ; implicit-def: $vgpr2
	s_and_saveexec_b32 s29, vcc_lo
	s_xor_b32 s29, exec_lo, s29
	s_cbranch_execz .LBB4_6543
; %bb.6540:                             ;   in Loop: Header=BB4_4959 Depth=2
	v_bfe_u32 v2, v17, 26, 5
	s_mov_b32 s40, exec_lo
	s_delay_alu instid0(VALU_DEP_1)
	v_cmpx_eq_u32_e32 0, v2
; %bb.6541:                             ;   in Loop: Header=BB4_4959 Depth=2
	v_clz_i32_u32_e32 v2, v20
	s_delay_alu instid0(VALU_DEP_1) | instskip(NEXT) | instid1(VALU_DEP_1)
	v_min_u32_e32 v2, 32, v2
	v_subrev_nc_u32_e32 v16, 29, v2
	s_delay_alu instid0(VALU_DEP_1) | instskip(NEXT) | instid1(VALU_DEP_1)
	v_lshlrev_b64_e32 v[20:21], v16, v[14:15]
	v_dual_sub_nc_u32 v2, 30, v2 :: v_dual_bitop2_b32 v20, 3, v20 bitop3:0x40
; %bb.6542:                             ;   in Loop: Header=BB4_4959 Depth=2
	s_or_b32 exec_lo, exec_lo, s40
	v_and_b32_e32 v14, 0x80000000, v17
                                        ; implicit-def: $vgpr16_vgpr17
	s_delay_alu instid0(VALU_DEP_1) | instskip(NEXT) | instid1(VALU_DEP_1)
	v_lshl_add_u32 v2, v2, 23, v14
	v_lshl_or_b32 v2, v20, 21, v2
                                        ; implicit-def: $vgpr20
	s_delay_alu instid0(VALU_DEP_1)
	v_add_nc_u32_e32 v2, 0x38000000, v2
.LBB4_6543:                             ;   in Loop: Header=BB4_4959 Depth=2
	s_and_not1_saveexec_b32 s29, s29
; %bb.6544:                             ;   in Loop: Header=BB4_4959 Depth=2
	v_cmp_lt_i64_e32 vcc_lo, -1, v[16:17]
	v_cndmask_b32_e32 v2, 0xff800000, v109, vcc_lo
	v_cmp_eq_u32_e32 vcc_lo, 0, v20
	s_delay_alu instid0(VALU_DEP_2)
	v_cndmask_b32_e32 v2, 0x7f800001, v2, vcc_lo
; %bb.6545:                             ;   in Loop: Header=BB4_4959 Depth=2
	s_or_b32 exec_lo, exec_lo, s29
.LBB4_6546:                             ;   in Loop: Header=BB4_4959 Depth=2
	s_delay_alu instid0(SALU_CYCLE_1)
	s_or_b32 exec_lo, exec_lo, s28
.LBB4_6547:                             ;   in Loop: Header=BB4_4959 Depth=2
	s_delay_alu instid0(SALU_CYCLE_1) | instskip(NEXT) | instid1(VALU_DEP_1)
	s_or_b32 exec_lo, exec_lo, s7
	v_dual_add_f32 v14, v15, v2 :: v_dual_mov_b32 v17, v37
                                        ; implicit-def: $vgpr87
	s_mov_b32 s7, exec_lo
	s_delay_alu instid0(VALU_DEP_1) | instskip(SKIP_2) | instid1(VALU_DEP_3)
	v_and_b32_e32 v16, 0x7f800000, v14
	v_and_b32_e32 v36, 0x7fffff, v14
	v_lshrrev_b32_e32 v2, 24, v14
	v_cmpx_ne_u64_e32 0x7f800000, v[16:17]
	s_xor_b32 s28, exec_lo, s7
	s_cbranch_execz .LBB4_6561
; %bb.6548:                             ;   in Loop: Header=BB4_4959 Depth=2
	v_and_b32_e32 v16, 0x7fffffff, v14
	v_mov_b32_e32 v17, v37
	v_and_b32_e32 v2, 0x80, v2
                                        ; implicit-def: $vgpr87
	s_mov_b32 s7, exec_lo
	s_delay_alu instid0(VALU_DEP_2)
	v_cmpx_gt_u64_e32 0x47600001, v[16:17]
	s_xor_b32 s29, exec_lo, s7
	s_cbranch_execz .LBB4_6558
; %bb.6549:                             ;   in Loop: Header=BB4_4959 Depth=2
	v_mov_b32_e32 v87, 0
	s_mov_b32 s40, exec_lo
	v_cmpx_ne_u32_e32 0, v14
	s_cbranch_execz .LBB4_6557
; %bb.6550:                             ;   in Loop: Header=BB4_4959 Depth=2
	v_bfe_u32 v20, v14, 23, 8
	v_or_b32_e32 v16, 0x800000, v36
	s_mov_b32 s41, exec_lo
	s_delay_alu instid0(VALU_DEP_2) | instskip(SKIP_1) | instid1(VALU_DEP_2)
	v_dual_mov_b32 v17, v37 :: v_dual_sub_nc_u32 v14, 0x71, v20
	v_cmp_gt_u32_e32 vcc_lo, 0x72, v20
	v_cndmask_b32_e32 v14, 0, v14, vcc_lo
	v_cmp_eq_u32_e32 vcc_lo, 0, v20
	s_delay_alu instid0(VALU_DEP_2) | instskip(NEXT) | instid1(VALU_DEP_1)
	v_cndmask_b32_e64 v21, v14, 0x70, vcc_lo
	v_dual_cndmask_b32 v16, v16, v36, vcc_lo :: v_dual_add_nc_u32 v14, 21, v21
	v_add_nc_u32_e32 v24, 20, v21
	s_delay_alu instid0(VALU_DEP_2) | instskip(NEXT) | instid1(VALU_DEP_2)
	v_lshlrev_b64_e64 v[14:15], v14, -1
	v_lshlrev_b64_e64 v[24:25], v24, 1
	s_delay_alu instid0(VALU_DEP_2) | instskip(NEXT) | instid1(VALU_DEP_3)
	v_bfi_b32 v63, v15, 0, 0
	v_bfi_b32 v62, v14, 0, v16
	v_lshrrev_b64 v[14:15], v21, v[16:17]
	s_delay_alu instid0(VALU_DEP_1) | instskip(NEXT) | instid1(VALU_DEP_3)
	v_mov_b64_e32 v[16:17], v[14:15]
	v_cmpx_eq_u64_e64 v[62:63], v[24:25]
; %bb.6551:                             ;   in Loop: Header=BB4_4959 Depth=2
	v_bfe_u32 v16, v14, 21, 1
	v_mov_b32_e32 v17, v37
	s_delay_alu instid0(VALU_DEP_1) | instskip(NEXT) | instid1(VALU_DEP_1)
	v_add_nc_u64_e32 v[16:17], v[14:15], v[16:17]
	v_add_nc_u64_e32 v[16:17], -1, v[16:17]
; %bb.6552:                             ;   in Loop: Header=BB4_4959 Depth=2
	s_or_b32 exec_lo, exec_lo, s41
	v_add_nc_u32_e32 v15, 0xffffff81, v20
	v_lshrrev_b32_e32 v17, 23, v14
	s_mov_b32 s7, exec_lo
	s_delay_alu instid0(VALU_DEP_2) | instskip(NEXT) | instid1(VALU_DEP_1)
	v_cndmask_b32_e64 v15, v15, 0xffffff82, vcc_lo
	v_add3_u32 v17, v21, v15, v17
	v_and_b32_e32 v15, 0x1fffff, v16
                                        ; implicit-def: $vgpr16
	s_delay_alu instid0(VALU_DEP_1) | instskip(NEXT) | instid1(VALU_DEP_1)
	v_dual_add_nc_u32 v20, 14, v17 :: v_dual_add_nc_u32 v36, v15, v14
                                        ; implicit-def: $vgpr14_vgpr15
	v_cmpx_ne_u32_e32 0, v20
	s_xor_b32 s7, exec_lo, s7
; %bb.6553:                             ;   in Loop: Header=BB4_4959 Depth=2
	s_delay_alu instid0(VALU_DEP_2) | instskip(SKIP_1) | instid1(VALU_DEP_1)
	v_cmp_lt_u64_e32 vcc_lo, 0xffffff, v[36:37]
	v_add_nc_u32_e32 v14, 15, v17
	v_cndmask_b32_e32 v16, v20, v14, vcc_lo
	v_cndmask_b32_e64 v14, 0, 1, vcc_lo
	s_delay_alu instid0(VALU_DEP_1)
	v_lshrrev_b64 v[14:15], v14, v[36:37]
; %bb.6554:                             ;   in Loop: Header=BB4_4959 Depth=2
	s_and_not1_saveexec_b32 s7, s7
; %bb.6555:                             ;   in Loop: Header=BB4_4959 Depth=2
	v_mov_b64_e32 v[14:15], v[36:37]
	v_bfe_u32 v16, v36, 23, 1
; %bb.6556:                             ;   in Loop: Header=BB4_4959 Depth=2
	s_or_b32 exec_lo, exec_lo, s7
	s_delay_alu instid0(VALU_DEP_2) | instskip(NEXT) | instid1(VALU_DEP_2)
	v_lshrrev_b64 v[14:15], 21, v[14:15]
	v_cmp_gt_i32_e32 vcc_lo, 32, v16
	v_min_i32_e32 v17, 31, v16
	v_cmp_eq_u32_e64 s7, 0, v16
	s_delay_alu instid0(VALU_DEP_2) | instskip(SKIP_1) | instid1(VALU_DEP_2)
	v_dual_cndmask_b32 v15, 0, v15, vcc_lo :: v_dual_lshlrev_b32 v17, 2, v17
	v_cndmask_b32_e32 v14, 3, v14, vcc_lo
	v_and_b32_e32 v17, 0xfc, v17
	s_delay_alu instid0(VALU_DEP_2) | instskip(NEXT) | instid1(VALU_DEP_2)
	v_cmp_eq_u64_e32 vcc_lo, 0, v[14:15]
	v_and_or_b32 v14, v14, 3, v17
	s_and_b32 s7, s7, vcc_lo
	s_delay_alu instid0(VALU_DEP_1) | instid1(SALU_CYCLE_1)
	v_cndmask_b32_e64 v14, v14, 0, s7
	s_delay_alu instid0(VALU_DEP_1)
	v_or_b32_e32 v87, v14, v2
.LBB4_6557:                             ;   in Loop: Header=BB4_4959 Depth=2
	s_or_b32 exec_lo, exec_lo, s40
                                        ; implicit-def: $vgpr2
.LBB4_6558:                             ;   in Loop: Header=BB4_4959 Depth=2
	s_and_not1_saveexec_b32 s7, s29
; %bb.6559:                             ;   in Loop: Header=BB4_4959 Depth=2
	v_or_b32_e32 v87, 0x7b, v2
; %bb.6560:                             ;   in Loop: Header=BB4_4959 Depth=2
	s_or_b32 exec_lo, exec_lo, s7
                                        ; implicit-def: $vgpr14
                                        ; implicit-def: $vgpr2
.LBB4_6561:                             ;   in Loop: Header=BB4_4959 Depth=2
	s_and_not1_saveexec_b32 s7, s28
	s_cbranch_execz .LBB4_6567
; %bb.6562:                             ;   in Loop: Header=BB4_4959 Depth=2
	s_mov_b32 s28, exec_lo
                                        ; implicit-def: $vgpr87
	v_cmpx_ne_u64_e32 0, v[36:37]
	s_xor_b32 s28, exec_lo, s28
; %bb.6563:                             ;   in Loop: Header=BB4_4959 Depth=2
	v_or_b32_e32 v87, 0x7f, v2
                                        ; implicit-def: $vgpr14
; %bb.6564:                             ;   in Loop: Header=BB4_4959 Depth=2
	s_and_not1_saveexec_b32 s28, s28
; %bb.6565:                             ;   in Loop: Header=BB4_4959 Depth=2
	v_cmp_lt_i32_e32 vcc_lo, -1, v14
	v_cndmask_b32_e32 v87, 0xfc, v110, vcc_lo
; %bb.6566:                             ;   in Loop: Header=BB4_4959 Depth=2
	s_or_b32 exec_lo, exec_lo, s28
.LBB4_6567:                             ;   in Loop: Header=BB4_4959 Depth=2
	s_delay_alu instid0(SALU_CYCLE_1) | instskip(SKIP_4) | instid1(VALU_DEP_1)
	s_or_b32 exec_lo, exec_lo, s7
	v_lshl_or_b32 v2, v43, 8, v117
	v_dual_mov_b32 v14, 0 :: v_dual_lshlrev_b32 v15, 16, v45
	v_lshlrev_b32_e32 v16, 24, v57
	s_mov_b32 s7, exec_lo
	v_or3_b32 v36, v15, v16, v2
	v_mov_b32_e32 v15, 0
	v_cmpx_ne_u32_e32 0, v117
	s_cbranch_execz .LBB4_6577
; %bb.6568:                             ;   in Loop: Header=BB4_4959 Depth=2
	v_bfrev_b32_e32 v15, 1
	s_mov_b32 s28, exec_lo
	v_cmpx_ne_u32_e32 0x80, v117
	s_cbranch_execz .LBB4_6576
; %bb.6569:                             ;   in Loop: Header=BB4_4959 Depth=2
	v_and_b32_e32 v15, 0x7c, v117
	v_and_b32_e32 v16, 3, v117
	s_delay_alu instid0(VALU_DEP_2) | instskip(SKIP_1) | instid1(SALU_CYCLE_1)
	v_cmp_ne_u32_e32 vcc_lo, 0x7c, v15
                                        ; implicit-def: $vgpr15
	s_and_saveexec_b32 s29, vcc_lo
	s_xor_b32 s29, exec_lo, s29
	s_cbranch_execz .LBB4_6573
; %bb.6570:                             ;   in Loop: Header=BB4_4959 Depth=2
	v_bfe_u32 v15, v117, 2, 5
	s_mov_b32 s40, exec_lo
	s_delay_alu instid0(VALU_DEP_1)
	v_cmpx_eq_u32_e32 0, v15
; %bb.6571:                             ;   in Loop: Header=BB4_4959 Depth=2
	v_clz_i32_u32_e32 v15, v16
	s_delay_alu instid0(VALU_DEP_1) | instskip(NEXT) | instid1(VALU_DEP_1)
	v_min_u32_e32 v15, 32, v15
	v_subrev_nc_u32_e32 v16, 29, v15
	s_delay_alu instid0(VALU_DEP_1) | instskip(NEXT) | instid1(VALU_DEP_1)
	v_lshlrev_b64_e32 v[16:17], v16, v[36:37]
	v_dual_sub_nc_u32 v15, 30, v15 :: v_dual_bitop2_b32 v16, 3, v16 bitop3:0x40
; %bb.6572:                             ;   in Loop: Header=BB4_4959 Depth=2
	s_or_b32 exec_lo, exec_lo, s40
	v_lshlrev_b32_e32 v17, 24, v117
                                        ; implicit-def: $vgpr117
	s_delay_alu instid0(VALU_DEP_1) | instskip(NEXT) | instid1(VALU_DEP_1)
	v_and_b32_e32 v17, 0x80000000, v17
	v_lshl_add_u32 v15, v15, 23, v17
	s_delay_alu instid0(VALU_DEP_1) | instskip(NEXT) | instid1(VALU_DEP_1)
	v_lshl_or_b32 v15, v16, 21, v15
                                        ; implicit-def: $vgpr16
	v_add_nc_u32_e32 v15, 0x38000000, v15
.LBB4_6573:                             ;   in Loop: Header=BB4_4959 Depth=2
	s_and_not1_saveexec_b32 s29, s29
; %bb.6574:                             ;   in Loop: Header=BB4_4959 Depth=2
	v_and_b32_e32 v15, 0x80, v117
	s_delay_alu instid0(VALU_DEP_1) | instskip(SKIP_2) | instid1(VALU_DEP_2)
	v_cmp_eq_u32_e32 vcc_lo, 0, v15
	v_cndmask_b32_e32 v15, 0xff800000, v109, vcc_lo
	v_cmp_eq_u32_e32 vcc_lo, 0, v16
	v_cndmask_b32_e32 v15, 0x7f800001, v15, vcc_lo
; %bb.6575:                             ;   in Loop: Header=BB4_4959 Depth=2
	s_or_b32 exec_lo, exec_lo, s29
.LBB4_6576:                             ;   in Loop: Header=BB4_4959 Depth=2
	s_delay_alu instid0(SALU_CYCLE_1)
	s_or_b32 exec_lo, exec_lo, s28
.LBB4_6577:                             ;   in Loop: Header=BB4_4959 Depth=2
	s_delay_alu instid0(SALU_CYCLE_1) | instskip(SKIP_3) | instid1(VALU_DEP_1)
	s_or_b32 exec_lo, exec_lo, s7
	s_wait_loadcnt 0x0
	v_and_b32_e32 v16, 0xff, v10
	s_mov_b32 s7, exec_lo
	v_cmpx_ne_u16_e32 0, v16
	s_cbranch_execz .LBB4_6587
; %bb.6578:                             ;   in Loop: Header=BB4_4959 Depth=2
	v_bfe_i32 v17, v10, 0, 8
	v_bfrev_b32_e32 v14, 1
	s_mov_b32 s28, exec_lo
	s_delay_alu instid0(VALU_DEP_2)
	v_cmpx_ne_u16_e32 0xff80, v17
	s_cbranch_execz .LBB4_6586
; %bb.6579:                             ;   in Loop: Header=BB4_4959 Depth=2
	v_and_b32_e32 v14, 0x7c, v10
	v_and_b32_e32 v16, 3, v10
	s_delay_alu instid0(VALU_DEP_2) | instskip(SKIP_1) | instid1(SALU_CYCLE_1)
	v_cmp_ne_u32_e32 vcc_lo, 0x7c, v14
                                        ; implicit-def: $vgpr14
	s_and_saveexec_b32 s29, vcc_lo
	s_xor_b32 s29, exec_lo, s29
	s_cbranch_execz .LBB4_6583
; %bb.6580:                             ;   in Loop: Header=BB4_4959 Depth=2
	v_bfe_u32 v14, v10, 2, 5
	s_mov_b32 s40, exec_lo
	s_delay_alu instid0(VALU_DEP_1)
	v_cmpx_eq_u32_e32 0, v14
; %bb.6581:                             ;   in Loop: Header=BB4_4959 Depth=2
	v_clz_i32_u32_e32 v14, v16
	s_delay_alu instid0(VALU_DEP_1) | instskip(NEXT) | instid1(VALU_DEP_1)
	v_min_u32_e32 v14, 32, v14
	v_subrev_nc_u32_e32 v16, 29, v14
	s_delay_alu instid0(VALU_DEP_1) | instskip(NEXT) | instid1(VALU_DEP_1)
	v_lshlrev_b64_e32 v[16:17], v16, v[10:11]
	v_dual_sub_nc_u32 v14, 30, v14 :: v_dual_bitop2_b32 v16, 3, v16 bitop3:0x40
; %bb.6582:                             ;   in Loop: Header=BB4_4959 Depth=2
	s_or_b32 exec_lo, exec_lo, s40
	v_lshlrev_b32_e32 v17, 24, v10
	s_delay_alu instid0(VALU_DEP_1) | instskip(NEXT) | instid1(VALU_DEP_1)
	v_and_b32_e32 v17, 0x80000000, v17
	v_lshl_add_u32 v14, v14, 23, v17
                                        ; implicit-def: $vgpr17
	s_delay_alu instid0(VALU_DEP_1) | instskip(NEXT) | instid1(VALU_DEP_1)
	v_lshl_or_b32 v14, v16, 21, v14
                                        ; implicit-def: $vgpr16
	v_add_nc_u32_e32 v14, 0x38000000, v14
.LBB4_6583:                             ;   in Loop: Header=BB4_4959 Depth=2
	s_and_not1_saveexec_b32 s29, s29
; %bb.6584:                             ;   in Loop: Header=BB4_4959 Depth=2
	v_cmp_lt_i16_e32 vcc_lo, -1, v17
	v_cndmask_b32_e32 v14, 0xff800000, v109, vcc_lo
	v_cmp_eq_u32_e32 vcc_lo, 0, v16
	s_delay_alu instid0(VALU_DEP_2)
	v_cndmask_b32_e32 v14, 0x7f800001, v14, vcc_lo
; %bb.6585:                             ;   in Loop: Header=BB4_4959 Depth=2
	s_or_b32 exec_lo, exec_lo, s29
.LBB4_6586:                             ;   in Loop: Header=BB4_4959 Depth=2
	s_delay_alu instid0(SALU_CYCLE_1)
	s_or_b32 exec_lo, exec_lo, s28
.LBB4_6587:                             ;   in Loop: Header=BB4_4959 Depth=2
	s_delay_alu instid0(SALU_CYCLE_1) | instskip(NEXT) | instid1(VALU_DEP_1)
	s_or_b32 exec_lo, exec_lo, s7
	v_dual_add_f32 v16, v15, v14 :: v_dual_mov_b32 v21, v37
	v_mov_b32_e32 v15, v37
                                        ; implicit-def: $vgpr117
	s_mov_b32 s7, exec_lo
	s_delay_alu instid0(VALU_DEP_2) | instskip(SKIP_2) | instid1(VALU_DEP_3)
	v_and_b32_e32 v20, 0x7f800000, v16
	v_and_b32_e32 v14, 0x7fffff, v16
	v_lshrrev_b32_e32 v17, 24, v16
	v_cmpx_ne_u64_e32 0x7f800000, v[20:21]
	s_xor_b32 s28, exec_lo, s7
	s_cbranch_execz .LBB4_6601
; %bb.6588:                             ;   in Loop: Header=BB4_4959 Depth=2
	v_and_b32_e32 v20, 0x7fffffff, v16
	v_mov_b32_e32 v21, v37
	v_and_b32_e32 v43, 0x80, v17
                                        ; implicit-def: $vgpr117
	s_mov_b32 s7, exec_lo
	s_delay_alu instid0(VALU_DEP_2)
	v_cmpx_gt_u64_e32 0x47600001, v[20:21]
	s_xor_b32 s29, exec_lo, s7
	s_cbranch_execz .LBB4_6598
; %bb.6589:                             ;   in Loop: Header=BB4_4959 Depth=2
	v_mov_b32_e32 v117, 0
	s_mov_b32 s40, exec_lo
	v_cmpx_ne_u32_e32 0, v16
	s_cbranch_execz .LBB4_6597
; %bb.6590:                             ;   in Loop: Header=BB4_4959 Depth=2
	v_bfe_u32 v20, v16, 23, 8
	v_or_b32_e32 v24, 0x800000, v14
	s_delay_alu instid0(VALU_DEP_2) | instskip(SKIP_1) | instid1(VALU_DEP_2)
	v_sub_nc_u32_e32 v16, 0x71, v20
	v_cmp_gt_u32_e32 vcc_lo, 0x72, v20
	v_cndmask_b32_e32 v16, 0, v16, vcc_lo
	v_cmp_eq_u32_e32 vcc_lo, 0, v20
	s_delay_alu instid0(VALU_DEP_2) | instskip(NEXT) | instid1(VALU_DEP_1)
	v_cndmask_b32_e64 v21, v16, 0x70, vcc_lo
	v_dual_cndmask_b32 v14, v24, v14, vcc_lo :: v_dual_add_nc_u32 v16, 21, v21
	v_add_nc_u32_e32 v25, 20, v21
	s_delay_alu instid0(VALU_DEP_2) | instskip(NEXT) | instid1(VALU_DEP_2)
	v_lshlrev_b64_e64 v[16:17], v16, -1
	v_lshlrev_b64_e64 v[24:25], v25, 1
	s_delay_alu instid0(VALU_DEP_2) | instskip(SKIP_1) | instid1(VALU_DEP_4)
	v_bfi_b32 v16, v16, 0, v14
	v_lshrrev_b64 v[14:15], v21, v[14:15]
	v_bfi_b32 v17, v17, 0, 0
	s_delay_alu instid0(VALU_DEP_1) | instskip(NEXT) | instid1(VALU_DEP_3)
	v_cmp_eq_u64_e64 s7, v[16:17], v[24:25]
	v_mov_b64_e32 v[16:17], v[14:15]
	s_and_saveexec_b32 s41, s7
; %bb.6591:                             ;   in Loop: Header=BB4_4959 Depth=2
	v_bfe_u32 v16, v14, 21, 1
	v_mov_b32_e32 v17, v37
	s_delay_alu instid0(VALU_DEP_1) | instskip(NEXT) | instid1(VALU_DEP_1)
	v_add_nc_u64_e32 v[16:17], v[14:15], v[16:17]
	v_add_nc_u64_e32 v[16:17], -1, v[16:17]
; %bb.6592:                             ;   in Loop: Header=BB4_4959 Depth=2
	s_or_b32 exec_lo, exec_lo, s41
	v_add_nc_u32_e32 v15, 0xffffff81, v20
	v_lshrrev_b32_e32 v17, 23, v14
	s_mov_b32 s7, exec_lo
	s_delay_alu instid0(VALU_DEP_2) | instskip(NEXT) | instid1(VALU_DEP_1)
	v_cndmask_b32_e64 v15, v15, 0xffffff82, vcc_lo
	v_add3_u32 v17, v21, v15, v17
	v_and_b32_e32 v15, 0x1fffff, v16
                                        ; implicit-def: $vgpr16
	s_delay_alu instid0(VALU_DEP_1) | instskip(SKIP_1) | instid1(VALU_DEP_2)
	v_dual_add_nc_u32 v20, 14, v17 :: v_dual_add_nc_u32 v14, v15, v14
	v_mov_b32_e32 v15, v37
	v_cmpx_ne_u32_e32 0, v20
	s_xor_b32 s7, exec_lo, s7
; %bb.6593:                             ;   in Loop: Header=BB4_4959 Depth=2
	s_delay_alu instid0(VALU_DEP_2) | instskip(SKIP_2) | instid1(VALU_DEP_2)
	v_cmp_lt_u64_e32 vcc_lo, 0xffffff, v[14:15]
	v_add_nc_u32_e32 v16, 15, v17
	v_cndmask_b32_e64 v17, 0, 1, vcc_lo
	v_cndmask_b32_e32 v16, v20, v16, vcc_lo
	s_delay_alu instid0(VALU_DEP_2)
	v_lshrrev_b64 v[14:15], v17, v[14:15]
; %bb.6594:                             ;   in Loop: Header=BB4_4959 Depth=2
	s_and_not1_saveexec_b32 s7, s7
; %bb.6595:                             ;   in Loop: Header=BB4_4959 Depth=2
	s_delay_alu instid0(VALU_DEP_1)
	v_bfe_u32 v16, v14, 23, 1
; %bb.6596:                             ;   in Loop: Header=BB4_4959 Depth=2
	s_or_b32 exec_lo, exec_lo, s7
	s_delay_alu instid0(VALU_DEP_2) | instskip(NEXT) | instid1(VALU_DEP_2)
	v_lshrrev_b64 v[14:15], 21, v[14:15]
	v_cmp_gt_i32_e32 vcc_lo, 32, v16
	v_min_i32_e32 v17, 31, v16
	v_cmp_eq_u32_e64 s7, 0, v16
	s_delay_alu instid0(VALU_DEP_2) | instskip(SKIP_1) | instid1(VALU_DEP_2)
	v_dual_cndmask_b32 v15, 0, v15, vcc_lo :: v_dual_lshlrev_b32 v17, 2, v17
	v_cndmask_b32_e32 v14, 3, v14, vcc_lo
	v_and_b32_e32 v17, 0xfc, v17
	s_delay_alu instid0(VALU_DEP_2) | instskip(NEXT) | instid1(VALU_DEP_2)
	v_cmp_eq_u64_e32 vcc_lo, 0, v[14:15]
	v_and_or_b32 v14, v14, 3, v17
	s_and_b32 s7, s7, vcc_lo
	s_delay_alu instid0(VALU_DEP_1) | instid1(SALU_CYCLE_1)
	v_cndmask_b32_e64 v14, v14, 0, s7
	s_delay_alu instid0(VALU_DEP_1)
	v_or_b32_e32 v117, v14, v43
.LBB4_6597:                             ;   in Loop: Header=BB4_4959 Depth=2
	s_or_b32 exec_lo, exec_lo, s40
                                        ; implicit-def: $vgpr43
.LBB4_6598:                             ;   in Loop: Header=BB4_4959 Depth=2
	s_and_not1_saveexec_b32 s7, s29
; %bb.6599:                             ;   in Loop: Header=BB4_4959 Depth=2
	v_or_b32_e32 v117, 0x7b, v43
; %bb.6600:                             ;   in Loop: Header=BB4_4959 Depth=2
	s_or_b32 exec_lo, exec_lo, s7
                                        ; implicit-def: $vgpr16
                                        ; implicit-def: $vgpr14_vgpr15
                                        ; implicit-def: $vgpr17
.LBB4_6601:                             ;   in Loop: Header=BB4_4959 Depth=2
	s_and_not1_saveexec_b32 s7, s28
	s_cbranch_execz .LBB4_6607
; %bb.6602:                             ;   in Loop: Header=BB4_4959 Depth=2
	s_mov_b32 s28, exec_lo
                                        ; implicit-def: $vgpr117
	v_cmpx_ne_u64_e32 0, v[14:15]
	s_xor_b32 s28, exec_lo, s28
; %bb.6603:                             ;   in Loop: Header=BB4_4959 Depth=2
	v_or_b32_e32 v117, 0x7f, v17
                                        ; implicit-def: $vgpr16
; %bb.6604:                             ;   in Loop: Header=BB4_4959 Depth=2
	s_and_not1_saveexec_b32 s28, s28
; %bb.6605:                             ;   in Loop: Header=BB4_4959 Depth=2
	v_cmp_lt_i32_e32 vcc_lo, -1, v16
	v_cndmask_b32_e32 v117, 0xfc, v110, vcc_lo
; %bb.6606:                             ;   in Loop: Header=BB4_4959 Depth=2
	s_or_b32 exec_lo, exec_lo, s28
.LBB4_6607:                             ;   in Loop: Header=BB4_4959 Depth=2
	s_delay_alu instid0(SALU_CYCLE_1) | instskip(SKIP_3) | instid1(VALU_DEP_2)
	s_or_b32 exec_lo, exec_lo, s7
	v_lshrrev_b16 v14, 8, v2
	v_dual_mov_b32 v16, 0 :: v_dual_mov_b32 v17, 0
	s_mov_b32 s7, exec_lo
	v_cmpx_ne_u16_e32 0, v14
	s_cbranch_execz .LBB4_6617
; %bb.6608:                             ;   in Loop: Header=BB4_4959 Depth=2
	v_bfrev_b32_e32 v17, 1
	s_mov_b32 s28, exec_lo
	v_cmpx_ne_u16_e32 0x80, v14
	s_cbranch_execz .LBB4_6616
; %bb.6609:                             ;   in Loop: Header=BB4_4959 Depth=2
	v_and_b32_e32 v20, 0xffff, v14
	s_delay_alu instid0(VALU_DEP_1) | instskip(SKIP_1) | instid1(VALU_DEP_2)
	v_and_b32_e32 v17, 0x7c, v20
	v_and_b32_e32 v15, 3, v20
	v_cmp_ne_u32_e32 vcc_lo, 0x7c, v17
                                        ; implicit-def: $vgpr17
	s_and_saveexec_b32 s29, vcc_lo
	s_delay_alu instid0(SALU_CYCLE_1)
	s_xor_b32 s29, exec_lo, s29
	s_cbranch_execz .LBB4_6613
; %bb.6610:                             ;   in Loop: Header=BB4_4959 Depth=2
	v_bfe_u32 v17, v20, 2, 5
	s_mov_b32 s40, exec_lo
	s_delay_alu instid0(VALU_DEP_1)
	v_cmpx_eq_u32_e32 0, v17
	s_cbranch_execz .LBB4_6612
; %bb.6611:                             ;   in Loop: Header=BB4_4959 Depth=2
	v_clz_i32_u32_e32 v15, v15
	s_delay_alu instid0(VALU_DEP_1) | instskip(SKIP_1) | instid1(VALU_DEP_2)
	v_min_u32_e32 v17, 32, v15
	v_mov_b32_e32 v15, v37
	v_subrev_nc_u32_e32 v20, 29, v17
	v_sub_nc_u32_e32 v17, 30, v17
	s_delay_alu instid0(VALU_DEP_2) | instskip(NEXT) | instid1(VALU_DEP_1)
	v_lshlrev_b64_e32 v[14:15], v20, v[14:15]
	v_and_b32_e32 v15, 3, v14
.LBB4_6612:                             ;   in Loop: Header=BB4_4959 Depth=2
	s_or_b32 exec_lo, exec_lo, s40
	v_lshlrev_b32_e32 v2, 16, v2
	s_delay_alu instid0(VALU_DEP_1) | instskip(NEXT) | instid1(VALU_DEP_1)
	v_and_b32_e32 v2, 0x80000000, v2
	v_lshl_add_u32 v2, v17, 23, v2
	s_delay_alu instid0(VALU_DEP_1) | instskip(NEXT) | instid1(VALU_DEP_1)
	v_lshl_or_b32 v2, v15, 21, v2
                                        ; implicit-def: $vgpr15
	v_add_nc_u32_e32 v17, 0x38000000, v2
                                        ; implicit-def: $vgpr2
.LBB4_6613:                             ;   in Loop: Header=BB4_4959 Depth=2
	s_and_not1_saveexec_b32 s29, s29
; %bb.6614:                             ;   in Loop: Header=BB4_4959 Depth=2
	v_cmp_lt_i16_e32 vcc_lo, -1, v2
	v_cndmask_b32_e32 v2, 0xff800000, v109, vcc_lo
	v_cmp_eq_u32_e32 vcc_lo, 0, v15
	s_delay_alu instid0(VALU_DEP_2)
	v_cndmask_b32_e32 v17, 0x7f800001, v2, vcc_lo
; %bb.6615:                             ;   in Loop: Header=BB4_4959 Depth=2
	s_or_b32 exec_lo, exec_lo, s29
.LBB4_6616:                             ;   in Loop: Header=BB4_4959 Depth=2
	s_delay_alu instid0(SALU_CYCLE_1)
	s_or_b32 exec_lo, exec_lo, s28
.LBB4_6617:                             ;   in Loop: Header=BB4_4959 Depth=2
	s_delay_alu instid0(SALU_CYCLE_1) | instskip(SKIP_2) | instid1(VALU_DEP_1)
	s_or_b32 exec_lo, exec_lo, s7
	v_lshrrev_b16 v14, 8, v10
	s_mov_b32 s7, exec_lo
	v_cmpx_ne_u16_e32 0, v14
	s_cbranch_execz .LBB4_6627
; %bb.6618:                             ;   in Loop: Header=BB4_4959 Depth=2
	v_bfrev_b32_e32 v16, 1
	s_mov_b32 s28, exec_lo
	v_cmpx_ne_u16_e32 0x80, v14
	s_cbranch_execz .LBB4_6626
; %bb.6619:                             ;   in Loop: Header=BB4_4959 Depth=2
	v_and_b32_e32 v15, 0xffff, v14
	s_delay_alu instid0(VALU_DEP_1) | instskip(SKIP_1) | instid1(VALU_DEP_2)
	v_and_b32_e32 v16, 0x7c, v15
	v_and_b32_e32 v2, 3, v15
	v_cmp_ne_u32_e32 vcc_lo, 0x7c, v16
                                        ; implicit-def: $vgpr16
	s_and_saveexec_b32 s29, vcc_lo
	s_delay_alu instid0(SALU_CYCLE_1)
	s_xor_b32 s29, exec_lo, s29
	s_cbranch_execz .LBB4_6623
; %bb.6620:                             ;   in Loop: Header=BB4_4959 Depth=2
	v_bfe_u32 v15, v15, 2, 5
	s_mov_b32 s40, exec_lo
	s_delay_alu instid0(VALU_DEP_1)
	v_cmpx_eq_u32_e32 0, v15
	s_cbranch_execz .LBB4_6622
; %bb.6621:                             ;   in Loop: Header=BB4_4959 Depth=2
	v_clz_i32_u32_e32 v2, v2
	v_mov_b32_e32 v15, v37
	s_delay_alu instid0(VALU_DEP_2) | instskip(NEXT) | instid1(VALU_DEP_1)
	v_min_u32_e32 v2, 32, v2
	v_subrev_nc_u32_e32 v16, 29, v2
	s_delay_alu instid0(VALU_DEP_1) | instskip(SKIP_1) | instid1(VALU_DEP_2)
	v_lshlrev_b64_e32 v[14:15], v16, v[14:15]
	v_sub_nc_u32_e32 v15, 30, v2
	v_and_b32_e32 v2, 3, v14
.LBB4_6622:                             ;   in Loop: Header=BB4_4959 Depth=2
	s_or_b32 exec_lo, exec_lo, s40
	v_lshlrev_b32_e32 v14, 16, v10
	s_delay_alu instid0(VALU_DEP_1) | instskip(NEXT) | instid1(VALU_DEP_1)
	v_and_b32_e32 v14, 0x80000000, v14
	v_lshl_add_u32 v14, v15, 23, v14
	s_delay_alu instid0(VALU_DEP_1) | instskip(NEXT) | instid1(VALU_DEP_1)
	v_lshl_or_b32 v2, v2, 21, v14
	v_add_nc_u32_e32 v16, 0x38000000, v2
                                        ; implicit-def: $vgpr2
.LBB4_6623:                             ;   in Loop: Header=BB4_4959 Depth=2
	s_and_not1_saveexec_b32 s29, s29
; %bb.6624:                             ;   in Loop: Header=BB4_4959 Depth=2
	v_cmp_lt_i16_e32 vcc_lo, -1, v10
	v_cndmask_b32_e32 v14, 0xff800000, v109, vcc_lo
	v_cmp_eq_u32_e32 vcc_lo, 0, v2
	s_delay_alu instid0(VALU_DEP_2)
	v_cndmask_b32_e32 v16, 0x7f800001, v14, vcc_lo
; %bb.6625:                             ;   in Loop: Header=BB4_4959 Depth=2
	s_or_b32 exec_lo, exec_lo, s29
.LBB4_6626:                             ;   in Loop: Header=BB4_4959 Depth=2
	s_delay_alu instid0(SALU_CYCLE_1)
	s_or_b32 exec_lo, exec_lo, s28
.LBB4_6627:                             ;   in Loop: Header=BB4_4959 Depth=2
	s_delay_alu instid0(SALU_CYCLE_1) | instskip(NEXT) | instid1(VALU_DEP_1)
	s_or_b32 exec_lo, exec_lo, s7
	v_add_f32_e32 v16, v17, v16
	v_dual_mov_b32 v21, v37 :: v_dual_mov_b32 v15, v37
                                        ; implicit-def: $vgpr43
	s_mov_b32 s7, exec_lo
	s_delay_alu instid0(VALU_DEP_2) | instskip(SKIP_2) | instid1(VALU_DEP_3)
	v_and_b32_e32 v20, 0x7f800000, v16
	v_and_b32_e32 v14, 0x7fffff, v16
	v_lshrrev_b32_e32 v2, 24, v16
	v_cmpx_ne_u64_e32 0x7f800000, v[20:21]
	s_xor_b32 s28, exec_lo, s7
	s_cbranch_execz .LBB4_6641
; %bb.6628:                             ;   in Loop: Header=BB4_4959 Depth=2
	v_and_b32_e32 v20, 0x7fffffff, v16
	v_mov_b32_e32 v21, v37
	v_and_b32_e32 v2, 0x80, v2
                                        ; implicit-def: $vgpr43
	s_mov_b32 s7, exec_lo
	s_delay_alu instid0(VALU_DEP_2)
	v_cmpx_gt_u64_e32 0x47600001, v[20:21]
	s_xor_b32 s29, exec_lo, s7
	s_cbranch_execz .LBB4_6638
; %bb.6629:                             ;   in Loop: Header=BB4_4959 Depth=2
	v_mov_b32_e32 v43, 0
	s_mov_b32 s40, exec_lo
	v_cmpx_ne_u32_e32 0, v16
	s_cbranch_execz .LBB4_6637
; %bb.6630:                             ;   in Loop: Header=BB4_4959 Depth=2
	v_bfe_u32 v20, v16, 23, 8
	v_or_b32_e32 v24, 0x800000, v14
	s_delay_alu instid0(VALU_DEP_2) | instskip(SKIP_1) | instid1(VALU_DEP_2)
	v_sub_nc_u32_e32 v16, 0x71, v20
	v_cmp_gt_u32_e32 vcc_lo, 0x72, v20
	v_cndmask_b32_e32 v16, 0, v16, vcc_lo
	v_cmp_eq_u32_e32 vcc_lo, 0, v20
	s_delay_alu instid0(VALU_DEP_2) | instskip(NEXT) | instid1(VALU_DEP_1)
	v_cndmask_b32_e64 v21, v16, 0x70, vcc_lo
	v_dual_cndmask_b32 v14, v24, v14, vcc_lo :: v_dual_add_nc_u32 v16, 21, v21
	v_add_nc_u32_e32 v25, 20, v21
	s_delay_alu instid0(VALU_DEP_2) | instskip(NEXT) | instid1(VALU_DEP_2)
	v_lshlrev_b64_e64 v[16:17], v16, -1
	v_lshlrev_b64_e64 v[24:25], v25, 1
	s_delay_alu instid0(VALU_DEP_2) | instskip(SKIP_1) | instid1(VALU_DEP_4)
	v_bfi_b32 v16, v16, 0, v14
	v_lshrrev_b64 v[14:15], v21, v[14:15]
	v_bfi_b32 v17, v17, 0, 0
	s_delay_alu instid0(VALU_DEP_1) | instskip(NEXT) | instid1(VALU_DEP_3)
	v_cmp_eq_u64_e64 s7, v[16:17], v[24:25]
	v_mov_b64_e32 v[16:17], v[14:15]
	s_and_saveexec_b32 s41, s7
; %bb.6631:                             ;   in Loop: Header=BB4_4959 Depth=2
	v_bfe_u32 v16, v14, 21, 1
	v_mov_b32_e32 v17, v37
	s_delay_alu instid0(VALU_DEP_1) | instskip(NEXT) | instid1(VALU_DEP_1)
	v_add_nc_u64_e32 v[16:17], v[14:15], v[16:17]
	v_add_nc_u64_e32 v[16:17], -1, v[16:17]
; %bb.6632:                             ;   in Loop: Header=BB4_4959 Depth=2
	s_or_b32 exec_lo, exec_lo, s41
	v_add_nc_u32_e32 v15, 0xffffff81, v20
	v_lshrrev_b32_e32 v17, 23, v14
	s_mov_b32 s7, exec_lo
	s_delay_alu instid0(VALU_DEP_2) | instskip(NEXT) | instid1(VALU_DEP_1)
	v_cndmask_b32_e64 v15, v15, 0xffffff82, vcc_lo
	v_add3_u32 v17, v21, v15, v17
	v_and_b32_e32 v15, 0x1fffff, v16
                                        ; implicit-def: $vgpr16
	s_delay_alu instid0(VALU_DEP_1) | instskip(SKIP_1) | instid1(VALU_DEP_2)
	v_dual_add_nc_u32 v20, 14, v17 :: v_dual_add_nc_u32 v14, v15, v14
	v_mov_b32_e32 v15, v37
	v_cmpx_ne_u32_e32 0, v20
	s_xor_b32 s7, exec_lo, s7
; %bb.6633:                             ;   in Loop: Header=BB4_4959 Depth=2
	s_delay_alu instid0(VALU_DEP_2) | instskip(SKIP_2) | instid1(VALU_DEP_2)
	v_cmp_lt_u64_e32 vcc_lo, 0xffffff, v[14:15]
	v_add_nc_u32_e32 v16, 15, v17
	v_cndmask_b32_e64 v17, 0, 1, vcc_lo
	v_cndmask_b32_e32 v16, v20, v16, vcc_lo
	s_delay_alu instid0(VALU_DEP_2)
	v_lshrrev_b64 v[14:15], v17, v[14:15]
; %bb.6634:                             ;   in Loop: Header=BB4_4959 Depth=2
	s_and_not1_saveexec_b32 s7, s7
; %bb.6635:                             ;   in Loop: Header=BB4_4959 Depth=2
	s_delay_alu instid0(VALU_DEP_1)
	v_bfe_u32 v16, v14, 23, 1
; %bb.6636:                             ;   in Loop: Header=BB4_4959 Depth=2
	s_or_b32 exec_lo, exec_lo, s7
	s_delay_alu instid0(VALU_DEP_2) | instskip(NEXT) | instid1(VALU_DEP_2)
	v_lshrrev_b64 v[14:15], 21, v[14:15]
	v_cmp_gt_i32_e32 vcc_lo, 32, v16
	v_min_i32_e32 v17, 31, v16
	v_cmp_eq_u32_e64 s7, 0, v16
	s_delay_alu instid0(VALU_DEP_2) | instskip(SKIP_1) | instid1(VALU_DEP_2)
	v_dual_cndmask_b32 v15, 0, v15, vcc_lo :: v_dual_lshlrev_b32 v17, 2, v17
	v_cndmask_b32_e32 v14, 3, v14, vcc_lo
	v_and_b32_e32 v17, 0xfc, v17
	s_delay_alu instid0(VALU_DEP_2) | instskip(NEXT) | instid1(VALU_DEP_2)
	v_cmp_eq_u64_e32 vcc_lo, 0, v[14:15]
	v_and_or_b32 v14, v14, 3, v17
	s_and_b32 s7, s7, vcc_lo
	s_delay_alu instid0(VALU_DEP_1) | instid1(SALU_CYCLE_1)
	v_cndmask_b32_e64 v14, v14, 0, s7
	s_delay_alu instid0(VALU_DEP_1)
	v_or_b32_e32 v43, v14, v2
.LBB4_6637:                             ;   in Loop: Header=BB4_4959 Depth=2
	s_or_b32 exec_lo, exec_lo, s40
                                        ; implicit-def: $vgpr2
.LBB4_6638:                             ;   in Loop: Header=BB4_4959 Depth=2
	s_and_not1_saveexec_b32 s7, s29
; %bb.6639:                             ;   in Loop: Header=BB4_4959 Depth=2
	v_or_b32_e32 v43, 0x7b, v2
; %bb.6640:                             ;   in Loop: Header=BB4_4959 Depth=2
	s_or_b32 exec_lo, exec_lo, s7
                                        ; implicit-def: $vgpr16
                                        ; implicit-def: $vgpr14_vgpr15
                                        ; implicit-def: $vgpr2
.LBB4_6641:                             ;   in Loop: Header=BB4_4959 Depth=2
	s_and_not1_saveexec_b32 s7, s28
	s_cbranch_execz .LBB4_6647
; %bb.6642:                             ;   in Loop: Header=BB4_4959 Depth=2
	s_mov_b32 s28, exec_lo
                                        ; implicit-def: $vgpr43
	v_cmpx_ne_u64_e32 0, v[14:15]
	s_xor_b32 s28, exec_lo, s28
; %bb.6643:                             ;   in Loop: Header=BB4_4959 Depth=2
	v_or_b32_e32 v43, 0x7f, v2
                                        ; implicit-def: $vgpr16
; %bb.6644:                             ;   in Loop: Header=BB4_4959 Depth=2
	s_and_not1_saveexec_b32 s28, s28
; %bb.6645:                             ;   in Loop: Header=BB4_4959 Depth=2
	v_cmp_lt_i32_e32 vcc_lo, -1, v16
	v_cndmask_b32_e32 v43, 0xfc, v110, vcc_lo
; %bb.6646:                             ;   in Loop: Header=BB4_4959 Depth=2
	s_or_b32 exec_lo, exec_lo, s28
.LBB4_6647:                             ;   in Loop: Header=BB4_4959 Depth=2
	s_delay_alu instid0(SALU_CYCLE_1) | instskip(SKIP_3) | instid1(VALU_DEP_2)
	s_or_b32 exec_lo, exec_lo, s7
	v_dual_lshrrev_b32 v14, 16, v36 :: v_dual_mov_b32 v2, 0
	v_mov_b32_e32 v15, 0
	s_mov_b32 s7, exec_lo
	v_and_b32_e32 v16, 0xff, v14
	s_delay_alu instid0(VALU_DEP_1)
	v_cmpx_ne_u16_e32 0, v16
	s_cbranch_execz .LBB4_6657
; %bb.6648:                             ;   in Loop: Header=BB4_4959 Depth=2
	v_bfrev_b32_e32 v15, 1
	s_mov_b32 s28, exec_lo
	v_cmpx_ne_u16_e32 0x80, v16
	s_cbranch_execz .LBB4_6656
; %bb.6649:                             ;   in Loop: Header=BB4_4959 Depth=2
	v_and_b32_e32 v15, 0x7c0000, v36
	v_bfe_u32 v16, v36, 16, 2
	s_delay_alu instid0(VALU_DEP_2) | instskip(SKIP_1) | instid1(SALU_CYCLE_1)
	v_cmp_ne_u32_e32 vcc_lo, 0x7c0000, v15
                                        ; implicit-def: $vgpr15
	s_and_saveexec_b32 s29, vcc_lo
	s_xor_b32 s29, exec_lo, s29
	s_cbranch_execz .LBB4_6653
; %bb.6650:                             ;   in Loop: Header=BB4_4959 Depth=2
	v_bfe_u32 v15, v36, 18, 5
	s_mov_b32 s40, exec_lo
	s_delay_alu instid0(VALU_DEP_1)
	v_cmpx_eq_u32_e32 0, v15
; %bb.6651:                             ;   in Loop: Header=BB4_4959 Depth=2
	v_clz_i32_u32_e32 v15, v16
	s_delay_alu instid0(VALU_DEP_1) | instskip(NEXT) | instid1(VALU_DEP_1)
	v_min_u32_e32 v15, 32, v15
	v_subrev_nc_u32_e32 v16, 29, v15
	s_delay_alu instid0(VALU_DEP_1) | instskip(NEXT) | instid1(VALU_DEP_1)
	v_lshlrev_b64_e32 v[16:17], v16, v[14:15]
	v_dual_sub_nc_u32 v15, 30, v15 :: v_dual_bitop2_b32 v16, 3, v16 bitop3:0x40
; %bb.6652:                             ;   in Loop: Header=BB4_4959 Depth=2
	s_or_b32 exec_lo, exec_lo, s40
	v_lshlrev_b32_e32 v14, 24, v14
	s_delay_alu instid0(VALU_DEP_1) | instskip(NEXT) | instid1(VALU_DEP_1)
	v_and_b32_e32 v14, 0x80000000, v14
	v_lshl_add_u32 v14, v15, 23, v14
	s_delay_alu instid0(VALU_DEP_1) | instskip(NEXT) | instid1(VALU_DEP_1)
	v_lshl_or_b32 v14, v16, 21, v14
                                        ; implicit-def: $vgpr16
	v_add_nc_u32_e32 v15, 0x38000000, v14
                                        ; implicit-def: $vgpr14
.LBB4_6653:                             ;   in Loop: Header=BB4_4959 Depth=2
	s_and_not1_saveexec_b32 s29, s29
; %bb.6654:                             ;   in Loop: Header=BB4_4959 Depth=2
	v_bfe_i32 v14, v14, 0, 8
	s_delay_alu instid0(VALU_DEP_1) | instskip(SKIP_2) | instid1(VALU_DEP_2)
	v_cmp_lt_i16_e32 vcc_lo, -1, v14
	v_cndmask_b32_e32 v14, 0xff800000, v109, vcc_lo
	v_cmp_eq_u32_e32 vcc_lo, 0, v16
	v_cndmask_b32_e32 v15, 0x7f800001, v14, vcc_lo
; %bb.6655:                             ;   in Loop: Header=BB4_4959 Depth=2
	s_or_b32 exec_lo, exec_lo, s29
.LBB4_6656:                             ;   in Loop: Header=BB4_4959 Depth=2
	s_delay_alu instid0(SALU_CYCLE_1)
	s_or_b32 exec_lo, exec_lo, s28
.LBB4_6657:                             ;   in Loop: Header=BB4_4959 Depth=2
	s_delay_alu instid0(SALU_CYCLE_1) | instskip(SKIP_2) | instid1(VALU_DEP_1)
	s_or_b32 exec_lo, exec_lo, s7
	v_lshrrev_b32_e32 v14, 16, v10
	s_mov_b32 s7, exec_lo
	v_and_b32_e32 v16, 0xff, v14
	s_delay_alu instid0(VALU_DEP_1)
	v_cmpx_ne_u16_e32 0, v16
	s_cbranch_execz .LBB4_6667
; %bb.6658:                             ;   in Loop: Header=BB4_4959 Depth=2
	v_bfrev_b32_e32 v2, 1
	s_mov_b32 s28, exec_lo
	v_cmpx_ne_u16_e32 0x80, v16
	s_cbranch_execz .LBB4_6666
; %bb.6659:                             ;   in Loop: Header=BB4_4959 Depth=2
	v_and_b32_e32 v2, 0x7c0000, v10
	v_bfe_u32 v16, v10, 16, 2
	s_delay_alu instid0(VALU_DEP_2) | instskip(SKIP_1) | instid1(SALU_CYCLE_1)
	v_cmp_ne_u32_e32 vcc_lo, 0x7c0000, v2
                                        ; implicit-def: $vgpr2
	s_and_saveexec_b32 s29, vcc_lo
	s_xor_b32 s29, exec_lo, s29
	s_cbranch_execz .LBB4_6663
; %bb.6660:                             ;   in Loop: Header=BB4_4959 Depth=2
	v_bfe_u32 v2, v10, 18, 5
	s_mov_b32 s40, exec_lo
	s_delay_alu instid0(VALU_DEP_1)
	v_cmpx_eq_u32_e32 0, v2
; %bb.6661:                             ;   in Loop: Header=BB4_4959 Depth=2
	v_clz_i32_u32_e32 v2, v16
	s_delay_alu instid0(VALU_DEP_1) | instskip(NEXT) | instid1(VALU_DEP_1)
	v_min_u32_e32 v2, 32, v2
	v_subrev_nc_u32_e32 v16, 29, v2
	s_delay_alu instid0(VALU_DEP_1) | instskip(NEXT) | instid1(VALU_DEP_1)
	v_lshlrev_b64_e32 v[16:17], v16, v[14:15]
	v_dual_sub_nc_u32 v2, 30, v2 :: v_dual_bitop2_b32 v16, 3, v16 bitop3:0x40
; %bb.6662:                             ;   in Loop: Header=BB4_4959 Depth=2
	s_or_b32 exec_lo, exec_lo, s40
	v_lshlrev_b32_e32 v14, 24, v14
	s_delay_alu instid0(VALU_DEP_1) | instskip(NEXT) | instid1(VALU_DEP_1)
	v_and_b32_e32 v14, 0x80000000, v14
	v_lshl_add_u32 v2, v2, 23, v14
                                        ; implicit-def: $vgpr14
	s_delay_alu instid0(VALU_DEP_1) | instskip(NEXT) | instid1(VALU_DEP_1)
	v_lshl_or_b32 v2, v16, 21, v2
                                        ; implicit-def: $vgpr16
	v_add_nc_u32_e32 v2, 0x38000000, v2
.LBB4_6663:                             ;   in Loop: Header=BB4_4959 Depth=2
	s_and_not1_saveexec_b32 s29, s29
; %bb.6664:                             ;   in Loop: Header=BB4_4959 Depth=2
	v_bfe_i32 v2, v14, 0, 8
	s_delay_alu instid0(VALU_DEP_1) | instskip(SKIP_2) | instid1(VALU_DEP_2)
	v_cmp_lt_i16_e32 vcc_lo, -1, v2
	v_cndmask_b32_e32 v2, 0xff800000, v109, vcc_lo
	v_cmp_eq_u32_e32 vcc_lo, 0, v16
	v_cndmask_b32_e32 v2, 0x7f800001, v2, vcc_lo
; %bb.6665:                             ;   in Loop: Header=BB4_4959 Depth=2
	s_or_b32 exec_lo, exec_lo, s29
.LBB4_6666:                             ;   in Loop: Header=BB4_4959 Depth=2
	s_delay_alu instid0(SALU_CYCLE_1)
	s_or_b32 exec_lo, exec_lo, s28
.LBB4_6667:                             ;   in Loop: Header=BB4_4959 Depth=2
	s_delay_alu instid0(SALU_CYCLE_1) | instskip(NEXT) | instid1(VALU_DEP_1)
	s_or_b32 exec_lo, exec_lo, s7
	v_dual_add_f32 v16, v15, v2 :: v_dual_mov_b32 v21, v37
	v_mov_b32_e32 v15, v37
                                        ; implicit-def: $vgpr45
	s_mov_b32 s7, exec_lo
	s_delay_alu instid0(VALU_DEP_2) | instskip(SKIP_2) | instid1(VALU_DEP_3)
	v_and_b32_e32 v20, 0x7f800000, v16
	v_and_b32_e32 v14, 0x7fffff, v16
	v_lshrrev_b32_e32 v2, 24, v16
	v_cmpx_ne_u64_e32 0x7f800000, v[20:21]
	s_xor_b32 s28, exec_lo, s7
	s_cbranch_execz .LBB4_6681
; %bb.6668:                             ;   in Loop: Header=BB4_4959 Depth=2
	v_and_b32_e32 v20, 0x7fffffff, v16
	v_mov_b32_e32 v21, v37
	v_and_b32_e32 v2, 0x80, v2
                                        ; implicit-def: $vgpr45
	s_mov_b32 s7, exec_lo
	s_delay_alu instid0(VALU_DEP_2)
	v_cmpx_gt_u64_e32 0x47600001, v[20:21]
	s_xor_b32 s29, exec_lo, s7
	s_cbranch_execz .LBB4_6678
; %bb.6669:                             ;   in Loop: Header=BB4_4959 Depth=2
	v_mov_b32_e32 v45, 0
	s_mov_b32 s40, exec_lo
	v_cmpx_ne_u32_e32 0, v16
	s_cbranch_execz .LBB4_6677
; %bb.6670:                             ;   in Loop: Header=BB4_4959 Depth=2
	v_bfe_u32 v20, v16, 23, 8
	v_or_b32_e32 v24, 0x800000, v14
	s_delay_alu instid0(VALU_DEP_2) | instskip(SKIP_1) | instid1(VALU_DEP_2)
	v_sub_nc_u32_e32 v16, 0x71, v20
	v_cmp_gt_u32_e32 vcc_lo, 0x72, v20
	v_cndmask_b32_e32 v16, 0, v16, vcc_lo
	v_cmp_eq_u32_e32 vcc_lo, 0, v20
	s_delay_alu instid0(VALU_DEP_2) | instskip(NEXT) | instid1(VALU_DEP_1)
	v_cndmask_b32_e64 v21, v16, 0x70, vcc_lo
	v_dual_cndmask_b32 v14, v24, v14, vcc_lo :: v_dual_add_nc_u32 v16, 21, v21
	v_add_nc_u32_e32 v25, 20, v21
	s_delay_alu instid0(VALU_DEP_2) | instskip(NEXT) | instid1(VALU_DEP_2)
	v_lshlrev_b64_e64 v[16:17], v16, -1
	v_lshlrev_b64_e64 v[24:25], v25, 1
	s_delay_alu instid0(VALU_DEP_2) | instskip(SKIP_1) | instid1(VALU_DEP_4)
	v_bfi_b32 v16, v16, 0, v14
	v_lshrrev_b64 v[14:15], v21, v[14:15]
	v_bfi_b32 v17, v17, 0, 0
	s_delay_alu instid0(VALU_DEP_1) | instskip(NEXT) | instid1(VALU_DEP_3)
	v_cmp_eq_u64_e64 s7, v[16:17], v[24:25]
	v_mov_b64_e32 v[16:17], v[14:15]
	s_and_saveexec_b32 s41, s7
; %bb.6671:                             ;   in Loop: Header=BB4_4959 Depth=2
	v_bfe_u32 v16, v14, 21, 1
	v_mov_b32_e32 v17, v37
	s_delay_alu instid0(VALU_DEP_1) | instskip(NEXT) | instid1(VALU_DEP_1)
	v_add_nc_u64_e32 v[16:17], v[14:15], v[16:17]
	v_add_nc_u64_e32 v[16:17], -1, v[16:17]
; %bb.6672:                             ;   in Loop: Header=BB4_4959 Depth=2
	s_or_b32 exec_lo, exec_lo, s41
	v_add_nc_u32_e32 v15, 0xffffff81, v20
	v_lshrrev_b32_e32 v17, 23, v14
	s_mov_b32 s7, exec_lo
	s_delay_alu instid0(VALU_DEP_2) | instskip(NEXT) | instid1(VALU_DEP_1)
	v_cndmask_b32_e64 v15, v15, 0xffffff82, vcc_lo
	v_add3_u32 v17, v21, v15, v17
	v_and_b32_e32 v15, 0x1fffff, v16
                                        ; implicit-def: $vgpr16
	s_delay_alu instid0(VALU_DEP_1) | instskip(SKIP_1) | instid1(VALU_DEP_2)
	v_dual_add_nc_u32 v20, 14, v17 :: v_dual_add_nc_u32 v14, v15, v14
	v_mov_b32_e32 v15, v37
	v_cmpx_ne_u32_e32 0, v20
	s_xor_b32 s7, exec_lo, s7
; %bb.6673:                             ;   in Loop: Header=BB4_4959 Depth=2
	s_delay_alu instid0(VALU_DEP_2) | instskip(SKIP_2) | instid1(VALU_DEP_2)
	v_cmp_lt_u64_e32 vcc_lo, 0xffffff, v[14:15]
	v_add_nc_u32_e32 v16, 15, v17
	v_cndmask_b32_e64 v17, 0, 1, vcc_lo
	v_cndmask_b32_e32 v16, v20, v16, vcc_lo
	s_delay_alu instid0(VALU_DEP_2)
	v_lshrrev_b64 v[14:15], v17, v[14:15]
; %bb.6674:                             ;   in Loop: Header=BB4_4959 Depth=2
	s_and_not1_saveexec_b32 s7, s7
; %bb.6675:                             ;   in Loop: Header=BB4_4959 Depth=2
	s_delay_alu instid0(VALU_DEP_1)
	v_bfe_u32 v16, v14, 23, 1
; %bb.6676:                             ;   in Loop: Header=BB4_4959 Depth=2
	s_or_b32 exec_lo, exec_lo, s7
	s_delay_alu instid0(VALU_DEP_2) | instskip(NEXT) | instid1(VALU_DEP_2)
	v_lshrrev_b64 v[14:15], 21, v[14:15]
	v_cmp_gt_i32_e32 vcc_lo, 32, v16
	v_min_i32_e32 v17, 31, v16
	v_cmp_eq_u32_e64 s7, 0, v16
	s_delay_alu instid0(VALU_DEP_2) | instskip(SKIP_1) | instid1(VALU_DEP_2)
	v_dual_cndmask_b32 v15, 0, v15, vcc_lo :: v_dual_lshlrev_b32 v17, 2, v17
	v_cndmask_b32_e32 v14, 3, v14, vcc_lo
	v_and_b32_e32 v17, 0xfc, v17
	s_delay_alu instid0(VALU_DEP_2) | instskip(NEXT) | instid1(VALU_DEP_2)
	v_cmp_eq_u64_e32 vcc_lo, 0, v[14:15]
	v_and_or_b32 v14, v14, 3, v17
	s_and_b32 s7, s7, vcc_lo
	s_delay_alu instid0(VALU_DEP_1) | instid1(SALU_CYCLE_1)
	v_cndmask_b32_e64 v14, v14, 0, s7
	s_delay_alu instid0(VALU_DEP_1)
	v_or_b32_e32 v45, v14, v2
.LBB4_6677:                             ;   in Loop: Header=BB4_4959 Depth=2
	s_or_b32 exec_lo, exec_lo, s40
                                        ; implicit-def: $vgpr2
.LBB4_6678:                             ;   in Loop: Header=BB4_4959 Depth=2
	s_and_not1_saveexec_b32 s7, s29
; %bb.6679:                             ;   in Loop: Header=BB4_4959 Depth=2
	v_or_b32_e32 v45, 0x7b, v2
; %bb.6680:                             ;   in Loop: Header=BB4_4959 Depth=2
	s_or_b32 exec_lo, exec_lo, s7
                                        ; implicit-def: $vgpr16
                                        ; implicit-def: $vgpr14_vgpr15
                                        ; implicit-def: $vgpr2
.LBB4_6681:                             ;   in Loop: Header=BB4_4959 Depth=2
	s_and_not1_saveexec_b32 s7, s28
	s_cbranch_execz .LBB4_6687
; %bb.6682:                             ;   in Loop: Header=BB4_4959 Depth=2
	s_mov_b32 s28, exec_lo
                                        ; implicit-def: $vgpr45
	v_cmpx_ne_u64_e32 0, v[14:15]
	s_xor_b32 s28, exec_lo, s28
; %bb.6683:                             ;   in Loop: Header=BB4_4959 Depth=2
	v_or_b32_e32 v45, 0x7f, v2
                                        ; implicit-def: $vgpr16
; %bb.6684:                             ;   in Loop: Header=BB4_4959 Depth=2
	s_and_not1_saveexec_b32 s28, s28
; %bb.6685:                             ;   in Loop: Header=BB4_4959 Depth=2
	v_cmp_lt_i32_e32 vcc_lo, -1, v16
	v_cndmask_b32_e32 v45, 0xfc, v110, vcc_lo
; %bb.6686:                             ;   in Loop: Header=BB4_4959 Depth=2
	s_or_b32 exec_lo, exec_lo, s28
.LBB4_6687:                             ;   in Loop: Header=BB4_4959 Depth=2
	s_delay_alu instid0(SALU_CYCLE_1)
	s_or_b32 exec_lo, exec_lo, s7
	v_dual_mov_b32 v2, 0 :: v_dual_mov_b32 v15, 0
	s_mov_b32 s7, exec_lo
	v_cmpx_lt_u32_e32 0xffffff, v36
	s_cbranch_execz .LBB4_6697
; %bb.6688:                             ;   in Loop: Header=BB4_4959 Depth=2
	v_lshrrev_b32_e32 v14, 24, v36
	v_bfrev_b32_e32 v15, 1
	s_mov_b32 s28, exec_lo
	s_delay_alu instid0(VALU_DEP_2)
	v_cmpx_ne_u32_e32 0x80, v14
	s_cbranch_execz .LBB4_6696
; %bb.6689:                             ;   in Loop: Header=BB4_4959 Depth=2
	v_and_b32_e32 v15, 0x7c000000, v36
	v_bfe_u32 v16, v36, 24, 2
	s_delay_alu instid0(VALU_DEP_2) | instskip(SKIP_1) | instid1(SALU_CYCLE_1)
	v_cmp_ne_u32_e32 vcc_lo, 0x7c000000, v15
                                        ; implicit-def: $vgpr15
	s_and_saveexec_b32 s29, vcc_lo
	s_xor_b32 s29, exec_lo, s29
	s_cbranch_execz .LBB4_6693
; %bb.6690:                             ;   in Loop: Header=BB4_4959 Depth=2
	v_bfe_u32 v15, v36, 26, 5
	s_mov_b32 s40, exec_lo
	s_delay_alu instid0(VALU_DEP_1)
	v_cmpx_eq_u32_e32 0, v15
; %bb.6691:                             ;   in Loop: Header=BB4_4959 Depth=2
	v_clz_i32_u32_e32 v15, v16
	s_delay_alu instid0(VALU_DEP_1) | instskip(NEXT) | instid1(VALU_DEP_1)
	v_min_u32_e32 v16, 32, v15
	v_subrev_nc_u32_e32 v15, 29, v16
	s_delay_alu instid0(VALU_DEP_1) | instskip(NEXT) | instid1(VALU_DEP_1)
	v_lshlrev_b64_e32 v[14:15], v15, v[14:15]
	v_dual_sub_nc_u32 v15, 30, v16 :: v_dual_bitop2_b32 v16, 3, v14 bitop3:0x40
; %bb.6692:                             ;   in Loop: Header=BB4_4959 Depth=2
	s_or_b32 exec_lo, exec_lo, s40
	v_and_b32_e32 v14, 0x80000000, v36
	s_delay_alu instid0(VALU_DEP_1) | instskip(NEXT) | instid1(VALU_DEP_1)
	v_lshl_add_u32 v14, v15, 23, v14
	v_lshl_or_b32 v14, v16, 21, v14
                                        ; implicit-def: $vgpr16
	s_delay_alu instid0(VALU_DEP_1)
	v_add_nc_u32_e32 v15, 0x38000000, v14
.LBB4_6693:                             ;   in Loop: Header=BB4_4959 Depth=2
	s_and_not1_saveexec_b32 s29, s29
; %bb.6694:                             ;   in Loop: Header=BB4_4959 Depth=2
	v_cmp_lt_i32_e32 vcc_lo, -1, v36
	v_cndmask_b32_e32 v14, 0xff800000, v109, vcc_lo
	v_cmp_eq_u32_e32 vcc_lo, 0, v16
	s_delay_alu instid0(VALU_DEP_2)
	v_cndmask_b32_e32 v15, 0x7f800001, v14, vcc_lo
; %bb.6695:                             ;   in Loop: Header=BB4_4959 Depth=2
	s_or_b32 exec_lo, exec_lo, s29
.LBB4_6696:                             ;   in Loop: Header=BB4_4959 Depth=2
	s_delay_alu instid0(SALU_CYCLE_1)
	s_or_b32 exec_lo, exec_lo, s28
.LBB4_6697:                             ;   in Loop: Header=BB4_4959 Depth=2
	s_delay_alu instid0(SALU_CYCLE_1) | instskip(NEXT) | instid1(SALU_CYCLE_1)
	s_or_b32 exec_lo, exec_lo, s7
	s_mov_b32 s7, exec_lo
	v_cmpx_lt_u32_e32 0xffffff, v10
	s_cbranch_execz .LBB4_6707
; %bb.6698:                             ;   in Loop: Header=BB4_4959 Depth=2
	v_lshrrev_b32_e32 v14, 24, v10
	v_bfrev_b32_e32 v2, 1
	s_mov_b32 s28, exec_lo
	s_delay_alu instid0(VALU_DEP_2)
	v_cmpx_ne_u32_e32 0x80, v14
	s_cbranch_execz .LBB4_6706
; %bb.6699:                             ;   in Loop: Header=BB4_4959 Depth=2
	v_and_b32_e32 v2, 0x7c000000, v10
	v_bfe_u32 v16, v10, 24, 2
	s_delay_alu instid0(VALU_DEP_2) | instskip(SKIP_1) | instid1(SALU_CYCLE_1)
	v_cmp_ne_u32_e32 vcc_lo, 0x7c000000, v2
                                        ; implicit-def: $vgpr2
	s_and_saveexec_b32 s29, vcc_lo
	s_xor_b32 s29, exec_lo, s29
	s_cbranch_execz .LBB4_6703
; %bb.6700:                             ;   in Loop: Header=BB4_4959 Depth=2
	v_bfe_u32 v2, v10, 26, 5
	s_mov_b32 s40, exec_lo
	s_delay_alu instid0(VALU_DEP_1)
	v_cmpx_eq_u32_e32 0, v2
; %bb.6701:                             ;   in Loop: Header=BB4_4959 Depth=2
	v_clz_i32_u32_e32 v2, v16
	s_delay_alu instid0(VALU_DEP_1) | instskip(NEXT) | instid1(VALU_DEP_1)
	v_min_u32_e32 v2, 32, v2
	v_subrev_nc_u32_e32 v16, 29, v2
	s_delay_alu instid0(VALU_DEP_1) | instskip(NEXT) | instid1(VALU_DEP_1)
	v_lshlrev_b64_e32 v[16:17], v16, v[14:15]
	v_dual_sub_nc_u32 v2, 30, v2 :: v_dual_bitop2_b32 v16, 3, v16 bitop3:0x40
; %bb.6702:                             ;   in Loop: Header=BB4_4959 Depth=2
	s_or_b32 exec_lo, exec_lo, s40
	v_and_b32_e32 v14, 0x80000000, v10
	s_delay_alu instid0(VALU_DEP_1) | instskip(NEXT) | instid1(VALU_DEP_1)
	v_lshl_add_u32 v2, v2, 23, v14
	v_lshl_or_b32 v2, v16, 21, v2
                                        ; implicit-def: $vgpr16
	s_delay_alu instid0(VALU_DEP_1)
	v_add_nc_u32_e32 v2, 0x38000000, v2
.LBB4_6703:                             ;   in Loop: Header=BB4_4959 Depth=2
	s_and_not1_saveexec_b32 s29, s29
; %bb.6704:                             ;   in Loop: Header=BB4_4959 Depth=2
	v_cmp_lt_i32_e32 vcc_lo, -1, v10
	v_cndmask_b32_e32 v2, 0xff800000, v109, vcc_lo
	v_cmp_eq_u32_e32 vcc_lo, 0, v16
	s_delay_alu instid0(VALU_DEP_2)
	v_cndmask_b32_e32 v2, 0x7f800001, v2, vcc_lo
; %bb.6705:                             ;   in Loop: Header=BB4_4959 Depth=2
	s_or_b32 exec_lo, exec_lo, s29
.LBB4_6706:                             ;   in Loop: Header=BB4_4959 Depth=2
	s_delay_alu instid0(SALU_CYCLE_1)
	s_or_b32 exec_lo, exec_lo, s28
.LBB4_6707:                             ;   in Loop: Header=BB4_4959 Depth=2
	s_delay_alu instid0(SALU_CYCLE_1) | instskip(NEXT) | instid1(VALU_DEP_1)
	s_or_b32 exec_lo, exec_lo, s7
	v_dual_add_f32 v14, v15, v2 :: v_dual_mov_b32 v17, v37
                                        ; implicit-def: $vgpr57
	s_mov_b32 s7, exec_lo
	s_delay_alu instid0(VALU_DEP_1) | instskip(SKIP_2) | instid1(VALU_DEP_3)
	v_and_b32_e32 v16, 0x7f800000, v14
	v_and_b32_e32 v36, 0x7fffff, v14
	v_lshrrev_b32_e32 v2, 24, v14
	v_cmpx_ne_u64_e32 0x7f800000, v[16:17]
	s_xor_b32 s28, exec_lo, s7
	s_cbranch_execz .LBB4_6721
; %bb.6708:                             ;   in Loop: Header=BB4_4959 Depth=2
	v_and_b32_e32 v16, 0x7fffffff, v14
	v_mov_b32_e32 v17, v37
	v_and_b32_e32 v2, 0x80, v2
                                        ; implicit-def: $vgpr57
	s_mov_b32 s7, exec_lo
	s_delay_alu instid0(VALU_DEP_2)
	v_cmpx_gt_u64_e32 0x47600001, v[16:17]
	s_xor_b32 s29, exec_lo, s7
	s_cbranch_execz .LBB4_6718
; %bb.6709:                             ;   in Loop: Header=BB4_4959 Depth=2
	v_mov_b32_e32 v57, 0
	s_mov_b32 s40, exec_lo
	v_cmpx_ne_u32_e32 0, v14
	s_cbranch_execz .LBB4_6717
; %bb.6710:                             ;   in Loop: Header=BB4_4959 Depth=2
	v_bfe_u32 v20, v14, 23, 8
	v_or_b32_e32 v16, 0x800000, v36
	s_mov_b32 s41, exec_lo
	s_delay_alu instid0(VALU_DEP_2) | instskip(SKIP_1) | instid1(VALU_DEP_2)
	v_dual_mov_b32 v17, v37 :: v_dual_sub_nc_u32 v14, 0x71, v20
	v_cmp_gt_u32_e32 vcc_lo, 0x72, v20
	v_cndmask_b32_e32 v14, 0, v14, vcc_lo
	v_cmp_eq_u32_e32 vcc_lo, 0, v20
	s_delay_alu instid0(VALU_DEP_2) | instskip(NEXT) | instid1(VALU_DEP_1)
	v_cndmask_b32_e64 v21, v14, 0x70, vcc_lo
	v_dual_cndmask_b32 v16, v16, v36, vcc_lo :: v_dual_add_nc_u32 v14, 21, v21
	v_add_nc_u32_e32 v24, 20, v21
	s_delay_alu instid0(VALU_DEP_2) | instskip(NEXT) | instid1(VALU_DEP_2)
	v_lshlrev_b64_e64 v[14:15], v14, -1
	v_lshlrev_b64_e64 v[24:25], v24, 1
	s_delay_alu instid0(VALU_DEP_2) | instskip(NEXT) | instid1(VALU_DEP_3)
	v_bfi_b32 v63, v15, 0, 0
	v_bfi_b32 v62, v14, 0, v16
	v_lshrrev_b64 v[14:15], v21, v[16:17]
	s_delay_alu instid0(VALU_DEP_1) | instskip(NEXT) | instid1(VALU_DEP_3)
	v_mov_b64_e32 v[16:17], v[14:15]
	v_cmpx_eq_u64_e64 v[62:63], v[24:25]
; %bb.6711:                             ;   in Loop: Header=BB4_4959 Depth=2
	v_bfe_u32 v16, v14, 21, 1
	v_mov_b32_e32 v17, v37
	s_delay_alu instid0(VALU_DEP_1) | instskip(NEXT) | instid1(VALU_DEP_1)
	v_add_nc_u64_e32 v[16:17], v[14:15], v[16:17]
	v_add_nc_u64_e32 v[16:17], -1, v[16:17]
; %bb.6712:                             ;   in Loop: Header=BB4_4959 Depth=2
	s_or_b32 exec_lo, exec_lo, s41
	v_add_nc_u32_e32 v15, 0xffffff81, v20
	v_lshrrev_b32_e32 v17, 23, v14
	s_mov_b32 s7, exec_lo
	s_delay_alu instid0(VALU_DEP_2) | instskip(NEXT) | instid1(VALU_DEP_1)
	v_cndmask_b32_e64 v15, v15, 0xffffff82, vcc_lo
	v_add3_u32 v17, v21, v15, v17
	v_and_b32_e32 v15, 0x1fffff, v16
                                        ; implicit-def: $vgpr16
	s_delay_alu instid0(VALU_DEP_1) | instskip(NEXT) | instid1(VALU_DEP_1)
	v_dual_add_nc_u32 v20, 14, v17 :: v_dual_add_nc_u32 v36, v15, v14
                                        ; implicit-def: $vgpr14_vgpr15
	v_cmpx_ne_u32_e32 0, v20
	s_xor_b32 s7, exec_lo, s7
; %bb.6713:                             ;   in Loop: Header=BB4_4959 Depth=2
	s_delay_alu instid0(VALU_DEP_2) | instskip(SKIP_1) | instid1(VALU_DEP_1)
	v_cmp_lt_u64_e32 vcc_lo, 0xffffff, v[36:37]
	v_add_nc_u32_e32 v14, 15, v17
	v_cndmask_b32_e32 v16, v20, v14, vcc_lo
	v_cndmask_b32_e64 v14, 0, 1, vcc_lo
	s_delay_alu instid0(VALU_DEP_1)
	v_lshrrev_b64 v[14:15], v14, v[36:37]
; %bb.6714:                             ;   in Loop: Header=BB4_4959 Depth=2
	s_and_not1_saveexec_b32 s7, s7
; %bb.6715:                             ;   in Loop: Header=BB4_4959 Depth=2
	v_mov_b64_e32 v[14:15], v[36:37]
	v_bfe_u32 v16, v36, 23, 1
; %bb.6716:                             ;   in Loop: Header=BB4_4959 Depth=2
	s_or_b32 exec_lo, exec_lo, s7
	s_delay_alu instid0(VALU_DEP_2) | instskip(NEXT) | instid1(VALU_DEP_2)
	v_lshrrev_b64 v[14:15], 21, v[14:15]
	v_cmp_gt_i32_e32 vcc_lo, 32, v16
	v_min_i32_e32 v17, 31, v16
	v_cmp_eq_u32_e64 s7, 0, v16
	s_delay_alu instid0(VALU_DEP_2) | instskip(SKIP_1) | instid1(VALU_DEP_2)
	v_dual_cndmask_b32 v15, 0, v15, vcc_lo :: v_dual_lshlrev_b32 v17, 2, v17
	v_cndmask_b32_e32 v14, 3, v14, vcc_lo
	v_and_b32_e32 v17, 0xfc, v17
	s_delay_alu instid0(VALU_DEP_2) | instskip(NEXT) | instid1(VALU_DEP_2)
	v_cmp_eq_u64_e32 vcc_lo, 0, v[14:15]
	v_and_or_b32 v14, v14, 3, v17
	s_and_b32 s7, s7, vcc_lo
	s_delay_alu instid0(VALU_DEP_1) | instid1(SALU_CYCLE_1)
	v_cndmask_b32_e64 v14, v14, 0, s7
	s_delay_alu instid0(VALU_DEP_1)
	v_or_b32_e32 v57, v14, v2
.LBB4_6717:                             ;   in Loop: Header=BB4_4959 Depth=2
	s_or_b32 exec_lo, exec_lo, s40
                                        ; implicit-def: $vgpr2
.LBB4_6718:                             ;   in Loop: Header=BB4_4959 Depth=2
	s_and_not1_saveexec_b32 s7, s29
; %bb.6719:                             ;   in Loop: Header=BB4_4959 Depth=2
	v_or_b32_e32 v57, 0x7b, v2
; %bb.6720:                             ;   in Loop: Header=BB4_4959 Depth=2
	s_or_b32 exec_lo, exec_lo, s7
                                        ; implicit-def: $vgpr14
                                        ; implicit-def: $vgpr2
.LBB4_6721:                             ;   in Loop: Header=BB4_4959 Depth=2
	s_and_not1_saveexec_b32 s7, s28
	s_cbranch_execz .LBB4_6727
; %bb.6722:                             ;   in Loop: Header=BB4_4959 Depth=2
	s_mov_b32 s28, exec_lo
                                        ; implicit-def: $vgpr57
	v_cmpx_ne_u64_e32 0, v[36:37]
	s_xor_b32 s28, exec_lo, s28
; %bb.6723:                             ;   in Loop: Header=BB4_4959 Depth=2
	v_or_b32_e32 v57, 0x7f, v2
                                        ; implicit-def: $vgpr14
; %bb.6724:                             ;   in Loop: Header=BB4_4959 Depth=2
	s_and_not1_saveexec_b32 s28, s28
; %bb.6725:                             ;   in Loop: Header=BB4_4959 Depth=2
	v_cmp_lt_i32_e32 vcc_lo, -1, v14
	v_cndmask_b32_e32 v57, 0xfc, v110, vcc_lo
; %bb.6726:                             ;   in Loop: Header=BB4_4959 Depth=2
	s_or_b32 exec_lo, exec_lo, s28
.LBB4_6727:                             ;   in Loop: Header=BB4_4959 Depth=2
	s_delay_alu instid0(SALU_CYCLE_1) | instskip(SKIP_4) | instid1(VALU_DEP_1)
	s_or_b32 exec_lo, exec_lo, s7
	v_lshl_or_b32 v2, v118, 8, v112
	v_dual_mov_b32 v15, 0 :: v_dual_lshlrev_b32 v14, 16, v40
	v_lshlrev_b32_e32 v16, 24, v44
	s_mov_b32 s7, exec_lo
	v_or3_b32 v36, v14, v16, v2
	v_mov_b32_e32 v14, 0
	v_cmpx_ne_u32_e32 0, v112
	s_cbranch_execz .LBB4_6737
; %bb.6728:                             ;   in Loop: Header=BB4_4959 Depth=2
	v_bfrev_b32_e32 v14, 1
	s_mov_b32 s28, exec_lo
	v_cmpx_ne_u32_e32 0x80, v112
	s_cbranch_execz .LBB4_6736
; %bb.6729:                             ;   in Loop: Header=BB4_4959 Depth=2
	v_and_b32_e32 v14, 0x7c, v112
	v_and_b32_e32 v16, 3, v112
	s_delay_alu instid0(VALU_DEP_2) | instskip(SKIP_1) | instid1(SALU_CYCLE_1)
	v_cmp_ne_u32_e32 vcc_lo, 0x7c, v14
                                        ; implicit-def: $vgpr14
	s_and_saveexec_b32 s29, vcc_lo
	s_xor_b32 s29, exec_lo, s29
	s_cbranch_execz .LBB4_6733
; %bb.6730:                             ;   in Loop: Header=BB4_4959 Depth=2
	v_bfe_u32 v14, v112, 2, 5
	s_mov_b32 s40, exec_lo
	s_delay_alu instid0(VALU_DEP_1)
	v_cmpx_eq_u32_e32 0, v14
; %bb.6731:                             ;   in Loop: Header=BB4_4959 Depth=2
	v_clz_i32_u32_e32 v14, v16
	s_delay_alu instid0(VALU_DEP_1) | instskip(NEXT) | instid1(VALU_DEP_1)
	v_min_u32_e32 v14, 32, v14
	v_subrev_nc_u32_e32 v16, 29, v14
	s_delay_alu instid0(VALU_DEP_1) | instskip(NEXT) | instid1(VALU_DEP_1)
	v_lshlrev_b64_e32 v[16:17], v16, v[36:37]
	v_dual_sub_nc_u32 v14, 30, v14 :: v_dual_bitop2_b32 v16, 3, v16 bitop3:0x40
; %bb.6732:                             ;   in Loop: Header=BB4_4959 Depth=2
	s_or_b32 exec_lo, exec_lo, s40
	v_lshlrev_b32_e32 v17, 24, v112
                                        ; implicit-def: $vgpr112
	s_delay_alu instid0(VALU_DEP_1) | instskip(NEXT) | instid1(VALU_DEP_1)
	v_and_b32_e32 v17, 0x80000000, v17
	v_lshl_add_u32 v14, v14, 23, v17
	s_delay_alu instid0(VALU_DEP_1) | instskip(NEXT) | instid1(VALU_DEP_1)
	v_lshl_or_b32 v14, v16, 21, v14
                                        ; implicit-def: $vgpr16
	v_add_nc_u32_e32 v14, 0x38000000, v14
.LBB4_6733:                             ;   in Loop: Header=BB4_4959 Depth=2
	s_and_not1_saveexec_b32 s29, s29
; %bb.6734:                             ;   in Loop: Header=BB4_4959 Depth=2
	v_and_b32_e32 v14, 0x80, v112
	s_delay_alu instid0(VALU_DEP_1) | instskip(SKIP_2) | instid1(VALU_DEP_2)
	v_cmp_eq_u32_e32 vcc_lo, 0, v14
	v_cndmask_b32_e32 v14, 0xff800000, v109, vcc_lo
	v_cmp_eq_u32_e32 vcc_lo, 0, v16
	v_cndmask_b32_e32 v14, 0x7f800001, v14, vcc_lo
; %bb.6735:                             ;   in Loop: Header=BB4_4959 Depth=2
	s_or_b32 exec_lo, exec_lo, s29
.LBB4_6736:                             ;   in Loop: Header=BB4_4959 Depth=2
	s_delay_alu instid0(SALU_CYCLE_1)
	s_or_b32 exec_lo, exec_lo, s28
.LBB4_6737:                             ;   in Loop: Header=BB4_4959 Depth=2
	s_delay_alu instid0(SALU_CYCLE_1) | instskip(SKIP_2) | instid1(VALU_DEP_1)
	s_or_b32 exec_lo, exec_lo, s7
	v_and_b32_e32 v16, 0xff, v11
	s_mov_b32 s7, exec_lo
	v_cmpx_ne_u16_e32 0, v16
	s_cbranch_execz .LBB4_6747
; %bb.6738:                             ;   in Loop: Header=BB4_4959 Depth=2
	v_bfrev_b32_e32 v15, 1
	s_mov_b32 s28, exec_lo
	v_cmpx_ne_u16_e32 0x80, v16
	s_cbranch_execz .LBB4_6746
; %bb.6739:                             ;   in Loop: Header=BB4_4959 Depth=2
	v_and_b32_e32 v15, 0x7c, v11
	v_and_b32_e32 v16, 3, v11
	s_delay_alu instid0(VALU_DEP_2) | instskip(SKIP_1) | instid1(SALU_CYCLE_1)
	v_cmp_ne_u32_e32 vcc_lo, 0x7c, v15
                                        ; implicit-def: $vgpr15
	s_and_saveexec_b32 s29, vcc_lo
	s_xor_b32 s29, exec_lo, s29
	s_cbranch_execz .LBB4_6743
; %bb.6740:                             ;   in Loop: Header=BB4_4959 Depth=2
	v_bfe_u32 v15, v11, 2, 5
	s_mov_b32 s40, exec_lo
	s_delay_alu instid0(VALU_DEP_1)
	v_cmpx_eq_u32_e32 0, v15
; %bb.6741:                             ;   in Loop: Header=BB4_4959 Depth=2
	v_clz_i32_u32_e32 v15, v16
	v_dual_mov_b32 v16, v11 :: v_dual_mov_b32 v17, v37
	s_delay_alu instid0(VALU_DEP_2) | instskip(NEXT) | instid1(VALU_DEP_1)
	v_min_u32_e32 v15, 32, v15
	v_subrev_nc_u32_e32 v20, 29, v15
	s_delay_alu instid0(VALU_DEP_1) | instskip(NEXT) | instid1(VALU_DEP_1)
	v_lshlrev_b64_e32 v[16:17], v20, v[16:17]
	v_dual_sub_nc_u32 v15, 30, v15 :: v_dual_bitop2_b32 v16, 3, v16 bitop3:0x40
; %bb.6742:                             ;   in Loop: Header=BB4_4959 Depth=2
	s_or_b32 exec_lo, exec_lo, s40
	v_lshlrev_b32_e32 v17, 24, v11
	s_delay_alu instid0(VALU_DEP_1) | instskip(NEXT) | instid1(VALU_DEP_1)
	v_and_b32_e32 v17, 0x80000000, v17
	v_lshl_add_u32 v15, v15, 23, v17
	s_delay_alu instid0(VALU_DEP_1) | instskip(NEXT) | instid1(VALU_DEP_1)
	v_lshl_or_b32 v15, v16, 21, v15
                                        ; implicit-def: $vgpr16
	v_add_nc_u32_e32 v15, 0x38000000, v15
.LBB4_6743:                             ;   in Loop: Header=BB4_4959 Depth=2
	s_and_not1_saveexec_b32 s29, s29
; %bb.6744:                             ;   in Loop: Header=BB4_4959 Depth=2
	v_bfe_i32 v15, v11, 0, 8
	s_delay_alu instid0(VALU_DEP_1) | instskip(SKIP_2) | instid1(VALU_DEP_2)
	v_cmp_lt_i16_e32 vcc_lo, -1, v15
	v_cndmask_b32_e32 v15, 0xff800000, v109, vcc_lo
	v_cmp_eq_u32_e32 vcc_lo, 0, v16
	v_cndmask_b32_e32 v15, 0x7f800001, v15, vcc_lo
; %bb.6745:                             ;   in Loop: Header=BB4_4959 Depth=2
	s_or_b32 exec_lo, exec_lo, s29
.LBB4_6746:                             ;   in Loop: Header=BB4_4959 Depth=2
	s_delay_alu instid0(SALU_CYCLE_1)
	s_or_b32 exec_lo, exec_lo, s28
.LBB4_6747:                             ;   in Loop: Header=BB4_4959 Depth=2
	s_delay_alu instid0(SALU_CYCLE_1) | instskip(NEXT) | instid1(VALU_DEP_1)
	s_or_b32 exec_lo, exec_lo, s7
	v_dual_add_f32 v16, v14, v15 :: v_dual_mov_b32 v21, v37
	v_mov_b32_e32 v15, v37
                                        ; implicit-def: $vgpr112
	s_mov_b32 s7, exec_lo
	s_delay_alu instid0(VALU_DEP_2) | instskip(SKIP_2) | instid1(VALU_DEP_3)
	v_and_b32_e32 v20, 0x7f800000, v16
	v_and_b32_e32 v14, 0x7fffff, v16
	v_lshrrev_b32_e32 v17, 24, v16
	v_cmpx_ne_u64_e32 0x7f800000, v[20:21]
	s_xor_b32 s28, exec_lo, s7
	s_cbranch_execz .LBB4_6761
; %bb.6748:                             ;   in Loop: Header=BB4_4959 Depth=2
	v_and_b32_e32 v20, 0x7fffffff, v16
	v_mov_b32_e32 v21, v37
	v_and_b32_e32 v118, 0x80, v17
                                        ; implicit-def: $vgpr112
	s_mov_b32 s7, exec_lo
	s_delay_alu instid0(VALU_DEP_2)
	v_cmpx_gt_u64_e32 0x47600001, v[20:21]
	s_xor_b32 s29, exec_lo, s7
	s_cbranch_execz .LBB4_6758
; %bb.6749:                             ;   in Loop: Header=BB4_4959 Depth=2
	v_mov_b32_e32 v112, 0
	s_mov_b32 s40, exec_lo
	v_cmpx_ne_u32_e32 0, v16
	s_cbranch_execz .LBB4_6757
; %bb.6750:                             ;   in Loop: Header=BB4_4959 Depth=2
	v_bfe_u32 v20, v16, 23, 8
	v_or_b32_e32 v24, 0x800000, v14
	s_delay_alu instid0(VALU_DEP_2) | instskip(SKIP_1) | instid1(VALU_DEP_2)
	v_sub_nc_u32_e32 v16, 0x71, v20
	v_cmp_gt_u32_e32 vcc_lo, 0x72, v20
	v_cndmask_b32_e32 v16, 0, v16, vcc_lo
	v_cmp_eq_u32_e32 vcc_lo, 0, v20
	s_delay_alu instid0(VALU_DEP_2) | instskip(NEXT) | instid1(VALU_DEP_1)
	v_cndmask_b32_e64 v21, v16, 0x70, vcc_lo
	v_dual_cndmask_b32 v14, v24, v14, vcc_lo :: v_dual_add_nc_u32 v16, 21, v21
	v_add_nc_u32_e32 v25, 20, v21
	s_delay_alu instid0(VALU_DEP_2) | instskip(NEXT) | instid1(VALU_DEP_2)
	v_lshlrev_b64_e64 v[16:17], v16, -1
	v_lshlrev_b64_e64 v[24:25], v25, 1
	s_delay_alu instid0(VALU_DEP_2) | instskip(SKIP_1) | instid1(VALU_DEP_4)
	v_bfi_b32 v16, v16, 0, v14
	v_lshrrev_b64 v[14:15], v21, v[14:15]
	v_bfi_b32 v17, v17, 0, 0
	s_delay_alu instid0(VALU_DEP_1) | instskip(NEXT) | instid1(VALU_DEP_3)
	v_cmp_eq_u64_e64 s7, v[16:17], v[24:25]
	v_mov_b64_e32 v[16:17], v[14:15]
	s_and_saveexec_b32 s41, s7
; %bb.6751:                             ;   in Loop: Header=BB4_4959 Depth=2
	v_bfe_u32 v16, v14, 21, 1
	v_mov_b32_e32 v17, v37
	s_delay_alu instid0(VALU_DEP_1) | instskip(NEXT) | instid1(VALU_DEP_1)
	v_add_nc_u64_e32 v[16:17], v[14:15], v[16:17]
	v_add_nc_u64_e32 v[16:17], -1, v[16:17]
; %bb.6752:                             ;   in Loop: Header=BB4_4959 Depth=2
	s_or_b32 exec_lo, exec_lo, s41
	v_add_nc_u32_e32 v15, 0xffffff81, v20
	v_lshrrev_b32_e32 v17, 23, v14
	s_mov_b32 s7, exec_lo
	s_delay_alu instid0(VALU_DEP_2) | instskip(NEXT) | instid1(VALU_DEP_1)
	v_cndmask_b32_e64 v15, v15, 0xffffff82, vcc_lo
	v_add3_u32 v17, v21, v15, v17
	v_and_b32_e32 v15, 0x1fffff, v16
                                        ; implicit-def: $vgpr16
	s_delay_alu instid0(VALU_DEP_1) | instskip(SKIP_1) | instid1(VALU_DEP_2)
	v_dual_add_nc_u32 v20, 14, v17 :: v_dual_add_nc_u32 v14, v15, v14
	v_mov_b32_e32 v15, v37
	v_cmpx_ne_u32_e32 0, v20
	s_xor_b32 s7, exec_lo, s7
; %bb.6753:                             ;   in Loop: Header=BB4_4959 Depth=2
	s_delay_alu instid0(VALU_DEP_2) | instskip(SKIP_2) | instid1(VALU_DEP_2)
	v_cmp_lt_u64_e32 vcc_lo, 0xffffff, v[14:15]
	v_add_nc_u32_e32 v16, 15, v17
	v_cndmask_b32_e64 v17, 0, 1, vcc_lo
	v_cndmask_b32_e32 v16, v20, v16, vcc_lo
	s_delay_alu instid0(VALU_DEP_2)
	v_lshrrev_b64 v[14:15], v17, v[14:15]
; %bb.6754:                             ;   in Loop: Header=BB4_4959 Depth=2
	s_and_not1_saveexec_b32 s7, s7
; %bb.6755:                             ;   in Loop: Header=BB4_4959 Depth=2
	s_delay_alu instid0(VALU_DEP_1)
	v_bfe_u32 v16, v14, 23, 1
; %bb.6756:                             ;   in Loop: Header=BB4_4959 Depth=2
	s_or_b32 exec_lo, exec_lo, s7
	s_delay_alu instid0(VALU_DEP_2) | instskip(NEXT) | instid1(VALU_DEP_2)
	v_lshrrev_b64 v[14:15], 21, v[14:15]
	v_cmp_gt_i32_e32 vcc_lo, 32, v16
	v_min_i32_e32 v17, 31, v16
	v_cmp_eq_u32_e64 s7, 0, v16
	s_delay_alu instid0(VALU_DEP_2) | instskip(SKIP_1) | instid1(VALU_DEP_2)
	v_dual_cndmask_b32 v15, 0, v15, vcc_lo :: v_dual_lshlrev_b32 v17, 2, v17
	v_cndmask_b32_e32 v14, 3, v14, vcc_lo
	v_and_b32_e32 v17, 0xfc, v17
	s_delay_alu instid0(VALU_DEP_2) | instskip(NEXT) | instid1(VALU_DEP_2)
	v_cmp_eq_u64_e32 vcc_lo, 0, v[14:15]
	v_and_or_b32 v14, v14, 3, v17
	s_and_b32 s7, s7, vcc_lo
	s_delay_alu instid0(VALU_DEP_1) | instid1(SALU_CYCLE_1)
	v_cndmask_b32_e64 v14, v14, 0, s7
	s_delay_alu instid0(VALU_DEP_1)
	v_or_b32_e32 v112, v14, v118
.LBB4_6757:                             ;   in Loop: Header=BB4_4959 Depth=2
	s_or_b32 exec_lo, exec_lo, s40
                                        ; implicit-def: $vgpr118
.LBB4_6758:                             ;   in Loop: Header=BB4_4959 Depth=2
	s_and_not1_saveexec_b32 s7, s29
; %bb.6759:                             ;   in Loop: Header=BB4_4959 Depth=2
	v_or_b32_e32 v112, 0x7b, v118
; %bb.6760:                             ;   in Loop: Header=BB4_4959 Depth=2
	s_or_b32 exec_lo, exec_lo, s7
                                        ; implicit-def: $vgpr16
                                        ; implicit-def: $vgpr14_vgpr15
                                        ; implicit-def: $vgpr17
.LBB4_6761:                             ;   in Loop: Header=BB4_4959 Depth=2
	s_and_not1_saveexec_b32 s7, s28
	s_cbranch_execz .LBB4_6767
; %bb.6762:                             ;   in Loop: Header=BB4_4959 Depth=2
	s_mov_b32 s28, exec_lo
                                        ; implicit-def: $vgpr112
	v_cmpx_ne_u64_e32 0, v[14:15]
	s_xor_b32 s28, exec_lo, s28
; %bb.6763:                             ;   in Loop: Header=BB4_4959 Depth=2
	v_or_b32_e32 v112, 0x7f, v17
                                        ; implicit-def: $vgpr16
; %bb.6764:                             ;   in Loop: Header=BB4_4959 Depth=2
	s_and_not1_saveexec_b32 s28, s28
; %bb.6765:                             ;   in Loop: Header=BB4_4959 Depth=2
	v_cmp_lt_i32_e32 vcc_lo, -1, v16
	v_cndmask_b32_e32 v112, 0xfc, v110, vcc_lo
; %bb.6766:                             ;   in Loop: Header=BB4_4959 Depth=2
	s_or_b32 exec_lo, exec_lo, s28
.LBB4_6767:                             ;   in Loop: Header=BB4_4959 Depth=2
	s_delay_alu instid0(SALU_CYCLE_1) | instskip(SKIP_3) | instid1(VALU_DEP_2)
	s_or_b32 exec_lo, exec_lo, s7
	v_lshrrev_b16 v14, 8, v2
	v_dual_mov_b32 v16, 0 :: v_dual_mov_b32 v17, 0
	s_mov_b32 s7, exec_lo
	v_cmpx_ne_u16_e32 0, v14
	s_cbranch_execz .LBB4_6777
; %bb.6768:                             ;   in Loop: Header=BB4_4959 Depth=2
	v_bfrev_b32_e32 v17, 1
	s_mov_b32 s28, exec_lo
	v_cmpx_ne_u16_e32 0x80, v14
	s_cbranch_execz .LBB4_6776
; %bb.6769:                             ;   in Loop: Header=BB4_4959 Depth=2
	v_and_b32_e32 v20, 0xffff, v14
	s_delay_alu instid0(VALU_DEP_1) | instskip(SKIP_1) | instid1(VALU_DEP_2)
	v_and_b32_e32 v17, 0x7c, v20
	v_and_b32_e32 v15, 3, v20
	v_cmp_ne_u32_e32 vcc_lo, 0x7c, v17
                                        ; implicit-def: $vgpr17
	s_and_saveexec_b32 s29, vcc_lo
	s_delay_alu instid0(SALU_CYCLE_1)
	s_xor_b32 s29, exec_lo, s29
	s_cbranch_execz .LBB4_6773
; %bb.6770:                             ;   in Loop: Header=BB4_4959 Depth=2
	v_bfe_u32 v17, v20, 2, 5
	s_mov_b32 s40, exec_lo
	s_delay_alu instid0(VALU_DEP_1)
	v_cmpx_eq_u32_e32 0, v17
	s_cbranch_execz .LBB4_6772
; %bb.6771:                             ;   in Loop: Header=BB4_4959 Depth=2
	v_clz_i32_u32_e32 v15, v15
	s_delay_alu instid0(VALU_DEP_1) | instskip(SKIP_1) | instid1(VALU_DEP_2)
	v_min_u32_e32 v17, 32, v15
	v_mov_b32_e32 v15, v37
	v_subrev_nc_u32_e32 v20, 29, v17
	v_sub_nc_u32_e32 v17, 30, v17
	s_delay_alu instid0(VALU_DEP_2) | instskip(NEXT) | instid1(VALU_DEP_1)
	v_lshlrev_b64_e32 v[14:15], v20, v[14:15]
	v_and_b32_e32 v15, 3, v14
.LBB4_6772:                             ;   in Loop: Header=BB4_4959 Depth=2
	s_or_b32 exec_lo, exec_lo, s40
	v_lshlrev_b32_e32 v2, 16, v2
	s_delay_alu instid0(VALU_DEP_1) | instskip(NEXT) | instid1(VALU_DEP_1)
	v_and_b32_e32 v2, 0x80000000, v2
	v_lshl_add_u32 v2, v17, 23, v2
	s_delay_alu instid0(VALU_DEP_1) | instskip(NEXT) | instid1(VALU_DEP_1)
	v_lshl_or_b32 v2, v15, 21, v2
                                        ; implicit-def: $vgpr15
	v_add_nc_u32_e32 v17, 0x38000000, v2
                                        ; implicit-def: $vgpr2
.LBB4_6773:                             ;   in Loop: Header=BB4_4959 Depth=2
	s_and_not1_saveexec_b32 s29, s29
; %bb.6774:                             ;   in Loop: Header=BB4_4959 Depth=2
	v_cmp_lt_i16_e32 vcc_lo, -1, v2
	v_cndmask_b32_e32 v2, 0xff800000, v109, vcc_lo
	v_cmp_eq_u32_e32 vcc_lo, 0, v15
	s_delay_alu instid0(VALU_DEP_2)
	v_cndmask_b32_e32 v17, 0x7f800001, v2, vcc_lo
; %bb.6775:                             ;   in Loop: Header=BB4_4959 Depth=2
	s_or_b32 exec_lo, exec_lo, s29
.LBB4_6776:                             ;   in Loop: Header=BB4_4959 Depth=2
	s_delay_alu instid0(SALU_CYCLE_1)
	s_or_b32 exec_lo, exec_lo, s28
.LBB4_6777:                             ;   in Loop: Header=BB4_4959 Depth=2
	s_delay_alu instid0(SALU_CYCLE_1) | instskip(SKIP_2) | instid1(VALU_DEP_1)
	s_or_b32 exec_lo, exec_lo, s7
	v_lshrrev_b16 v14, 8, v11
	s_mov_b32 s7, exec_lo
	v_cmpx_ne_u16_e32 0, v14
	s_cbranch_execz .LBB4_6787
; %bb.6778:                             ;   in Loop: Header=BB4_4959 Depth=2
	v_bfrev_b32_e32 v16, 1
	s_mov_b32 s28, exec_lo
	v_cmpx_ne_u16_e32 0x80, v14
	s_cbranch_execz .LBB4_6786
; %bb.6779:                             ;   in Loop: Header=BB4_4959 Depth=2
	v_and_b32_e32 v15, 0xffff, v14
	s_delay_alu instid0(VALU_DEP_1) | instskip(SKIP_1) | instid1(VALU_DEP_2)
	v_and_b32_e32 v16, 0x7c, v15
	v_and_b32_e32 v2, 3, v15
	v_cmp_ne_u32_e32 vcc_lo, 0x7c, v16
                                        ; implicit-def: $vgpr16
	s_and_saveexec_b32 s29, vcc_lo
	s_delay_alu instid0(SALU_CYCLE_1)
	s_xor_b32 s29, exec_lo, s29
	s_cbranch_execz .LBB4_6783
; %bb.6780:                             ;   in Loop: Header=BB4_4959 Depth=2
	v_bfe_u32 v15, v15, 2, 5
	s_mov_b32 s40, exec_lo
	s_delay_alu instid0(VALU_DEP_1)
	v_cmpx_eq_u32_e32 0, v15
	s_cbranch_execz .LBB4_6782
; %bb.6781:                             ;   in Loop: Header=BB4_4959 Depth=2
	v_clz_i32_u32_e32 v2, v2
	v_mov_b32_e32 v15, v37
	s_delay_alu instid0(VALU_DEP_2) | instskip(NEXT) | instid1(VALU_DEP_1)
	v_min_u32_e32 v2, 32, v2
	v_subrev_nc_u32_e32 v16, 29, v2
	s_delay_alu instid0(VALU_DEP_1) | instskip(SKIP_1) | instid1(VALU_DEP_2)
	v_lshlrev_b64_e32 v[14:15], v16, v[14:15]
	v_sub_nc_u32_e32 v15, 30, v2
	v_and_b32_e32 v2, 3, v14
.LBB4_6782:                             ;   in Loop: Header=BB4_4959 Depth=2
	s_or_b32 exec_lo, exec_lo, s40
	v_lshlrev_b32_e32 v14, 16, v11
	s_delay_alu instid0(VALU_DEP_1) | instskip(NEXT) | instid1(VALU_DEP_1)
	v_and_b32_e32 v14, 0x80000000, v14
	v_lshl_add_u32 v14, v15, 23, v14
	s_delay_alu instid0(VALU_DEP_1) | instskip(NEXT) | instid1(VALU_DEP_1)
	v_lshl_or_b32 v2, v2, 21, v14
	v_add_nc_u32_e32 v16, 0x38000000, v2
                                        ; implicit-def: $vgpr2
.LBB4_6783:                             ;   in Loop: Header=BB4_4959 Depth=2
	s_and_not1_saveexec_b32 s29, s29
; %bb.6784:                             ;   in Loop: Header=BB4_4959 Depth=2
	v_cmp_lt_i16_e32 vcc_lo, -1, v11
	v_cndmask_b32_e32 v14, 0xff800000, v109, vcc_lo
	v_cmp_eq_u32_e32 vcc_lo, 0, v2
	s_delay_alu instid0(VALU_DEP_2)
	v_cndmask_b32_e32 v16, 0x7f800001, v14, vcc_lo
; %bb.6785:                             ;   in Loop: Header=BB4_4959 Depth=2
	s_or_b32 exec_lo, exec_lo, s29
.LBB4_6786:                             ;   in Loop: Header=BB4_4959 Depth=2
	s_delay_alu instid0(SALU_CYCLE_1)
	s_or_b32 exec_lo, exec_lo, s28
.LBB4_6787:                             ;   in Loop: Header=BB4_4959 Depth=2
	s_delay_alu instid0(SALU_CYCLE_1) | instskip(NEXT) | instid1(VALU_DEP_1)
	s_or_b32 exec_lo, exec_lo, s7
	v_add_f32_e32 v16, v17, v16
	v_dual_mov_b32 v21, v37 :: v_dual_mov_b32 v15, v37
                                        ; implicit-def: $vgpr118
	s_mov_b32 s7, exec_lo
	s_delay_alu instid0(VALU_DEP_2) | instskip(SKIP_2) | instid1(VALU_DEP_3)
	v_and_b32_e32 v20, 0x7f800000, v16
	v_and_b32_e32 v14, 0x7fffff, v16
	v_lshrrev_b32_e32 v2, 24, v16
	v_cmpx_ne_u64_e32 0x7f800000, v[20:21]
	s_xor_b32 s28, exec_lo, s7
	s_cbranch_execz .LBB4_6801
; %bb.6788:                             ;   in Loop: Header=BB4_4959 Depth=2
	v_and_b32_e32 v20, 0x7fffffff, v16
	v_mov_b32_e32 v21, v37
	v_and_b32_e32 v2, 0x80, v2
                                        ; implicit-def: $vgpr118
	s_mov_b32 s7, exec_lo
	s_delay_alu instid0(VALU_DEP_2)
	v_cmpx_gt_u64_e32 0x47600001, v[20:21]
	s_xor_b32 s29, exec_lo, s7
	s_cbranch_execz .LBB4_6798
; %bb.6789:                             ;   in Loop: Header=BB4_4959 Depth=2
	v_mov_b32_e32 v118, 0
	s_mov_b32 s40, exec_lo
	v_cmpx_ne_u32_e32 0, v16
	s_cbranch_execz .LBB4_6797
; %bb.6790:                             ;   in Loop: Header=BB4_4959 Depth=2
	v_bfe_u32 v20, v16, 23, 8
	v_or_b32_e32 v24, 0x800000, v14
	s_delay_alu instid0(VALU_DEP_2) | instskip(SKIP_1) | instid1(VALU_DEP_2)
	v_sub_nc_u32_e32 v16, 0x71, v20
	v_cmp_gt_u32_e32 vcc_lo, 0x72, v20
	v_cndmask_b32_e32 v16, 0, v16, vcc_lo
	v_cmp_eq_u32_e32 vcc_lo, 0, v20
	s_delay_alu instid0(VALU_DEP_2) | instskip(NEXT) | instid1(VALU_DEP_1)
	v_cndmask_b32_e64 v21, v16, 0x70, vcc_lo
	v_dual_cndmask_b32 v14, v24, v14, vcc_lo :: v_dual_add_nc_u32 v16, 21, v21
	v_add_nc_u32_e32 v25, 20, v21
	s_delay_alu instid0(VALU_DEP_2) | instskip(NEXT) | instid1(VALU_DEP_2)
	v_lshlrev_b64_e64 v[16:17], v16, -1
	v_lshlrev_b64_e64 v[24:25], v25, 1
	s_delay_alu instid0(VALU_DEP_2) | instskip(SKIP_1) | instid1(VALU_DEP_4)
	v_bfi_b32 v16, v16, 0, v14
	v_lshrrev_b64 v[14:15], v21, v[14:15]
	v_bfi_b32 v17, v17, 0, 0
	s_delay_alu instid0(VALU_DEP_1) | instskip(NEXT) | instid1(VALU_DEP_3)
	v_cmp_eq_u64_e64 s7, v[16:17], v[24:25]
	v_mov_b64_e32 v[16:17], v[14:15]
	s_and_saveexec_b32 s41, s7
; %bb.6791:                             ;   in Loop: Header=BB4_4959 Depth=2
	v_bfe_u32 v16, v14, 21, 1
	v_mov_b32_e32 v17, v37
	s_delay_alu instid0(VALU_DEP_1) | instskip(NEXT) | instid1(VALU_DEP_1)
	v_add_nc_u64_e32 v[16:17], v[14:15], v[16:17]
	v_add_nc_u64_e32 v[16:17], -1, v[16:17]
; %bb.6792:                             ;   in Loop: Header=BB4_4959 Depth=2
	s_or_b32 exec_lo, exec_lo, s41
	v_add_nc_u32_e32 v15, 0xffffff81, v20
	v_lshrrev_b32_e32 v17, 23, v14
	s_mov_b32 s7, exec_lo
	s_delay_alu instid0(VALU_DEP_2) | instskip(NEXT) | instid1(VALU_DEP_1)
	v_cndmask_b32_e64 v15, v15, 0xffffff82, vcc_lo
	v_add3_u32 v17, v21, v15, v17
	v_and_b32_e32 v15, 0x1fffff, v16
                                        ; implicit-def: $vgpr16
	s_delay_alu instid0(VALU_DEP_1) | instskip(SKIP_1) | instid1(VALU_DEP_2)
	v_dual_add_nc_u32 v20, 14, v17 :: v_dual_add_nc_u32 v14, v15, v14
	v_mov_b32_e32 v15, v37
	v_cmpx_ne_u32_e32 0, v20
	s_xor_b32 s7, exec_lo, s7
; %bb.6793:                             ;   in Loop: Header=BB4_4959 Depth=2
	s_delay_alu instid0(VALU_DEP_2) | instskip(SKIP_2) | instid1(VALU_DEP_2)
	v_cmp_lt_u64_e32 vcc_lo, 0xffffff, v[14:15]
	v_add_nc_u32_e32 v16, 15, v17
	v_cndmask_b32_e64 v17, 0, 1, vcc_lo
	v_cndmask_b32_e32 v16, v20, v16, vcc_lo
	s_delay_alu instid0(VALU_DEP_2)
	v_lshrrev_b64 v[14:15], v17, v[14:15]
; %bb.6794:                             ;   in Loop: Header=BB4_4959 Depth=2
	s_and_not1_saveexec_b32 s7, s7
; %bb.6795:                             ;   in Loop: Header=BB4_4959 Depth=2
	s_delay_alu instid0(VALU_DEP_1)
	v_bfe_u32 v16, v14, 23, 1
; %bb.6796:                             ;   in Loop: Header=BB4_4959 Depth=2
	s_or_b32 exec_lo, exec_lo, s7
	s_delay_alu instid0(VALU_DEP_2) | instskip(NEXT) | instid1(VALU_DEP_2)
	v_lshrrev_b64 v[14:15], 21, v[14:15]
	v_cmp_gt_i32_e32 vcc_lo, 32, v16
	v_min_i32_e32 v17, 31, v16
	v_cmp_eq_u32_e64 s7, 0, v16
	s_delay_alu instid0(VALU_DEP_2) | instskip(SKIP_1) | instid1(VALU_DEP_2)
	v_dual_cndmask_b32 v15, 0, v15, vcc_lo :: v_dual_lshlrev_b32 v17, 2, v17
	v_cndmask_b32_e32 v14, 3, v14, vcc_lo
	v_and_b32_e32 v17, 0xfc, v17
	s_delay_alu instid0(VALU_DEP_2) | instskip(NEXT) | instid1(VALU_DEP_2)
	v_cmp_eq_u64_e32 vcc_lo, 0, v[14:15]
	v_and_or_b32 v14, v14, 3, v17
	s_and_b32 s7, s7, vcc_lo
	s_delay_alu instid0(VALU_DEP_1) | instid1(SALU_CYCLE_1)
	v_cndmask_b32_e64 v14, v14, 0, s7
	s_delay_alu instid0(VALU_DEP_1)
	v_or_b32_e32 v118, v14, v2
.LBB4_6797:                             ;   in Loop: Header=BB4_4959 Depth=2
	s_or_b32 exec_lo, exec_lo, s40
                                        ; implicit-def: $vgpr2
.LBB4_6798:                             ;   in Loop: Header=BB4_4959 Depth=2
	s_and_not1_saveexec_b32 s7, s29
; %bb.6799:                             ;   in Loop: Header=BB4_4959 Depth=2
	v_or_b32_e32 v118, 0x7b, v2
; %bb.6800:                             ;   in Loop: Header=BB4_4959 Depth=2
	s_or_b32 exec_lo, exec_lo, s7
                                        ; implicit-def: $vgpr16
                                        ; implicit-def: $vgpr14_vgpr15
                                        ; implicit-def: $vgpr2
.LBB4_6801:                             ;   in Loop: Header=BB4_4959 Depth=2
	s_and_not1_saveexec_b32 s7, s28
	s_cbranch_execz .LBB4_6807
; %bb.6802:                             ;   in Loop: Header=BB4_4959 Depth=2
	s_mov_b32 s28, exec_lo
                                        ; implicit-def: $vgpr118
	v_cmpx_ne_u64_e32 0, v[14:15]
	s_xor_b32 s28, exec_lo, s28
; %bb.6803:                             ;   in Loop: Header=BB4_4959 Depth=2
	v_or_b32_e32 v118, 0x7f, v2
                                        ; implicit-def: $vgpr16
; %bb.6804:                             ;   in Loop: Header=BB4_4959 Depth=2
	s_and_not1_saveexec_b32 s28, s28
; %bb.6805:                             ;   in Loop: Header=BB4_4959 Depth=2
	v_cmp_lt_i32_e32 vcc_lo, -1, v16
	v_cndmask_b32_e32 v118, 0xfc, v110, vcc_lo
; %bb.6806:                             ;   in Loop: Header=BB4_4959 Depth=2
	s_or_b32 exec_lo, exec_lo, s28
.LBB4_6807:                             ;   in Loop: Header=BB4_4959 Depth=2
	s_delay_alu instid0(SALU_CYCLE_1) | instskip(SKIP_3) | instid1(VALU_DEP_2)
	s_or_b32 exec_lo, exec_lo, s7
	v_dual_lshrrev_b32 v14, 16, v36 :: v_dual_mov_b32 v2, 0
	v_mov_b32_e32 v15, 0
	s_mov_b32 s7, exec_lo
	v_and_b32_e32 v16, 0xff, v14
	s_delay_alu instid0(VALU_DEP_1)
	v_cmpx_ne_u16_e32 0, v16
	s_cbranch_execz .LBB4_6817
; %bb.6808:                             ;   in Loop: Header=BB4_4959 Depth=2
	v_bfrev_b32_e32 v15, 1
	s_mov_b32 s28, exec_lo
	v_cmpx_ne_u16_e32 0x80, v16
	s_cbranch_execz .LBB4_6816
; %bb.6809:                             ;   in Loop: Header=BB4_4959 Depth=2
	v_and_b32_e32 v15, 0x7c0000, v36
	v_bfe_u32 v16, v36, 16, 2
	s_delay_alu instid0(VALU_DEP_2) | instskip(SKIP_1) | instid1(SALU_CYCLE_1)
	v_cmp_ne_u32_e32 vcc_lo, 0x7c0000, v15
                                        ; implicit-def: $vgpr15
	s_and_saveexec_b32 s29, vcc_lo
	s_xor_b32 s29, exec_lo, s29
	s_cbranch_execz .LBB4_6813
; %bb.6810:                             ;   in Loop: Header=BB4_4959 Depth=2
	v_bfe_u32 v15, v36, 18, 5
	s_mov_b32 s40, exec_lo
	s_delay_alu instid0(VALU_DEP_1)
	v_cmpx_eq_u32_e32 0, v15
; %bb.6811:                             ;   in Loop: Header=BB4_4959 Depth=2
	v_clz_i32_u32_e32 v15, v16
	s_delay_alu instid0(VALU_DEP_1) | instskip(NEXT) | instid1(VALU_DEP_1)
	v_min_u32_e32 v15, 32, v15
	v_subrev_nc_u32_e32 v16, 29, v15
	s_delay_alu instid0(VALU_DEP_1) | instskip(NEXT) | instid1(VALU_DEP_1)
	v_lshlrev_b64_e32 v[16:17], v16, v[14:15]
	v_dual_sub_nc_u32 v15, 30, v15 :: v_dual_bitop2_b32 v16, 3, v16 bitop3:0x40
; %bb.6812:                             ;   in Loop: Header=BB4_4959 Depth=2
	s_or_b32 exec_lo, exec_lo, s40
	v_lshlrev_b32_e32 v14, 24, v14
	s_delay_alu instid0(VALU_DEP_1) | instskip(NEXT) | instid1(VALU_DEP_1)
	v_and_b32_e32 v14, 0x80000000, v14
	v_lshl_add_u32 v14, v15, 23, v14
	s_delay_alu instid0(VALU_DEP_1) | instskip(NEXT) | instid1(VALU_DEP_1)
	v_lshl_or_b32 v14, v16, 21, v14
                                        ; implicit-def: $vgpr16
	v_add_nc_u32_e32 v15, 0x38000000, v14
                                        ; implicit-def: $vgpr14
.LBB4_6813:                             ;   in Loop: Header=BB4_4959 Depth=2
	s_and_not1_saveexec_b32 s29, s29
; %bb.6814:                             ;   in Loop: Header=BB4_4959 Depth=2
	v_bfe_i32 v14, v14, 0, 8
	s_delay_alu instid0(VALU_DEP_1) | instskip(SKIP_2) | instid1(VALU_DEP_2)
	v_cmp_lt_i16_e32 vcc_lo, -1, v14
	v_cndmask_b32_e32 v14, 0xff800000, v109, vcc_lo
	v_cmp_eq_u32_e32 vcc_lo, 0, v16
	v_cndmask_b32_e32 v15, 0x7f800001, v14, vcc_lo
; %bb.6815:                             ;   in Loop: Header=BB4_4959 Depth=2
	s_or_b32 exec_lo, exec_lo, s29
.LBB4_6816:                             ;   in Loop: Header=BB4_4959 Depth=2
	s_delay_alu instid0(SALU_CYCLE_1)
	s_or_b32 exec_lo, exec_lo, s28
.LBB4_6817:                             ;   in Loop: Header=BB4_4959 Depth=2
	s_delay_alu instid0(SALU_CYCLE_1) | instskip(SKIP_2) | instid1(VALU_DEP_1)
	s_or_b32 exec_lo, exec_lo, s7
	v_lshrrev_b32_e32 v14, 16, v11
	s_mov_b32 s7, exec_lo
	v_and_b32_e32 v16, 0xff, v14
	s_delay_alu instid0(VALU_DEP_1)
	v_cmpx_ne_u16_e32 0, v16
	s_cbranch_execz .LBB4_6827
; %bb.6818:                             ;   in Loop: Header=BB4_4959 Depth=2
	v_bfrev_b32_e32 v2, 1
	s_mov_b32 s28, exec_lo
	v_cmpx_ne_u16_e32 0x80, v16
	s_cbranch_execz .LBB4_6826
; %bb.6819:                             ;   in Loop: Header=BB4_4959 Depth=2
	v_and_b32_e32 v2, 0x7c0000, v11
	v_bfe_u32 v16, v11, 16, 2
	s_delay_alu instid0(VALU_DEP_2) | instskip(SKIP_1) | instid1(SALU_CYCLE_1)
	v_cmp_ne_u32_e32 vcc_lo, 0x7c0000, v2
                                        ; implicit-def: $vgpr2
	s_and_saveexec_b32 s29, vcc_lo
	s_xor_b32 s29, exec_lo, s29
	s_cbranch_execz .LBB4_6823
; %bb.6820:                             ;   in Loop: Header=BB4_4959 Depth=2
	v_bfe_u32 v2, v11, 18, 5
	s_mov_b32 s40, exec_lo
	s_delay_alu instid0(VALU_DEP_1)
	v_cmpx_eq_u32_e32 0, v2
; %bb.6821:                             ;   in Loop: Header=BB4_4959 Depth=2
	v_clz_i32_u32_e32 v2, v16
	s_delay_alu instid0(VALU_DEP_1) | instskip(NEXT) | instid1(VALU_DEP_1)
	v_min_u32_e32 v2, 32, v2
	v_subrev_nc_u32_e32 v16, 29, v2
	s_delay_alu instid0(VALU_DEP_1) | instskip(NEXT) | instid1(VALU_DEP_1)
	v_lshlrev_b64_e32 v[16:17], v16, v[14:15]
	v_dual_sub_nc_u32 v2, 30, v2 :: v_dual_bitop2_b32 v16, 3, v16 bitop3:0x40
; %bb.6822:                             ;   in Loop: Header=BB4_4959 Depth=2
	s_or_b32 exec_lo, exec_lo, s40
	v_lshlrev_b32_e32 v14, 24, v14
	s_delay_alu instid0(VALU_DEP_1) | instskip(NEXT) | instid1(VALU_DEP_1)
	v_and_b32_e32 v14, 0x80000000, v14
	v_lshl_add_u32 v2, v2, 23, v14
                                        ; implicit-def: $vgpr14
	s_delay_alu instid0(VALU_DEP_1) | instskip(NEXT) | instid1(VALU_DEP_1)
	v_lshl_or_b32 v2, v16, 21, v2
                                        ; implicit-def: $vgpr16
	v_add_nc_u32_e32 v2, 0x38000000, v2
.LBB4_6823:                             ;   in Loop: Header=BB4_4959 Depth=2
	s_and_not1_saveexec_b32 s29, s29
; %bb.6824:                             ;   in Loop: Header=BB4_4959 Depth=2
	v_bfe_i32 v2, v14, 0, 8
	s_delay_alu instid0(VALU_DEP_1) | instskip(SKIP_2) | instid1(VALU_DEP_2)
	v_cmp_lt_i16_e32 vcc_lo, -1, v2
	v_cndmask_b32_e32 v2, 0xff800000, v109, vcc_lo
	v_cmp_eq_u32_e32 vcc_lo, 0, v16
	v_cndmask_b32_e32 v2, 0x7f800001, v2, vcc_lo
; %bb.6825:                             ;   in Loop: Header=BB4_4959 Depth=2
	s_or_b32 exec_lo, exec_lo, s29
.LBB4_6826:                             ;   in Loop: Header=BB4_4959 Depth=2
	s_delay_alu instid0(SALU_CYCLE_1)
	s_or_b32 exec_lo, exec_lo, s28
.LBB4_6827:                             ;   in Loop: Header=BB4_4959 Depth=2
	s_delay_alu instid0(SALU_CYCLE_1) | instskip(NEXT) | instid1(VALU_DEP_1)
	s_or_b32 exec_lo, exec_lo, s7
	v_dual_add_f32 v17, v15, v2 :: v_dual_mov_b32 v21, v37
	v_mov_b32_e32 v15, v37
                                        ; implicit-def: $vgpr16
	s_mov_b32 s7, exec_lo
	s_delay_alu instid0(VALU_DEP_2) | instskip(SKIP_2) | instid1(VALU_DEP_3)
	v_and_b32_e32 v20, 0x7f800000, v17
	v_and_b32_e32 v14, 0x7fffff, v17
	v_lshrrev_b32_e32 v2, 24, v17
	v_cmpx_ne_u64_e32 0x7f800000, v[20:21]
	s_xor_b32 s28, exec_lo, s7
	s_cbranch_execz .LBB4_6841
; %bb.6828:                             ;   in Loop: Header=BB4_4959 Depth=2
	v_and_b32_e32 v20, 0x7fffffff, v17
	v_mov_b32_e32 v21, v37
	v_and_b32_e32 v2, 0x80, v2
                                        ; implicit-def: $vgpr16
	s_mov_b32 s7, exec_lo
	s_delay_alu instid0(VALU_DEP_2)
	v_cmpx_gt_u64_e32 0x47600001, v[20:21]
	s_xor_b32 s29, exec_lo, s7
	s_cbranch_execz .LBB4_6838
; %bb.6829:                             ;   in Loop: Header=BB4_4959 Depth=2
	v_mov_b32_e32 v16, 0
	s_mov_b32 s40, exec_lo
	v_cmpx_ne_u32_e32 0, v17
	s_cbranch_execz .LBB4_6837
; %bb.6830:                             ;   in Loop: Header=BB4_4959 Depth=2
	v_bfe_u32 v20, v17, 23, 8
	v_or_b32_e32 v24, 0x800000, v14
	s_delay_alu instid0(VALU_DEP_2) | instskip(SKIP_1) | instid1(VALU_DEP_2)
	v_sub_nc_u32_e32 v16, 0x71, v20
	v_cmp_gt_u32_e32 vcc_lo, 0x72, v20
	v_cndmask_b32_e32 v16, 0, v16, vcc_lo
	v_cmp_eq_u32_e32 vcc_lo, 0, v20
	s_delay_alu instid0(VALU_DEP_2) | instskip(NEXT) | instid1(VALU_DEP_1)
	v_cndmask_b32_e64 v21, v16, 0x70, vcc_lo
	v_dual_cndmask_b32 v14, v24, v14, vcc_lo :: v_dual_add_nc_u32 v16, 21, v21
	v_add_nc_u32_e32 v25, 20, v21
	s_delay_alu instid0(VALU_DEP_2) | instskip(NEXT) | instid1(VALU_DEP_2)
	v_lshlrev_b64_e64 v[16:17], v16, -1
	v_lshlrev_b64_e64 v[24:25], v25, 1
	s_delay_alu instid0(VALU_DEP_2) | instskip(SKIP_1) | instid1(VALU_DEP_4)
	v_bfi_b32 v16, v16, 0, v14
	v_lshrrev_b64 v[14:15], v21, v[14:15]
	v_bfi_b32 v17, v17, 0, 0
	s_delay_alu instid0(VALU_DEP_1) | instskip(NEXT) | instid1(VALU_DEP_3)
	v_cmp_eq_u64_e64 s7, v[16:17], v[24:25]
	v_mov_b64_e32 v[16:17], v[14:15]
	s_and_saveexec_b32 s41, s7
; %bb.6831:                             ;   in Loop: Header=BB4_4959 Depth=2
	v_bfe_u32 v16, v14, 21, 1
	v_mov_b32_e32 v17, v37
	s_delay_alu instid0(VALU_DEP_1) | instskip(NEXT) | instid1(VALU_DEP_1)
	v_add_nc_u64_e32 v[16:17], v[14:15], v[16:17]
	v_add_nc_u64_e32 v[16:17], -1, v[16:17]
; %bb.6832:                             ;   in Loop: Header=BB4_4959 Depth=2
	s_or_b32 exec_lo, exec_lo, s41
	v_add_nc_u32_e32 v15, 0xffffff81, v20
	v_lshrrev_b32_e32 v17, 23, v14
	s_mov_b32 s7, exec_lo
	s_delay_alu instid0(VALU_DEP_2) | instskip(NEXT) | instid1(VALU_DEP_1)
	v_cndmask_b32_e64 v15, v15, 0xffffff82, vcc_lo
	v_add3_u32 v17, v21, v15, v17
	v_and_b32_e32 v15, 0x1fffff, v16
                                        ; implicit-def: $vgpr16
	s_delay_alu instid0(VALU_DEP_1) | instskip(SKIP_1) | instid1(VALU_DEP_2)
	v_dual_add_nc_u32 v20, 14, v17 :: v_dual_add_nc_u32 v14, v15, v14
	v_mov_b32_e32 v15, v37
	v_cmpx_ne_u32_e32 0, v20
	s_xor_b32 s7, exec_lo, s7
; %bb.6833:                             ;   in Loop: Header=BB4_4959 Depth=2
	s_delay_alu instid0(VALU_DEP_2) | instskip(SKIP_2) | instid1(VALU_DEP_2)
	v_cmp_lt_u64_e32 vcc_lo, 0xffffff, v[14:15]
	v_add_nc_u32_e32 v16, 15, v17
	v_cndmask_b32_e64 v17, 0, 1, vcc_lo
	v_cndmask_b32_e32 v16, v20, v16, vcc_lo
	s_delay_alu instid0(VALU_DEP_2)
	v_lshrrev_b64 v[14:15], v17, v[14:15]
; %bb.6834:                             ;   in Loop: Header=BB4_4959 Depth=2
	s_and_not1_saveexec_b32 s7, s7
; %bb.6835:                             ;   in Loop: Header=BB4_4959 Depth=2
	s_delay_alu instid0(VALU_DEP_1)
	v_bfe_u32 v16, v14, 23, 1
; %bb.6836:                             ;   in Loop: Header=BB4_4959 Depth=2
	s_or_b32 exec_lo, exec_lo, s7
	s_delay_alu instid0(VALU_DEP_2) | instskip(NEXT) | instid1(VALU_DEP_2)
	v_lshrrev_b64 v[14:15], 21, v[14:15]
	v_cmp_gt_i32_e32 vcc_lo, 32, v16
	v_min_i32_e32 v17, 31, v16
	v_cmp_eq_u32_e64 s7, 0, v16
	s_delay_alu instid0(VALU_DEP_2) | instskip(SKIP_1) | instid1(VALU_DEP_2)
	v_dual_cndmask_b32 v15, 0, v15, vcc_lo :: v_dual_lshlrev_b32 v17, 2, v17
	v_cndmask_b32_e32 v14, 3, v14, vcc_lo
	v_and_b32_e32 v17, 0xfc, v17
	s_delay_alu instid0(VALU_DEP_2) | instskip(NEXT) | instid1(VALU_DEP_2)
	v_cmp_eq_u64_e32 vcc_lo, 0, v[14:15]
	v_and_or_b32 v14, v14, 3, v17
	s_and_b32 s7, s7, vcc_lo
	s_delay_alu instid0(VALU_DEP_1) | instid1(SALU_CYCLE_1)
	v_cndmask_b32_e64 v14, v14, 0, s7
	s_delay_alu instid0(VALU_DEP_1)
	v_or_b32_e32 v16, v14, v2
.LBB4_6837:                             ;   in Loop: Header=BB4_4959 Depth=2
	s_or_b32 exec_lo, exec_lo, s40
                                        ; implicit-def: $vgpr2
.LBB4_6838:                             ;   in Loop: Header=BB4_4959 Depth=2
	s_and_not1_saveexec_b32 s7, s29
; %bb.6839:                             ;   in Loop: Header=BB4_4959 Depth=2
	v_or_b32_e32 v16, 0x7b, v2
; %bb.6840:                             ;   in Loop: Header=BB4_4959 Depth=2
	s_or_b32 exec_lo, exec_lo, s7
                                        ; implicit-def: $vgpr17
                                        ; implicit-def: $vgpr14_vgpr15
                                        ; implicit-def: $vgpr2
.LBB4_6841:                             ;   in Loop: Header=BB4_4959 Depth=2
	s_and_not1_saveexec_b32 s7, s28
	s_cbranch_execz .LBB4_6847
; %bb.6842:                             ;   in Loop: Header=BB4_4959 Depth=2
	s_mov_b32 s28, exec_lo
                                        ; implicit-def: $vgpr16
	v_cmpx_ne_u64_e32 0, v[14:15]
	s_xor_b32 s28, exec_lo, s28
; %bb.6843:                             ;   in Loop: Header=BB4_4959 Depth=2
	v_or_b32_e32 v16, 0x7f, v2
                                        ; implicit-def: $vgpr17
; %bb.6844:                             ;   in Loop: Header=BB4_4959 Depth=2
	s_and_not1_saveexec_b32 s28, s28
; %bb.6845:                             ;   in Loop: Header=BB4_4959 Depth=2
	v_cmp_lt_i32_e32 vcc_lo, -1, v17
	v_cndmask_b32_e32 v16, 0xfc, v110, vcc_lo
; %bb.6846:                             ;   in Loop: Header=BB4_4959 Depth=2
	s_or_b32 exec_lo, exec_lo, s28
.LBB4_6847:                             ;   in Loop: Header=BB4_4959 Depth=2
	s_delay_alu instid0(SALU_CYCLE_1)
	s_or_b32 exec_lo, exec_lo, s7
	v_dual_mov_b32 v2, 0 :: v_dual_mov_b32 v15, 0
	s_mov_b32 s7, exec_lo
	v_cmpx_lt_u32_e32 0xffffff, v36
	s_cbranch_execz .LBB4_6857
; %bb.6848:                             ;   in Loop: Header=BB4_4959 Depth=2
	v_lshrrev_b32_e32 v14, 24, v36
	v_bfrev_b32_e32 v15, 1
	s_mov_b32 s28, exec_lo
	s_delay_alu instid0(VALU_DEP_2)
	v_cmpx_ne_u32_e32 0x80, v14
	s_cbranch_execz .LBB4_6856
; %bb.6849:                             ;   in Loop: Header=BB4_4959 Depth=2
	v_and_b32_e32 v15, 0x7c000000, v36
	v_bfe_u32 v17, v36, 24, 2
	s_delay_alu instid0(VALU_DEP_2) | instskip(SKIP_1) | instid1(SALU_CYCLE_1)
	v_cmp_ne_u32_e32 vcc_lo, 0x7c000000, v15
                                        ; implicit-def: $vgpr15
	s_and_saveexec_b32 s29, vcc_lo
	s_xor_b32 s29, exec_lo, s29
	s_cbranch_execz .LBB4_6853
; %bb.6850:                             ;   in Loop: Header=BB4_4959 Depth=2
	v_bfe_u32 v15, v36, 26, 5
	s_mov_b32 s40, exec_lo
	s_delay_alu instid0(VALU_DEP_1)
	v_cmpx_eq_u32_e32 0, v15
; %bb.6851:                             ;   in Loop: Header=BB4_4959 Depth=2
	v_clz_i32_u32_e32 v15, v17
	s_delay_alu instid0(VALU_DEP_1) | instskip(NEXT) | instid1(VALU_DEP_1)
	v_min_u32_e32 v17, 32, v15
	v_subrev_nc_u32_e32 v15, 29, v17
	s_delay_alu instid0(VALU_DEP_1) | instskip(NEXT) | instid1(VALU_DEP_1)
	v_lshlrev_b64_e32 v[14:15], v15, v[14:15]
	v_dual_sub_nc_u32 v15, 30, v17 :: v_dual_bitop2_b32 v17, 3, v14 bitop3:0x40
; %bb.6852:                             ;   in Loop: Header=BB4_4959 Depth=2
	s_or_b32 exec_lo, exec_lo, s40
	v_and_b32_e32 v14, 0x80000000, v36
	s_delay_alu instid0(VALU_DEP_1) | instskip(NEXT) | instid1(VALU_DEP_1)
	v_lshl_add_u32 v14, v15, 23, v14
	v_lshl_or_b32 v14, v17, 21, v14
                                        ; implicit-def: $vgpr17
	s_delay_alu instid0(VALU_DEP_1)
	v_add_nc_u32_e32 v15, 0x38000000, v14
.LBB4_6853:                             ;   in Loop: Header=BB4_4959 Depth=2
	s_and_not1_saveexec_b32 s29, s29
; %bb.6854:                             ;   in Loop: Header=BB4_4959 Depth=2
	v_cmp_lt_i32_e32 vcc_lo, -1, v36
	v_cndmask_b32_e32 v14, 0xff800000, v109, vcc_lo
	v_cmp_eq_u32_e32 vcc_lo, 0, v17
	s_delay_alu instid0(VALU_DEP_2)
	v_cndmask_b32_e32 v15, 0x7f800001, v14, vcc_lo
; %bb.6855:                             ;   in Loop: Header=BB4_4959 Depth=2
	s_or_b32 exec_lo, exec_lo, s29
.LBB4_6856:                             ;   in Loop: Header=BB4_4959 Depth=2
	s_delay_alu instid0(SALU_CYCLE_1)
	s_or_b32 exec_lo, exec_lo, s28
.LBB4_6857:                             ;   in Loop: Header=BB4_4959 Depth=2
	s_delay_alu instid0(SALU_CYCLE_1) | instskip(NEXT) | instid1(SALU_CYCLE_1)
	s_or_b32 exec_lo, exec_lo, s7
	s_mov_b32 s7, exec_lo
	v_cmpx_lt_u64_e64 s[12:13], v[10:11]
	s_cbranch_execz .LBB4_6867
; %bb.6858:                             ;   in Loop: Header=BB4_4959 Depth=2
	v_lshrrev_b32_e32 v14, 24, v11
	v_bfrev_b32_e32 v2, 1
	s_mov_b32 s28, exec_lo
	s_delay_alu instid0(VALU_DEP_2)
	v_cmpx_ne_u32_e32 0x80, v14
	s_cbranch_execz .LBB4_6866
; %bb.6859:                             ;   in Loop: Header=BB4_4959 Depth=2
	v_and_b32_e32 v2, 0x7c000000, v11
	v_bfe_u32 v17, v11, 24, 2
	s_delay_alu instid0(VALU_DEP_2) | instskip(SKIP_1) | instid1(SALU_CYCLE_1)
	v_cmp_ne_u32_e32 vcc_lo, 0x7c000000, v2
                                        ; implicit-def: $vgpr2
	s_and_saveexec_b32 s29, vcc_lo
	s_xor_b32 s29, exec_lo, s29
	s_cbranch_execz .LBB4_6863
; %bb.6860:                             ;   in Loop: Header=BB4_4959 Depth=2
	v_bfe_u32 v2, v11, 26, 5
	s_mov_b32 s40, exec_lo
	s_delay_alu instid0(VALU_DEP_1)
	v_cmpx_eq_u32_e32 0, v2
; %bb.6861:                             ;   in Loop: Header=BB4_4959 Depth=2
	v_clz_i32_u32_e32 v2, v17
	s_delay_alu instid0(VALU_DEP_1) | instskip(NEXT) | instid1(VALU_DEP_1)
	v_min_u32_e32 v2, 32, v2
	v_subrev_nc_u32_e32 v17, 29, v2
	s_delay_alu instid0(VALU_DEP_1) | instskip(NEXT) | instid1(VALU_DEP_1)
	v_lshlrev_b64_e32 v[20:21], v17, v[14:15]
	v_dual_sub_nc_u32 v2, 30, v2 :: v_dual_bitop2_b32 v17, 3, v20 bitop3:0x40
; %bb.6862:                             ;   in Loop: Header=BB4_4959 Depth=2
	s_or_b32 exec_lo, exec_lo, s40
	v_and_b32_e32 v14, 0x80000000, v11
	s_delay_alu instid0(VALU_DEP_1) | instskip(NEXT) | instid1(VALU_DEP_1)
	v_lshl_add_u32 v2, v2, 23, v14
	v_lshl_or_b32 v2, v17, 21, v2
                                        ; implicit-def: $vgpr17
	s_delay_alu instid0(VALU_DEP_1)
	v_add_nc_u32_e32 v2, 0x38000000, v2
.LBB4_6863:                             ;   in Loop: Header=BB4_4959 Depth=2
	s_and_not1_saveexec_b32 s29, s29
; %bb.6864:                             ;   in Loop: Header=BB4_4959 Depth=2
	v_cmp_lt_i64_e32 vcc_lo, -1, v[10:11]
	v_cndmask_b32_e32 v2, 0xff800000, v109, vcc_lo
	v_cmp_eq_u32_e32 vcc_lo, 0, v17
	s_delay_alu instid0(VALU_DEP_2)
	v_cndmask_b32_e32 v2, 0x7f800001, v2, vcc_lo
; %bb.6865:                             ;   in Loop: Header=BB4_4959 Depth=2
	s_or_b32 exec_lo, exec_lo, s29
.LBB4_6866:                             ;   in Loop: Header=BB4_4959 Depth=2
	s_delay_alu instid0(SALU_CYCLE_1)
	s_or_b32 exec_lo, exec_lo, s28
.LBB4_6867:                             ;   in Loop: Header=BB4_4959 Depth=2
	s_delay_alu instid0(SALU_CYCLE_1) | instskip(NEXT) | instid1(VALU_DEP_1)
	s_or_b32 exec_lo, exec_lo, s7
	v_dual_add_f32 v10, v15, v2 :: v_dual_mov_b32 v15, v37
                                        ; implicit-def: $vgpr17
	s_mov_b32 s7, exec_lo
	s_delay_alu instid0(VALU_DEP_1) | instskip(SKIP_2) | instid1(VALU_DEP_3)
	v_and_b32_e32 v14, 0x7f800000, v10
	v_and_b32_e32 v36, 0x7fffff, v10
	v_lshrrev_b32_e32 v2, 24, v10
	v_cmpx_ne_u64_e32 0x7f800000, v[14:15]
	s_xor_b32 s28, exec_lo, s7
	s_cbranch_execz .LBB4_6881
; %bb.6868:                             ;   in Loop: Header=BB4_4959 Depth=2
	v_and_b32_e32 v14, 0x7fffffff, v10
	v_mov_b32_e32 v15, v37
	v_and_b32_e32 v2, 0x80, v2
                                        ; implicit-def: $vgpr17
	s_mov_b32 s7, exec_lo
	s_delay_alu instid0(VALU_DEP_2)
	v_cmpx_gt_u64_e32 0x47600001, v[14:15]
	s_xor_b32 s29, exec_lo, s7
	s_cbranch_execz .LBB4_6878
; %bb.6869:                             ;   in Loop: Header=BB4_4959 Depth=2
	v_mov_b32_e32 v17, 0
	s_mov_b32 s40, exec_lo
	v_cmpx_ne_u32_e32 0, v10
	s_cbranch_execz .LBB4_6877
; %bb.6870:                             ;   in Loop: Header=BB4_4959 Depth=2
	v_bfe_u32 v17, v10, 23, 8
	v_or_b32_e32 v14, 0x800000, v36
	s_mov_b32 s41, exec_lo
	s_delay_alu instid0(VALU_DEP_2) | instskip(SKIP_1) | instid1(VALU_DEP_2)
	v_dual_mov_b32 v15, v37 :: v_dual_sub_nc_u32 v10, 0x71, v17
	v_cmp_gt_u32_e32 vcc_lo, 0x72, v17
	v_cndmask_b32_e32 v10, 0, v10, vcc_lo
	v_cmp_eq_u32_e32 vcc_lo, 0, v17
	s_delay_alu instid0(VALU_DEP_2) | instskip(SKIP_1) | instid1(VALU_DEP_2)
	v_cndmask_b32_e64 v20, v10, 0x70, vcc_lo
	v_cndmask_b32_e32 v14, v14, v36, vcc_lo
	v_dual_add_nc_u32 v10, 21, v20 :: v_dual_add_nc_u32 v21, 20, v20
	s_delay_alu instid0(VALU_DEP_1) | instskip(NEXT) | instid1(VALU_DEP_2)
	v_lshlrev_b64_e64 v[10:11], v10, -1
	v_lshlrev_b64_e64 v[24:25], v21, 1
	s_delay_alu instid0(VALU_DEP_2) | instskip(NEXT) | instid1(VALU_DEP_3)
	v_bfi_b32 v63, v11, 0, 0
	v_bfi_b32 v62, v10, 0, v14
	v_lshrrev_b64 v[10:11], v20, v[14:15]
	s_delay_alu instid0(VALU_DEP_1) | instskip(NEXT) | instid1(VALU_DEP_3)
	v_mov_b64_e32 v[14:15], v[10:11]
	v_cmpx_eq_u64_e64 v[62:63], v[24:25]
; %bb.6871:                             ;   in Loop: Header=BB4_4959 Depth=2
	v_bfe_u32 v14, v10, 21, 1
	v_mov_b32_e32 v15, v37
	s_delay_alu instid0(VALU_DEP_1) | instskip(NEXT) | instid1(VALU_DEP_1)
	v_add_nc_u64_e32 v[14:15], v[10:11], v[14:15]
	v_add_nc_u64_e32 v[14:15], -1, v[14:15]
; %bb.6872:                             ;   in Loop: Header=BB4_4959 Depth=2
	s_or_b32 exec_lo, exec_lo, s41
	v_add_nc_u32_e32 v11, 0xffffff81, v17
	v_lshrrev_b32_e32 v15, 23, v10
	s_mov_b32 s7, exec_lo
	s_delay_alu instid0(VALU_DEP_2) | instskip(NEXT) | instid1(VALU_DEP_1)
	v_cndmask_b32_e64 v11, v11, 0xffffff82, vcc_lo
	v_add3_u32 v15, v20, v11, v15
	v_and_b32_e32 v11, 0x1fffff, v14
                                        ; implicit-def: $vgpr14
	s_delay_alu instid0(VALU_DEP_1) | instskip(NEXT) | instid1(VALU_DEP_1)
	v_dual_add_nc_u32 v17, 14, v15 :: v_dual_add_nc_u32 v36, v11, v10
                                        ; implicit-def: $vgpr10_vgpr11
	v_cmpx_ne_u32_e32 0, v17
	s_xor_b32 s7, exec_lo, s7
; %bb.6873:                             ;   in Loop: Header=BB4_4959 Depth=2
	s_delay_alu instid0(VALU_DEP_2) | instskip(SKIP_1) | instid1(VALU_DEP_1)
	v_cmp_lt_u64_e32 vcc_lo, 0xffffff, v[36:37]
	v_add_nc_u32_e32 v10, 15, v15
	v_cndmask_b32_e32 v14, v17, v10, vcc_lo
	v_cndmask_b32_e64 v10, 0, 1, vcc_lo
	s_delay_alu instid0(VALU_DEP_1)
	v_lshrrev_b64 v[10:11], v10, v[36:37]
; %bb.6874:                             ;   in Loop: Header=BB4_4959 Depth=2
	s_and_not1_saveexec_b32 s7, s7
; %bb.6875:                             ;   in Loop: Header=BB4_4959 Depth=2
	v_mov_b64_e32 v[10:11], v[36:37]
	v_bfe_u32 v14, v36, 23, 1
; %bb.6876:                             ;   in Loop: Header=BB4_4959 Depth=2
	s_or_b32 exec_lo, exec_lo, s7
	s_delay_alu instid0(VALU_DEP_2) | instskip(NEXT) | instid1(VALU_DEP_2)
	v_lshrrev_b64 v[10:11], 21, v[10:11]
	v_cmp_gt_i32_e32 vcc_lo, 32, v14
	v_min_i32_e32 v15, 31, v14
	v_cmp_eq_u32_e64 s7, 0, v14
	s_delay_alu instid0(VALU_DEP_4) | instskip(NEXT) | instid1(VALU_DEP_3)
	v_cndmask_b32_e32 v11, 0, v11, vcc_lo
	v_dual_cndmask_b32 v10, 3, v10 :: v_dual_lshlrev_b32 v15, 2, v15
	s_delay_alu instid0(VALU_DEP_1) | instskip(NEXT) | instid1(VALU_DEP_2)
	v_and_b32_e32 v15, 0xfc, v15
	v_cmp_eq_u64_e32 vcc_lo, 0, v[10:11]
	s_delay_alu instid0(VALU_DEP_2)
	v_and_or_b32 v10, v10, 3, v15
	s_and_b32 s7, s7, vcc_lo
	s_delay_alu instid0(VALU_DEP_1) | instid1(SALU_CYCLE_1)
	v_cndmask_b32_e64 v10, v10, 0, s7
	s_delay_alu instid0(VALU_DEP_1)
	v_or_b32_e32 v17, v10, v2
.LBB4_6877:                             ;   in Loop: Header=BB4_4959 Depth=2
	s_or_b32 exec_lo, exec_lo, s40
                                        ; implicit-def: $vgpr2
.LBB4_6878:                             ;   in Loop: Header=BB4_4959 Depth=2
	s_and_not1_saveexec_b32 s7, s29
; %bb.6879:                             ;   in Loop: Header=BB4_4959 Depth=2
	v_or_b32_e32 v17, 0x7b, v2
; %bb.6880:                             ;   in Loop: Header=BB4_4959 Depth=2
	s_or_b32 exec_lo, exec_lo, s7
                                        ; implicit-def: $vgpr10
                                        ; implicit-def: $vgpr2
.LBB4_6881:                             ;   in Loop: Header=BB4_4959 Depth=2
	s_and_not1_saveexec_b32 s7, s28
	s_cbranch_execz .LBB4_6887
; %bb.6882:                             ;   in Loop: Header=BB4_4959 Depth=2
	s_mov_b32 s28, exec_lo
                                        ; implicit-def: $vgpr17
	v_cmpx_ne_u64_e32 0, v[36:37]
	s_xor_b32 s28, exec_lo, s28
; %bb.6883:                             ;   in Loop: Header=BB4_4959 Depth=2
	v_or_b32_e32 v17, 0x7f, v2
                                        ; implicit-def: $vgpr10
; %bb.6884:                             ;   in Loop: Header=BB4_4959 Depth=2
	s_and_not1_saveexec_b32 s28, s28
; %bb.6885:                             ;   in Loop: Header=BB4_4959 Depth=2
	v_cmp_lt_i32_e32 vcc_lo, -1, v10
	v_cndmask_b32_e32 v17, 0xfc, v110, vcc_lo
; %bb.6886:                             ;   in Loop: Header=BB4_4959 Depth=2
	s_or_b32 exec_lo, exec_lo, s28
.LBB4_6887:                             ;   in Loop: Header=BB4_4959 Depth=2
	s_delay_alu instid0(SALU_CYCLE_1) | instskip(SKIP_4) | instid1(VALU_DEP_2)
	s_or_b32 exec_lo, exec_lo, s7
	v_lshl_or_b32 v2, v113, 8, v3
	v_dual_lshlrev_b32 v11, 16, v116 :: v_dual_lshlrev_b32 v14, 24, v119
	v_mov_b32_e32 v10, 0
	s_mov_b32 s7, exec_lo
	v_or3_b32 v36, v11, v14, v2
	v_mov_b32_e32 v11, 0
	v_cmpx_ne_u32_e32 0, v3
	s_cbranch_execz .LBB4_6897
; %bb.6888:                             ;   in Loop: Header=BB4_4959 Depth=2
	v_bfrev_b32_e32 v11, 1
	s_mov_b32 s28, exec_lo
	v_cmpx_ne_u32_e32 0x80, v3
	s_cbranch_execz .LBB4_6896
; %bb.6889:                             ;   in Loop: Header=BB4_4959 Depth=2
	v_and_b32_e32 v11, 0x7c, v3
	v_and_b32_e32 v14, 3, v3
	s_delay_alu instid0(VALU_DEP_2) | instskip(SKIP_1) | instid1(SALU_CYCLE_1)
	v_cmp_ne_u32_e32 vcc_lo, 0x7c, v11
                                        ; implicit-def: $vgpr11
	s_and_saveexec_b32 s29, vcc_lo
	s_xor_b32 s29, exec_lo, s29
	s_cbranch_execz .LBB4_6893
; %bb.6890:                             ;   in Loop: Header=BB4_4959 Depth=2
	v_bfe_u32 v11, v3, 2, 5
	s_mov_b32 s40, exec_lo
	s_delay_alu instid0(VALU_DEP_1)
	v_cmpx_eq_u32_e32 0, v11
; %bb.6891:                             ;   in Loop: Header=BB4_4959 Depth=2
	v_clz_i32_u32_e32 v11, v14
	s_delay_alu instid0(VALU_DEP_1) | instskip(NEXT) | instid1(VALU_DEP_1)
	v_min_u32_e32 v11, 32, v11
	v_subrev_nc_u32_e32 v14, 29, v11
	s_delay_alu instid0(VALU_DEP_1) | instskip(NEXT) | instid1(VALU_DEP_1)
	v_lshlrev_b64_e32 v[14:15], v14, v[36:37]
	v_dual_sub_nc_u32 v11, 30, v11 :: v_dual_bitop2_b32 v14, 3, v14 bitop3:0x40
; %bb.6892:                             ;   in Loop: Header=BB4_4959 Depth=2
	s_or_b32 exec_lo, exec_lo, s40
	v_lshlrev_b32_e32 v3, 24, v3
	s_delay_alu instid0(VALU_DEP_1) | instskip(NEXT) | instid1(VALU_DEP_1)
	v_and_b32_e32 v3, 0x80000000, v3
	v_lshl_add_u32 v3, v11, 23, v3
	s_delay_alu instid0(VALU_DEP_1) | instskip(NEXT) | instid1(VALU_DEP_1)
	v_lshl_or_b32 v3, v14, 21, v3
                                        ; implicit-def: $vgpr14
	v_add_nc_u32_e32 v11, 0x38000000, v3
                                        ; implicit-def: $vgpr3
.LBB4_6893:                             ;   in Loop: Header=BB4_4959 Depth=2
	s_and_not1_saveexec_b32 s29, s29
; %bb.6894:                             ;   in Loop: Header=BB4_4959 Depth=2
	v_and_b32_e32 v3, 0x80, v3
	s_delay_alu instid0(VALU_DEP_1) | instskip(SKIP_2) | instid1(VALU_DEP_2)
	v_cmp_eq_u32_e32 vcc_lo, 0, v3
	v_cndmask_b32_e32 v3, 0xff800000, v109, vcc_lo
	v_cmp_eq_u32_e32 vcc_lo, 0, v14
	v_cndmask_b32_e32 v11, 0x7f800001, v3, vcc_lo
; %bb.6895:                             ;   in Loop: Header=BB4_4959 Depth=2
	s_or_b32 exec_lo, exec_lo, s29
.LBB4_6896:                             ;   in Loop: Header=BB4_4959 Depth=2
	s_delay_alu instid0(SALU_CYCLE_1)
	s_or_b32 exec_lo, exec_lo, s28
.LBB4_6897:                             ;   in Loop: Header=BB4_4959 Depth=2
	s_delay_alu instid0(SALU_CYCLE_1) | instskip(SKIP_2) | instid1(VALU_DEP_1)
	s_or_b32 exec_lo, exec_lo, s7
	v_and_b32_e32 v3, 0xff, v12
	s_mov_b32 s7, exec_lo
	v_cmpx_ne_u16_e32 0, v3
	s_cbranch_execz .LBB4_6907
; %bb.6898:                             ;   in Loop: Header=BB4_4959 Depth=2
	v_bfe_i32 v14, v12, 0, 8
	v_bfrev_b32_e32 v10, 1
	s_mov_b32 s28, exec_lo
	s_delay_alu instid0(VALU_DEP_2)
	v_cmpx_ne_u16_e32 0xff80, v14
	s_cbranch_execz .LBB4_6906
; %bb.6899:                             ;   in Loop: Header=BB4_4959 Depth=2
	v_and_b32_e32 v10, 0x7c, v12
	v_and_b32_e32 v3, 3, v12
	s_delay_alu instid0(VALU_DEP_2) | instskip(SKIP_1) | instid1(SALU_CYCLE_1)
	v_cmp_ne_u32_e32 vcc_lo, 0x7c, v10
                                        ; implicit-def: $vgpr10
	s_and_saveexec_b32 s29, vcc_lo
	s_xor_b32 s29, exec_lo, s29
	s_cbranch_execz .LBB4_6903
; %bb.6900:                             ;   in Loop: Header=BB4_4959 Depth=2
	v_bfe_u32 v10, v12, 2, 5
	s_mov_b32 s40, exec_lo
	s_delay_alu instid0(VALU_DEP_1)
	v_cmpx_eq_u32_e32 0, v10
; %bb.6901:                             ;   in Loop: Header=BB4_4959 Depth=2
	v_clz_i32_u32_e32 v3, v3
	s_delay_alu instid0(VALU_DEP_1) | instskip(NEXT) | instid1(VALU_DEP_1)
	v_min_u32_e32 v3, 32, v3
	v_subrev_nc_u32_e32 v10, 29, v3
	s_delay_alu instid0(VALU_DEP_1) | instskip(NEXT) | instid1(VALU_DEP_1)
	v_lshlrev_b64_e32 v[14:15], v10, v[12:13]
	v_dual_sub_nc_u32 v10, 30, v3 :: v_dual_bitop2_b32 v3, 3, v14 bitop3:0x40
; %bb.6902:                             ;   in Loop: Header=BB4_4959 Depth=2
	s_or_b32 exec_lo, exec_lo, s40
	v_lshlrev_b32_e32 v14, 24, v12
	s_delay_alu instid0(VALU_DEP_1) | instskip(NEXT) | instid1(VALU_DEP_1)
	v_and_b32_e32 v14, 0x80000000, v14
	v_lshl_add_u32 v10, v10, 23, v14
                                        ; implicit-def: $vgpr14
	s_delay_alu instid0(VALU_DEP_1) | instskip(NEXT) | instid1(VALU_DEP_1)
	v_lshl_or_b32 v3, v3, 21, v10
	v_add_nc_u32_e32 v10, 0x38000000, v3
                                        ; implicit-def: $vgpr3
.LBB4_6903:                             ;   in Loop: Header=BB4_4959 Depth=2
	s_and_not1_saveexec_b32 s29, s29
; %bb.6904:                             ;   in Loop: Header=BB4_4959 Depth=2
	v_cmp_lt_i16_e32 vcc_lo, -1, v14
	v_cndmask_b32_e32 v10, 0xff800000, v109, vcc_lo
	v_cmp_eq_u32_e32 vcc_lo, 0, v3
	s_delay_alu instid0(VALU_DEP_2)
	v_cndmask_b32_e32 v10, 0x7f800001, v10, vcc_lo
; %bb.6905:                             ;   in Loop: Header=BB4_4959 Depth=2
	s_or_b32 exec_lo, exec_lo, s29
.LBB4_6906:                             ;   in Loop: Header=BB4_4959 Depth=2
	s_delay_alu instid0(SALU_CYCLE_1)
	s_or_b32 exec_lo, exec_lo, s28
.LBB4_6907:                             ;   in Loop: Header=BB4_4959 Depth=2
	s_delay_alu instid0(SALU_CYCLE_1) | instskip(NEXT) | instid1(VALU_DEP_1)
	s_or_b32 exec_lo, exec_lo, s7
	v_dual_add_f32 v14, v11, v10 :: v_dual_mov_b32 v21, v37
	v_mov_b32_e32 v11, v37
                                        ; implicit-def: $vgpr3
	s_mov_b32 s7, exec_lo
	s_delay_alu instid0(VALU_DEP_2) | instskip(SKIP_2) | instid1(VALU_DEP_3)
	v_and_b32_e32 v20, 0x7f800000, v14
	v_and_b32_e32 v10, 0x7fffff, v14
	v_lshrrev_b32_e32 v15, 24, v14
	v_cmpx_ne_u64_e32 0x7f800000, v[20:21]
	s_xor_b32 s28, exec_lo, s7
	s_cbranch_execz .LBB4_6921
; %bb.6908:                             ;   in Loop: Header=BB4_4959 Depth=2
	v_and_b32_e32 v20, 0x7fffffff, v14
	v_mov_b32_e32 v21, v37
	v_and_b32_e32 v113, 0x80, v15
                                        ; implicit-def: $vgpr3
	s_mov_b32 s7, exec_lo
	s_delay_alu instid0(VALU_DEP_2)
	v_cmpx_gt_u64_e32 0x47600001, v[20:21]
	s_xor_b32 s29, exec_lo, s7
	s_cbranch_execz .LBB4_6918
; %bb.6909:                             ;   in Loop: Header=BB4_4959 Depth=2
	v_mov_b32_e32 v3, 0
	s_mov_b32 s40, exec_lo
	v_cmpx_ne_u32_e32 0, v14
	s_cbranch_execz .LBB4_6917
; %bb.6910:                             ;   in Loop: Header=BB4_4959 Depth=2
	v_bfe_u32 v3, v14, 23, 8
	v_or_b32_e32 v21, 0x800000, v10
	s_delay_alu instid0(VALU_DEP_2) | instskip(SKIP_1) | instid1(VALU_DEP_2)
	v_sub_nc_u32_e32 v14, 0x71, v3
	v_cmp_gt_u32_e32 vcc_lo, 0x72, v3
	v_cndmask_b32_e32 v14, 0, v14, vcc_lo
	v_cmp_eq_u32_e32 vcc_lo, 0, v3
	s_delay_alu instid0(VALU_DEP_2) | instskip(NEXT) | instid1(VALU_DEP_1)
	v_cndmask_b32_e64 v20, v14, 0x70, vcc_lo
	v_dual_cndmask_b32 v10, v21, v10, vcc_lo :: v_dual_add_nc_u32 v14, 21, v20
	v_add_nc_u32_e32 v24, 20, v20
	s_delay_alu instid0(VALU_DEP_2) | instskip(NEXT) | instid1(VALU_DEP_2)
	v_lshlrev_b64_e64 v[14:15], v14, -1
	v_lshlrev_b64_e64 v[24:25], v24, 1
	s_delay_alu instid0(VALU_DEP_2) | instskip(SKIP_1) | instid1(VALU_DEP_4)
	v_bfi_b32 v14, v14, 0, v10
	v_lshrrev_b64 v[10:11], v20, v[10:11]
	v_bfi_b32 v15, v15, 0, 0
	s_delay_alu instid0(VALU_DEP_1) | instskip(NEXT) | instid1(VALU_DEP_3)
	v_cmp_eq_u64_e64 s7, v[14:15], v[24:25]
	v_mov_b64_e32 v[14:15], v[10:11]
	s_and_saveexec_b32 s41, s7
; %bb.6911:                             ;   in Loop: Header=BB4_4959 Depth=2
	v_bfe_u32 v14, v10, 21, 1
	v_mov_b32_e32 v15, v37
	s_delay_alu instid0(VALU_DEP_1) | instskip(NEXT) | instid1(VALU_DEP_1)
	v_add_nc_u64_e32 v[14:15], v[10:11], v[14:15]
	v_add_nc_u64_e32 v[14:15], -1, v[14:15]
; %bb.6912:                             ;   in Loop: Header=BB4_4959 Depth=2
	s_or_b32 exec_lo, exec_lo, s41
	v_add_nc_u32_e32 v3, 0xffffff81, v3
	v_lshrrev_b32_e32 v11, 23, v10
	s_mov_b32 s7, exec_lo
	s_delay_alu instid0(VALU_DEP_2) | instskip(NEXT) | instid1(VALU_DEP_1)
	v_cndmask_b32_e64 v3, v3, 0xffffff82, vcc_lo
	v_add3_u32 v15, v20, v3, v11
	v_and_b32_e32 v3, 0x1fffff, v14
	s_delay_alu instid0(VALU_DEP_2) | instskip(NEXT) | instid1(VALU_DEP_2)
	v_dual_mov_b32 v11, v37 :: v_dual_add_nc_u32 v14, 14, v15
	v_add_nc_u32_e32 v10, v3, v10
                                        ; implicit-def: $vgpr3
	s_delay_alu instid0(VALU_DEP_2)
	v_cmpx_ne_u32_e32 0, v14
	s_xor_b32 s7, exec_lo, s7
; %bb.6913:                             ;   in Loop: Header=BB4_4959 Depth=2
	s_delay_alu instid0(VALU_DEP_2) | instskip(SKIP_1) | instid1(VALU_DEP_1)
	v_cmp_lt_u64_e32 vcc_lo, 0xffffff, v[10:11]
	v_add_nc_u32_e32 v3, 15, v15
	v_cndmask_b32_e32 v3, v14, v3, vcc_lo
	v_cndmask_b32_e64 v14, 0, 1, vcc_lo
	s_delay_alu instid0(VALU_DEP_1)
	v_lshrrev_b64 v[10:11], v14, v[10:11]
; %bb.6914:                             ;   in Loop: Header=BB4_4959 Depth=2
	s_and_not1_saveexec_b32 s7, s7
; %bb.6915:                             ;   in Loop: Header=BB4_4959 Depth=2
	s_delay_alu instid0(VALU_DEP_1)
	v_bfe_u32 v3, v10, 23, 1
; %bb.6916:                             ;   in Loop: Header=BB4_4959 Depth=2
	s_or_b32 exec_lo, exec_lo, s7
	s_delay_alu instid0(VALU_DEP_2) | instskip(NEXT) | instid1(VALU_DEP_2)
	v_lshrrev_b64 v[10:11], 21, v[10:11]
	v_cmp_gt_i32_e32 vcc_lo, 32, v3
	v_min_i32_e32 v14, 31, v3
	v_cmp_eq_u32_e64 s7, 0, v3
	s_delay_alu instid0(VALU_DEP_4) | instskip(NEXT) | instid1(VALU_DEP_3)
	v_cndmask_b32_e32 v10, 3, v10, vcc_lo
	v_dual_cndmask_b32 v11, 0, v11 :: v_dual_lshlrev_b32 v14, 2, v14
	s_delay_alu instid0(VALU_DEP_1) | instskip(NEXT) | instid1(VALU_DEP_2)
	v_and_b32_e32 v14, 0xfc, v14
	v_cmp_eq_u64_e32 vcc_lo, 0, v[10:11]
	s_delay_alu instid0(VALU_DEP_2)
	v_and_or_b32 v3, v10, 3, v14
	s_and_b32 s7, s7, vcc_lo
	s_delay_alu instid0(VALU_DEP_1) | instid1(SALU_CYCLE_1)
	v_cndmask_b32_e64 v3, v3, 0, s7
	s_delay_alu instid0(VALU_DEP_1)
	v_or_b32_e32 v3, v3, v113
.LBB4_6917:                             ;   in Loop: Header=BB4_4959 Depth=2
	s_or_b32 exec_lo, exec_lo, s40
                                        ; implicit-def: $vgpr113
.LBB4_6918:                             ;   in Loop: Header=BB4_4959 Depth=2
	s_and_not1_saveexec_b32 s7, s29
; %bb.6919:                             ;   in Loop: Header=BB4_4959 Depth=2
	v_or_b32_e32 v3, 0x7b, v113
; %bb.6920:                             ;   in Loop: Header=BB4_4959 Depth=2
	s_or_b32 exec_lo, exec_lo, s7
                                        ; implicit-def: $vgpr14
                                        ; implicit-def: $vgpr10_vgpr11
                                        ; implicit-def: $vgpr15
.LBB4_6921:                             ;   in Loop: Header=BB4_4959 Depth=2
	s_and_not1_saveexec_b32 s7, s28
	s_cbranch_execz .LBB4_6927
; %bb.6922:                             ;   in Loop: Header=BB4_4959 Depth=2
	s_mov_b32 s28, exec_lo
                                        ; implicit-def: $vgpr3
	v_cmpx_ne_u64_e32 0, v[10:11]
	s_xor_b32 s28, exec_lo, s28
; %bb.6923:                             ;   in Loop: Header=BB4_4959 Depth=2
	v_or_b32_e32 v3, 0x7f, v15
                                        ; implicit-def: $vgpr14
; %bb.6924:                             ;   in Loop: Header=BB4_4959 Depth=2
	s_and_not1_saveexec_b32 s28, s28
; %bb.6925:                             ;   in Loop: Header=BB4_4959 Depth=2
	v_cmp_lt_i32_e32 vcc_lo, -1, v14
	v_cndmask_b32_e32 v3, 0xfc, v110, vcc_lo
; %bb.6926:                             ;   in Loop: Header=BB4_4959 Depth=2
	s_or_b32 exec_lo, exec_lo, s28
.LBB4_6927:                             ;   in Loop: Header=BB4_4959 Depth=2
	s_delay_alu instid0(SALU_CYCLE_1) | instskip(SKIP_3) | instid1(VALU_DEP_2)
	s_or_b32 exec_lo, exec_lo, s7
	v_lshrrev_b16 v10, 8, v2
	v_dual_mov_b32 v14, 0 :: v_dual_mov_b32 v15, 0
	s_mov_b32 s7, exec_lo
	v_cmpx_ne_u16_e32 0, v10
	s_cbranch_execz .LBB4_6937
; %bb.6928:                             ;   in Loop: Header=BB4_4959 Depth=2
	v_bfrev_b32_e32 v15, 1
	s_mov_b32 s28, exec_lo
	v_cmpx_ne_u16_e32 0x80, v10
	s_cbranch_execz .LBB4_6936
; %bb.6929:                             ;   in Loop: Header=BB4_4959 Depth=2
	v_and_b32_e32 v20, 0xffff, v10
	s_delay_alu instid0(VALU_DEP_1) | instskip(SKIP_1) | instid1(VALU_DEP_2)
	v_and_b32_e32 v15, 0x7c, v20
	v_and_b32_e32 v11, 3, v20
	v_cmp_ne_u32_e32 vcc_lo, 0x7c, v15
                                        ; implicit-def: $vgpr15
	s_and_saveexec_b32 s29, vcc_lo
	s_delay_alu instid0(SALU_CYCLE_1)
	s_xor_b32 s29, exec_lo, s29
	s_cbranch_execz .LBB4_6933
; %bb.6930:                             ;   in Loop: Header=BB4_4959 Depth=2
	v_bfe_u32 v15, v20, 2, 5
	s_mov_b32 s40, exec_lo
	s_delay_alu instid0(VALU_DEP_1)
	v_cmpx_eq_u32_e32 0, v15
	s_cbranch_execz .LBB4_6932
; %bb.6931:                             ;   in Loop: Header=BB4_4959 Depth=2
	v_clz_i32_u32_e32 v11, v11
	s_delay_alu instid0(VALU_DEP_1) | instskip(SKIP_1) | instid1(VALU_DEP_2)
	v_min_u32_e32 v15, 32, v11
	v_mov_b32_e32 v11, v37
	v_subrev_nc_u32_e32 v20, 29, v15
	v_sub_nc_u32_e32 v15, 30, v15
	s_delay_alu instid0(VALU_DEP_2) | instskip(NEXT) | instid1(VALU_DEP_1)
	v_lshlrev_b64_e32 v[10:11], v20, v[10:11]
	v_and_b32_e32 v11, 3, v10
.LBB4_6932:                             ;   in Loop: Header=BB4_4959 Depth=2
	s_or_b32 exec_lo, exec_lo, s40
	v_lshlrev_b32_e32 v2, 16, v2
	s_delay_alu instid0(VALU_DEP_1) | instskip(NEXT) | instid1(VALU_DEP_1)
	v_and_b32_e32 v2, 0x80000000, v2
	v_lshl_add_u32 v2, v15, 23, v2
	s_delay_alu instid0(VALU_DEP_1) | instskip(NEXT) | instid1(VALU_DEP_1)
	v_lshl_or_b32 v2, v11, 21, v2
                                        ; implicit-def: $vgpr11
	v_add_nc_u32_e32 v15, 0x38000000, v2
                                        ; implicit-def: $vgpr2
.LBB4_6933:                             ;   in Loop: Header=BB4_4959 Depth=2
	s_and_not1_saveexec_b32 s29, s29
; %bb.6934:                             ;   in Loop: Header=BB4_4959 Depth=2
	v_cmp_lt_i16_e32 vcc_lo, -1, v2
	v_cndmask_b32_e32 v2, 0xff800000, v109, vcc_lo
	v_cmp_eq_u32_e32 vcc_lo, 0, v11
	s_delay_alu instid0(VALU_DEP_2)
	v_cndmask_b32_e32 v15, 0x7f800001, v2, vcc_lo
; %bb.6935:                             ;   in Loop: Header=BB4_4959 Depth=2
	s_or_b32 exec_lo, exec_lo, s29
.LBB4_6936:                             ;   in Loop: Header=BB4_4959 Depth=2
	s_delay_alu instid0(SALU_CYCLE_1)
	s_or_b32 exec_lo, exec_lo, s28
.LBB4_6937:                             ;   in Loop: Header=BB4_4959 Depth=2
	s_delay_alu instid0(SALU_CYCLE_1) | instskip(SKIP_2) | instid1(VALU_DEP_1)
	s_or_b32 exec_lo, exec_lo, s7
	v_lshrrev_b16 v10, 8, v12
	s_mov_b32 s7, exec_lo
	v_cmpx_ne_u16_e32 0, v10
	s_cbranch_execz .LBB4_6947
; %bb.6938:                             ;   in Loop: Header=BB4_4959 Depth=2
	v_bfrev_b32_e32 v14, 1
	s_mov_b32 s28, exec_lo
	v_cmpx_ne_u16_e32 0x80, v10
	s_cbranch_execz .LBB4_6946
; %bb.6939:                             ;   in Loop: Header=BB4_4959 Depth=2
	v_and_b32_e32 v11, 0xffff, v10
	s_delay_alu instid0(VALU_DEP_1) | instskip(SKIP_1) | instid1(VALU_DEP_2)
	v_and_b32_e32 v14, 0x7c, v11
	v_and_b32_e32 v2, 3, v11
	v_cmp_ne_u32_e32 vcc_lo, 0x7c, v14
                                        ; implicit-def: $vgpr14
	s_and_saveexec_b32 s29, vcc_lo
	s_delay_alu instid0(SALU_CYCLE_1)
	s_xor_b32 s29, exec_lo, s29
	s_cbranch_execz .LBB4_6943
; %bb.6940:                             ;   in Loop: Header=BB4_4959 Depth=2
	v_bfe_u32 v11, v11, 2, 5
	s_mov_b32 s40, exec_lo
	s_delay_alu instid0(VALU_DEP_1)
	v_cmpx_eq_u32_e32 0, v11
	s_cbranch_execz .LBB4_6942
; %bb.6941:                             ;   in Loop: Header=BB4_4959 Depth=2
	v_clz_i32_u32_e32 v2, v2
	v_mov_b32_e32 v11, v37
	s_delay_alu instid0(VALU_DEP_2) | instskip(NEXT) | instid1(VALU_DEP_1)
	v_min_u32_e32 v2, 32, v2
	v_subrev_nc_u32_e32 v14, 29, v2
	s_delay_alu instid0(VALU_DEP_1) | instskip(SKIP_1) | instid1(VALU_DEP_2)
	v_lshlrev_b64_e32 v[10:11], v14, v[10:11]
	v_sub_nc_u32_e32 v11, 30, v2
	v_and_b32_e32 v2, 3, v10
.LBB4_6942:                             ;   in Loop: Header=BB4_4959 Depth=2
	s_or_b32 exec_lo, exec_lo, s40
	v_lshlrev_b32_e32 v10, 16, v12
	s_delay_alu instid0(VALU_DEP_1) | instskip(NEXT) | instid1(VALU_DEP_1)
	v_and_b32_e32 v10, 0x80000000, v10
	v_lshl_add_u32 v10, v11, 23, v10
	s_delay_alu instid0(VALU_DEP_1) | instskip(NEXT) | instid1(VALU_DEP_1)
	v_lshl_or_b32 v2, v2, 21, v10
	v_add_nc_u32_e32 v14, 0x38000000, v2
                                        ; implicit-def: $vgpr2
.LBB4_6943:                             ;   in Loop: Header=BB4_4959 Depth=2
	s_and_not1_saveexec_b32 s29, s29
; %bb.6944:                             ;   in Loop: Header=BB4_4959 Depth=2
	v_cmp_lt_i16_e32 vcc_lo, -1, v12
	v_cndmask_b32_e32 v10, 0xff800000, v109, vcc_lo
	v_cmp_eq_u32_e32 vcc_lo, 0, v2
	s_delay_alu instid0(VALU_DEP_2)
	v_cndmask_b32_e32 v14, 0x7f800001, v10, vcc_lo
; %bb.6945:                             ;   in Loop: Header=BB4_4959 Depth=2
	s_or_b32 exec_lo, exec_lo, s29
.LBB4_6946:                             ;   in Loop: Header=BB4_4959 Depth=2
	s_delay_alu instid0(SALU_CYCLE_1)
	s_or_b32 exec_lo, exec_lo, s28
.LBB4_6947:                             ;   in Loop: Header=BB4_4959 Depth=2
	s_delay_alu instid0(SALU_CYCLE_1) | instskip(NEXT) | instid1(VALU_DEP_1)
	s_or_b32 exec_lo, exec_lo, s7
	v_dual_add_f32 v14, v15, v14 :: v_dual_mov_b32 v21, v37
	v_mov_b32_e32 v11, v37
                                        ; implicit-def: $vgpr113
	s_mov_b32 s7, exec_lo
	s_delay_alu instid0(VALU_DEP_2) | instskip(SKIP_2) | instid1(VALU_DEP_3)
	v_and_b32_e32 v20, 0x7f800000, v14
	v_and_b32_e32 v10, 0x7fffff, v14
	v_lshrrev_b32_e32 v2, 24, v14
	v_cmpx_ne_u64_e32 0x7f800000, v[20:21]
	s_xor_b32 s28, exec_lo, s7
	s_cbranch_execz .LBB4_6961
; %bb.6948:                             ;   in Loop: Header=BB4_4959 Depth=2
	v_and_b32_e32 v20, 0x7fffffff, v14
	v_mov_b32_e32 v21, v37
	v_and_b32_e32 v2, 0x80, v2
                                        ; implicit-def: $vgpr113
	s_mov_b32 s7, exec_lo
	s_delay_alu instid0(VALU_DEP_2)
	v_cmpx_gt_u64_e32 0x47600001, v[20:21]
	s_xor_b32 s29, exec_lo, s7
	s_cbranch_execz .LBB4_6958
; %bb.6949:                             ;   in Loop: Header=BB4_4959 Depth=2
	v_mov_b32_e32 v113, 0
	s_mov_b32 s40, exec_lo
	v_cmpx_ne_u32_e32 0, v14
	s_cbranch_execz .LBB4_6957
; %bb.6950:                             ;   in Loop: Header=BB4_4959 Depth=2
	v_bfe_u32 v20, v14, 23, 8
	v_or_b32_e32 v24, 0x800000, v10
	s_delay_alu instid0(VALU_DEP_2) | instskip(SKIP_1) | instid1(VALU_DEP_2)
	v_sub_nc_u32_e32 v14, 0x71, v20
	v_cmp_gt_u32_e32 vcc_lo, 0x72, v20
	v_cndmask_b32_e32 v14, 0, v14, vcc_lo
	v_cmp_eq_u32_e32 vcc_lo, 0, v20
	s_delay_alu instid0(VALU_DEP_2) | instskip(NEXT) | instid1(VALU_DEP_1)
	v_cndmask_b32_e64 v21, v14, 0x70, vcc_lo
	v_dual_cndmask_b32 v10, v24, v10, vcc_lo :: v_dual_add_nc_u32 v14, 21, v21
	v_add_nc_u32_e32 v25, 20, v21
	s_delay_alu instid0(VALU_DEP_2) | instskip(NEXT) | instid1(VALU_DEP_2)
	v_lshlrev_b64_e64 v[14:15], v14, -1
	v_lshlrev_b64_e64 v[24:25], v25, 1
	s_delay_alu instid0(VALU_DEP_2) | instskip(SKIP_1) | instid1(VALU_DEP_4)
	v_bfi_b32 v14, v14, 0, v10
	v_lshrrev_b64 v[10:11], v21, v[10:11]
	v_bfi_b32 v15, v15, 0, 0
	s_delay_alu instid0(VALU_DEP_1) | instskip(NEXT) | instid1(VALU_DEP_3)
	v_cmp_eq_u64_e64 s7, v[14:15], v[24:25]
	v_mov_b64_e32 v[14:15], v[10:11]
	s_and_saveexec_b32 s41, s7
; %bb.6951:                             ;   in Loop: Header=BB4_4959 Depth=2
	v_bfe_u32 v14, v10, 21, 1
	v_mov_b32_e32 v15, v37
	s_delay_alu instid0(VALU_DEP_1) | instskip(NEXT) | instid1(VALU_DEP_1)
	v_add_nc_u64_e32 v[14:15], v[10:11], v[14:15]
	v_add_nc_u64_e32 v[14:15], -1, v[14:15]
; %bb.6952:                             ;   in Loop: Header=BB4_4959 Depth=2
	s_or_b32 exec_lo, exec_lo, s41
	v_add_nc_u32_e32 v11, 0xffffff81, v20
	v_lshrrev_b32_e32 v15, 23, v10
	s_mov_b32 s7, exec_lo
	s_delay_alu instid0(VALU_DEP_2) | instskip(NEXT) | instid1(VALU_DEP_1)
	v_cndmask_b32_e64 v11, v11, 0xffffff82, vcc_lo
	v_add3_u32 v15, v21, v11, v15
	v_and_b32_e32 v11, 0x1fffff, v14
                                        ; implicit-def: $vgpr14
	s_delay_alu instid0(VALU_DEP_1) | instskip(SKIP_1) | instid1(VALU_DEP_2)
	v_dual_add_nc_u32 v20, 14, v15 :: v_dual_add_nc_u32 v10, v11, v10
	v_mov_b32_e32 v11, v37
	v_cmpx_ne_u32_e32 0, v20
	s_xor_b32 s7, exec_lo, s7
; %bb.6953:                             ;   in Loop: Header=BB4_4959 Depth=2
	s_delay_alu instid0(VALU_DEP_2) | instskip(SKIP_2) | instid1(VALU_DEP_2)
	v_cmp_lt_u64_e32 vcc_lo, 0xffffff, v[10:11]
	v_add_nc_u32_e32 v14, 15, v15
	v_cndmask_b32_e64 v15, 0, 1, vcc_lo
	v_cndmask_b32_e32 v14, v20, v14, vcc_lo
	s_delay_alu instid0(VALU_DEP_2)
	v_lshrrev_b64 v[10:11], v15, v[10:11]
; %bb.6954:                             ;   in Loop: Header=BB4_4959 Depth=2
	s_and_not1_saveexec_b32 s7, s7
; %bb.6955:                             ;   in Loop: Header=BB4_4959 Depth=2
	s_delay_alu instid0(VALU_DEP_1)
	v_bfe_u32 v14, v10, 23, 1
; %bb.6956:                             ;   in Loop: Header=BB4_4959 Depth=2
	s_or_b32 exec_lo, exec_lo, s7
	s_delay_alu instid0(VALU_DEP_2) | instskip(NEXT) | instid1(VALU_DEP_2)
	v_lshrrev_b64 v[10:11], 21, v[10:11]
	v_cmp_gt_i32_e32 vcc_lo, 32, v14
	v_min_i32_e32 v15, 31, v14
	v_cmp_eq_u32_e64 s7, 0, v14
	s_delay_alu instid0(VALU_DEP_4) | instskip(NEXT) | instid1(VALU_DEP_3)
	v_cndmask_b32_e32 v11, 0, v11, vcc_lo
	v_dual_cndmask_b32 v10, 3, v10 :: v_dual_lshlrev_b32 v15, 2, v15
	s_delay_alu instid0(VALU_DEP_1) | instskip(NEXT) | instid1(VALU_DEP_2)
	v_and_b32_e32 v15, 0xfc, v15
	v_cmp_eq_u64_e32 vcc_lo, 0, v[10:11]
	s_delay_alu instid0(VALU_DEP_2)
	v_and_or_b32 v10, v10, 3, v15
	s_and_b32 s7, s7, vcc_lo
	s_delay_alu instid0(VALU_DEP_1) | instid1(SALU_CYCLE_1)
	v_cndmask_b32_e64 v10, v10, 0, s7
	s_delay_alu instid0(VALU_DEP_1)
	v_or_b32_e32 v113, v10, v2
.LBB4_6957:                             ;   in Loop: Header=BB4_4959 Depth=2
	s_or_b32 exec_lo, exec_lo, s40
                                        ; implicit-def: $vgpr2
.LBB4_6958:                             ;   in Loop: Header=BB4_4959 Depth=2
	s_and_not1_saveexec_b32 s7, s29
; %bb.6959:                             ;   in Loop: Header=BB4_4959 Depth=2
	v_or_b32_e32 v113, 0x7b, v2
; %bb.6960:                             ;   in Loop: Header=BB4_4959 Depth=2
	s_or_b32 exec_lo, exec_lo, s7
                                        ; implicit-def: $vgpr14
                                        ; implicit-def: $vgpr10_vgpr11
                                        ; implicit-def: $vgpr2
.LBB4_6961:                             ;   in Loop: Header=BB4_4959 Depth=2
	s_and_not1_saveexec_b32 s7, s28
	s_cbranch_execz .LBB4_6967
; %bb.6962:                             ;   in Loop: Header=BB4_4959 Depth=2
	s_mov_b32 s28, exec_lo
                                        ; implicit-def: $vgpr113
	v_cmpx_ne_u64_e32 0, v[10:11]
	s_xor_b32 s28, exec_lo, s28
; %bb.6963:                             ;   in Loop: Header=BB4_4959 Depth=2
	v_or_b32_e32 v113, 0x7f, v2
                                        ; implicit-def: $vgpr14
; %bb.6964:                             ;   in Loop: Header=BB4_4959 Depth=2
	s_and_not1_saveexec_b32 s28, s28
; %bb.6965:                             ;   in Loop: Header=BB4_4959 Depth=2
	v_cmp_lt_i32_e32 vcc_lo, -1, v14
	v_cndmask_b32_e32 v113, 0xfc, v110, vcc_lo
; %bb.6966:                             ;   in Loop: Header=BB4_4959 Depth=2
	s_or_b32 exec_lo, exec_lo, s28
.LBB4_6967:                             ;   in Loop: Header=BB4_4959 Depth=2
	s_delay_alu instid0(SALU_CYCLE_1) | instskip(SKIP_3) | instid1(VALU_DEP_2)
	s_or_b32 exec_lo, exec_lo, s7
	v_dual_lshrrev_b32 v10, 16, v36 :: v_dual_mov_b32 v2, 0
	v_mov_b32_e32 v11, 0
	s_mov_b32 s7, exec_lo
	v_and_b32_e32 v14, 0xff, v10
	s_delay_alu instid0(VALU_DEP_1)
	v_cmpx_ne_u16_e32 0, v14
	s_cbranch_execz .LBB4_6977
; %bb.6968:                             ;   in Loop: Header=BB4_4959 Depth=2
	v_bfrev_b32_e32 v11, 1
	s_mov_b32 s28, exec_lo
	v_cmpx_ne_u16_e32 0x80, v14
	s_cbranch_execz .LBB4_6976
; %bb.6969:                             ;   in Loop: Header=BB4_4959 Depth=2
	v_and_b32_e32 v11, 0x7c0000, v36
	v_bfe_u32 v14, v36, 16, 2
	s_delay_alu instid0(VALU_DEP_2) | instskip(SKIP_1) | instid1(SALU_CYCLE_1)
	v_cmp_ne_u32_e32 vcc_lo, 0x7c0000, v11
                                        ; implicit-def: $vgpr11
	s_and_saveexec_b32 s29, vcc_lo
	s_xor_b32 s29, exec_lo, s29
	s_cbranch_execz .LBB4_6973
; %bb.6970:                             ;   in Loop: Header=BB4_4959 Depth=2
	v_bfe_u32 v11, v36, 18, 5
	s_mov_b32 s40, exec_lo
	s_delay_alu instid0(VALU_DEP_1)
	v_cmpx_eq_u32_e32 0, v11
; %bb.6971:                             ;   in Loop: Header=BB4_4959 Depth=2
	v_clz_i32_u32_e32 v11, v14
	s_delay_alu instid0(VALU_DEP_1) | instskip(NEXT) | instid1(VALU_DEP_1)
	v_min_u32_e32 v11, 32, v11
	v_subrev_nc_u32_e32 v14, 29, v11
	s_delay_alu instid0(VALU_DEP_1) | instskip(NEXT) | instid1(VALU_DEP_1)
	v_lshlrev_b64_e32 v[14:15], v14, v[10:11]
	v_dual_sub_nc_u32 v11, 30, v11 :: v_dual_bitop2_b32 v14, 3, v14 bitop3:0x40
; %bb.6972:                             ;   in Loop: Header=BB4_4959 Depth=2
	s_or_b32 exec_lo, exec_lo, s40
	v_lshlrev_b32_e32 v10, 24, v10
	s_delay_alu instid0(VALU_DEP_1) | instskip(NEXT) | instid1(VALU_DEP_1)
	v_and_b32_e32 v10, 0x80000000, v10
	v_lshl_add_u32 v10, v11, 23, v10
	s_delay_alu instid0(VALU_DEP_1) | instskip(NEXT) | instid1(VALU_DEP_1)
	v_lshl_or_b32 v10, v14, 21, v10
                                        ; implicit-def: $vgpr14
	v_add_nc_u32_e32 v11, 0x38000000, v10
                                        ; implicit-def: $vgpr10
.LBB4_6973:                             ;   in Loop: Header=BB4_4959 Depth=2
	s_and_not1_saveexec_b32 s29, s29
; %bb.6974:                             ;   in Loop: Header=BB4_4959 Depth=2
	v_bfe_i32 v10, v10, 0, 8
	s_delay_alu instid0(VALU_DEP_1) | instskip(SKIP_2) | instid1(VALU_DEP_2)
	v_cmp_lt_i16_e32 vcc_lo, -1, v10
	v_cndmask_b32_e32 v10, 0xff800000, v109, vcc_lo
	v_cmp_eq_u32_e32 vcc_lo, 0, v14
	v_cndmask_b32_e32 v11, 0x7f800001, v10, vcc_lo
; %bb.6975:                             ;   in Loop: Header=BB4_4959 Depth=2
	s_or_b32 exec_lo, exec_lo, s29
.LBB4_6976:                             ;   in Loop: Header=BB4_4959 Depth=2
	s_delay_alu instid0(SALU_CYCLE_1)
	s_or_b32 exec_lo, exec_lo, s28
.LBB4_6977:                             ;   in Loop: Header=BB4_4959 Depth=2
	s_delay_alu instid0(SALU_CYCLE_1) | instskip(SKIP_2) | instid1(VALU_DEP_1)
	s_or_b32 exec_lo, exec_lo, s7
	v_lshrrev_b32_e32 v10, 16, v12
	s_mov_b32 s7, exec_lo
	v_and_b32_e32 v14, 0xff, v10
	s_delay_alu instid0(VALU_DEP_1)
	v_cmpx_ne_u16_e32 0, v14
	s_cbranch_execz .LBB4_6987
; %bb.6978:                             ;   in Loop: Header=BB4_4959 Depth=2
	v_bfrev_b32_e32 v2, 1
	s_mov_b32 s28, exec_lo
	v_cmpx_ne_u16_e32 0x80, v14
	s_cbranch_execz .LBB4_6986
; %bb.6979:                             ;   in Loop: Header=BB4_4959 Depth=2
	v_and_b32_e32 v2, 0x7c0000, v12
	v_bfe_u32 v14, v12, 16, 2
	s_delay_alu instid0(VALU_DEP_2) | instskip(SKIP_1) | instid1(SALU_CYCLE_1)
	v_cmp_ne_u32_e32 vcc_lo, 0x7c0000, v2
                                        ; implicit-def: $vgpr2
	s_and_saveexec_b32 s29, vcc_lo
	s_xor_b32 s29, exec_lo, s29
	s_cbranch_execz .LBB4_6983
; %bb.6980:                             ;   in Loop: Header=BB4_4959 Depth=2
	v_bfe_u32 v2, v12, 18, 5
	s_mov_b32 s40, exec_lo
	s_delay_alu instid0(VALU_DEP_1)
	v_cmpx_eq_u32_e32 0, v2
; %bb.6981:                             ;   in Loop: Header=BB4_4959 Depth=2
	v_clz_i32_u32_e32 v2, v14
	s_delay_alu instid0(VALU_DEP_1) | instskip(NEXT) | instid1(VALU_DEP_1)
	v_min_u32_e32 v2, 32, v2
	v_subrev_nc_u32_e32 v14, 29, v2
	v_sub_nc_u32_e32 v2, 30, v2
	s_delay_alu instid0(VALU_DEP_2) | instskip(NEXT) | instid1(VALU_DEP_1)
	v_lshlrev_b64_e32 v[14:15], v14, v[10:11]
	v_and_b32_e32 v14, 3, v14
; %bb.6982:                             ;   in Loop: Header=BB4_4959 Depth=2
	s_or_b32 exec_lo, exec_lo, s40
	v_lshlrev_b32_e32 v10, 24, v10
	s_delay_alu instid0(VALU_DEP_1) | instskip(NEXT) | instid1(VALU_DEP_1)
	v_and_b32_e32 v10, 0x80000000, v10
	v_lshl_add_u32 v2, v2, 23, v10
                                        ; implicit-def: $vgpr10
	s_delay_alu instid0(VALU_DEP_1) | instskip(NEXT) | instid1(VALU_DEP_1)
	v_lshl_or_b32 v2, v14, 21, v2
                                        ; implicit-def: $vgpr14
	v_add_nc_u32_e32 v2, 0x38000000, v2
.LBB4_6983:                             ;   in Loop: Header=BB4_4959 Depth=2
	s_and_not1_saveexec_b32 s29, s29
; %bb.6984:                             ;   in Loop: Header=BB4_4959 Depth=2
	v_bfe_i32 v2, v10, 0, 8
	s_delay_alu instid0(VALU_DEP_1) | instskip(SKIP_2) | instid1(VALU_DEP_2)
	v_cmp_lt_i16_e32 vcc_lo, -1, v2
	v_cndmask_b32_e32 v2, 0xff800000, v109, vcc_lo
	v_cmp_eq_u32_e32 vcc_lo, 0, v14
	v_cndmask_b32_e32 v2, 0x7f800001, v2, vcc_lo
; %bb.6985:                             ;   in Loop: Header=BB4_4959 Depth=2
	s_or_b32 exec_lo, exec_lo, s29
.LBB4_6986:                             ;   in Loop: Header=BB4_4959 Depth=2
	s_delay_alu instid0(SALU_CYCLE_1)
	s_or_b32 exec_lo, exec_lo, s28
.LBB4_6987:                             ;   in Loop: Header=BB4_4959 Depth=2
	s_delay_alu instid0(SALU_CYCLE_1) | instskip(NEXT) | instid1(VALU_DEP_1)
	s_or_b32 exec_lo, exec_lo, s7
	v_dual_add_f32 v14, v11, v2 :: v_dual_mov_b32 v21, v37
	v_mov_b32_e32 v11, v37
                                        ; implicit-def: $vgpr116
	s_mov_b32 s7, exec_lo
	s_delay_alu instid0(VALU_DEP_2) | instskip(SKIP_2) | instid1(VALU_DEP_3)
	v_and_b32_e32 v20, 0x7f800000, v14
	v_and_b32_e32 v10, 0x7fffff, v14
	v_lshrrev_b32_e32 v2, 24, v14
	v_cmpx_ne_u64_e32 0x7f800000, v[20:21]
	s_xor_b32 s28, exec_lo, s7
	s_cbranch_execz .LBB4_7001
; %bb.6988:                             ;   in Loop: Header=BB4_4959 Depth=2
	v_and_b32_e32 v20, 0x7fffffff, v14
	v_mov_b32_e32 v21, v37
	v_and_b32_e32 v2, 0x80, v2
                                        ; implicit-def: $vgpr116
	s_mov_b32 s7, exec_lo
	s_delay_alu instid0(VALU_DEP_2)
	v_cmpx_gt_u64_e32 0x47600001, v[20:21]
	s_xor_b32 s29, exec_lo, s7
	s_cbranch_execz .LBB4_6998
; %bb.6989:                             ;   in Loop: Header=BB4_4959 Depth=2
	v_mov_b32_e32 v116, 0
	s_mov_b32 s40, exec_lo
	v_cmpx_ne_u32_e32 0, v14
	s_cbranch_execz .LBB4_6997
; %bb.6990:                             ;   in Loop: Header=BB4_4959 Depth=2
	v_bfe_u32 v20, v14, 23, 8
	v_or_b32_e32 v24, 0x800000, v10
	s_delay_alu instid0(VALU_DEP_2) | instskip(SKIP_1) | instid1(VALU_DEP_2)
	v_sub_nc_u32_e32 v14, 0x71, v20
	v_cmp_gt_u32_e32 vcc_lo, 0x72, v20
	v_cndmask_b32_e32 v14, 0, v14, vcc_lo
	v_cmp_eq_u32_e32 vcc_lo, 0, v20
	s_delay_alu instid0(VALU_DEP_2) | instskip(NEXT) | instid1(VALU_DEP_1)
	v_cndmask_b32_e64 v21, v14, 0x70, vcc_lo
	v_dual_cndmask_b32 v10, v24, v10, vcc_lo :: v_dual_add_nc_u32 v14, 21, v21
	v_add_nc_u32_e32 v25, 20, v21
	s_delay_alu instid0(VALU_DEP_2) | instskip(NEXT) | instid1(VALU_DEP_2)
	v_lshlrev_b64_e64 v[14:15], v14, -1
	v_lshlrev_b64_e64 v[24:25], v25, 1
	s_delay_alu instid0(VALU_DEP_2) | instskip(SKIP_1) | instid1(VALU_DEP_4)
	v_bfi_b32 v14, v14, 0, v10
	v_lshrrev_b64 v[10:11], v21, v[10:11]
	v_bfi_b32 v15, v15, 0, 0
	s_delay_alu instid0(VALU_DEP_1) | instskip(NEXT) | instid1(VALU_DEP_3)
	v_cmp_eq_u64_e64 s7, v[14:15], v[24:25]
	v_mov_b64_e32 v[14:15], v[10:11]
	s_and_saveexec_b32 s41, s7
; %bb.6991:                             ;   in Loop: Header=BB4_4959 Depth=2
	v_bfe_u32 v14, v10, 21, 1
	v_mov_b32_e32 v15, v37
	s_delay_alu instid0(VALU_DEP_1) | instskip(NEXT) | instid1(VALU_DEP_1)
	v_add_nc_u64_e32 v[14:15], v[10:11], v[14:15]
	v_add_nc_u64_e32 v[14:15], -1, v[14:15]
; %bb.6992:                             ;   in Loop: Header=BB4_4959 Depth=2
	s_or_b32 exec_lo, exec_lo, s41
	v_add_nc_u32_e32 v11, 0xffffff81, v20
	v_lshrrev_b32_e32 v15, 23, v10
	s_mov_b32 s7, exec_lo
	s_delay_alu instid0(VALU_DEP_2) | instskip(NEXT) | instid1(VALU_DEP_1)
	v_cndmask_b32_e64 v11, v11, 0xffffff82, vcc_lo
	v_add3_u32 v15, v21, v11, v15
	v_and_b32_e32 v11, 0x1fffff, v14
                                        ; implicit-def: $vgpr14
	s_delay_alu instid0(VALU_DEP_1) | instskip(SKIP_1) | instid1(VALU_DEP_2)
	v_dual_add_nc_u32 v20, 14, v15 :: v_dual_add_nc_u32 v10, v11, v10
	v_mov_b32_e32 v11, v37
	v_cmpx_ne_u32_e32 0, v20
	s_xor_b32 s7, exec_lo, s7
; %bb.6993:                             ;   in Loop: Header=BB4_4959 Depth=2
	s_delay_alu instid0(VALU_DEP_2) | instskip(SKIP_2) | instid1(VALU_DEP_2)
	v_cmp_lt_u64_e32 vcc_lo, 0xffffff, v[10:11]
	v_add_nc_u32_e32 v14, 15, v15
	v_cndmask_b32_e64 v15, 0, 1, vcc_lo
	v_cndmask_b32_e32 v14, v20, v14, vcc_lo
	s_delay_alu instid0(VALU_DEP_2)
	v_lshrrev_b64 v[10:11], v15, v[10:11]
; %bb.6994:                             ;   in Loop: Header=BB4_4959 Depth=2
	s_and_not1_saveexec_b32 s7, s7
; %bb.6995:                             ;   in Loop: Header=BB4_4959 Depth=2
	s_delay_alu instid0(VALU_DEP_1)
	v_bfe_u32 v14, v10, 23, 1
; %bb.6996:                             ;   in Loop: Header=BB4_4959 Depth=2
	s_or_b32 exec_lo, exec_lo, s7
	s_delay_alu instid0(VALU_DEP_2) | instskip(NEXT) | instid1(VALU_DEP_2)
	v_lshrrev_b64 v[10:11], 21, v[10:11]
	v_cmp_gt_i32_e32 vcc_lo, 32, v14
	v_min_i32_e32 v15, 31, v14
	v_cmp_eq_u32_e64 s7, 0, v14
	s_delay_alu instid0(VALU_DEP_4) | instskip(NEXT) | instid1(VALU_DEP_3)
	v_cndmask_b32_e32 v11, 0, v11, vcc_lo
	v_dual_cndmask_b32 v10, 3, v10 :: v_dual_lshlrev_b32 v15, 2, v15
	s_delay_alu instid0(VALU_DEP_1) | instskip(NEXT) | instid1(VALU_DEP_2)
	v_and_b32_e32 v15, 0xfc, v15
	v_cmp_eq_u64_e32 vcc_lo, 0, v[10:11]
	s_delay_alu instid0(VALU_DEP_2)
	v_and_or_b32 v10, v10, 3, v15
	s_and_b32 s7, s7, vcc_lo
	s_delay_alu instid0(VALU_DEP_1) | instid1(SALU_CYCLE_1)
	v_cndmask_b32_e64 v10, v10, 0, s7
	s_delay_alu instid0(VALU_DEP_1)
	v_or_b32_e32 v116, v10, v2
.LBB4_6997:                             ;   in Loop: Header=BB4_4959 Depth=2
	s_or_b32 exec_lo, exec_lo, s40
                                        ; implicit-def: $vgpr2
.LBB4_6998:                             ;   in Loop: Header=BB4_4959 Depth=2
	s_and_not1_saveexec_b32 s7, s29
; %bb.6999:                             ;   in Loop: Header=BB4_4959 Depth=2
	v_or_b32_e32 v116, 0x7b, v2
; %bb.7000:                             ;   in Loop: Header=BB4_4959 Depth=2
	s_or_b32 exec_lo, exec_lo, s7
                                        ; implicit-def: $vgpr14
                                        ; implicit-def: $vgpr10_vgpr11
                                        ; implicit-def: $vgpr2
.LBB4_7001:                             ;   in Loop: Header=BB4_4959 Depth=2
	s_and_not1_saveexec_b32 s7, s28
	s_cbranch_execz .LBB4_7007
; %bb.7002:                             ;   in Loop: Header=BB4_4959 Depth=2
	s_mov_b32 s28, exec_lo
                                        ; implicit-def: $vgpr116
	v_cmpx_ne_u64_e32 0, v[10:11]
	s_xor_b32 s28, exec_lo, s28
; %bb.7003:                             ;   in Loop: Header=BB4_4959 Depth=2
	v_or_b32_e32 v116, 0x7f, v2
                                        ; implicit-def: $vgpr14
; %bb.7004:                             ;   in Loop: Header=BB4_4959 Depth=2
	s_and_not1_saveexec_b32 s28, s28
; %bb.7005:                             ;   in Loop: Header=BB4_4959 Depth=2
	v_cmp_lt_i32_e32 vcc_lo, -1, v14
	v_cndmask_b32_e32 v116, 0xfc, v110, vcc_lo
; %bb.7006:                             ;   in Loop: Header=BB4_4959 Depth=2
	s_or_b32 exec_lo, exec_lo, s28
.LBB4_7007:                             ;   in Loop: Header=BB4_4959 Depth=2
	s_delay_alu instid0(SALU_CYCLE_1)
	s_or_b32 exec_lo, exec_lo, s7
	v_dual_mov_b32 v2, 0 :: v_dual_mov_b32 v11, 0
	s_mov_b32 s7, exec_lo
	v_cmpx_lt_u32_e32 0xffffff, v36
	s_cbranch_execz .LBB4_7017
; %bb.7008:                             ;   in Loop: Header=BB4_4959 Depth=2
	v_lshrrev_b32_e32 v10, 24, v36
	v_bfrev_b32_e32 v11, 1
	s_mov_b32 s28, exec_lo
	s_delay_alu instid0(VALU_DEP_2)
	v_cmpx_ne_u32_e32 0x80, v10
	s_cbranch_execz .LBB4_7016
; %bb.7009:                             ;   in Loop: Header=BB4_4959 Depth=2
	v_and_b32_e32 v11, 0x7c000000, v36
	v_bfe_u32 v14, v36, 24, 2
	s_delay_alu instid0(VALU_DEP_2) | instskip(SKIP_1) | instid1(SALU_CYCLE_1)
	v_cmp_ne_u32_e32 vcc_lo, 0x7c000000, v11
                                        ; implicit-def: $vgpr11
	s_and_saveexec_b32 s29, vcc_lo
	s_xor_b32 s29, exec_lo, s29
	s_cbranch_execz .LBB4_7013
; %bb.7010:                             ;   in Loop: Header=BB4_4959 Depth=2
	v_bfe_u32 v11, v36, 26, 5
	s_mov_b32 s40, exec_lo
	s_delay_alu instid0(VALU_DEP_1)
	v_cmpx_eq_u32_e32 0, v11
; %bb.7011:                             ;   in Loop: Header=BB4_4959 Depth=2
	v_clz_i32_u32_e32 v11, v14
	s_delay_alu instid0(VALU_DEP_1) | instskip(NEXT) | instid1(VALU_DEP_1)
	v_min_u32_e32 v14, 32, v11
	v_subrev_nc_u32_e32 v11, 29, v14
	s_delay_alu instid0(VALU_DEP_1) | instskip(SKIP_1) | instid1(VALU_DEP_2)
	v_lshlrev_b64_e32 v[10:11], v11, v[10:11]
	v_sub_nc_u32_e32 v11, 30, v14
	v_and_b32_e32 v14, 3, v10
; %bb.7012:                             ;   in Loop: Header=BB4_4959 Depth=2
	s_or_b32 exec_lo, exec_lo, s40
	v_and_b32_e32 v10, 0x80000000, v36
	s_delay_alu instid0(VALU_DEP_1) | instskip(NEXT) | instid1(VALU_DEP_1)
	v_lshl_add_u32 v10, v11, 23, v10
	v_lshl_or_b32 v10, v14, 21, v10
                                        ; implicit-def: $vgpr14
	s_delay_alu instid0(VALU_DEP_1)
	v_add_nc_u32_e32 v11, 0x38000000, v10
.LBB4_7013:                             ;   in Loop: Header=BB4_4959 Depth=2
	s_and_not1_saveexec_b32 s29, s29
; %bb.7014:                             ;   in Loop: Header=BB4_4959 Depth=2
	v_cmp_lt_i32_e32 vcc_lo, -1, v36
	v_cndmask_b32_e32 v10, 0xff800000, v109, vcc_lo
	v_cmp_eq_u32_e32 vcc_lo, 0, v14
	s_delay_alu instid0(VALU_DEP_2)
	v_cndmask_b32_e32 v11, 0x7f800001, v10, vcc_lo
; %bb.7015:                             ;   in Loop: Header=BB4_4959 Depth=2
	s_or_b32 exec_lo, exec_lo, s29
.LBB4_7016:                             ;   in Loop: Header=BB4_4959 Depth=2
	s_delay_alu instid0(SALU_CYCLE_1)
	s_or_b32 exec_lo, exec_lo, s28
.LBB4_7017:                             ;   in Loop: Header=BB4_4959 Depth=2
	s_delay_alu instid0(SALU_CYCLE_1) | instskip(NEXT) | instid1(SALU_CYCLE_1)
	s_or_b32 exec_lo, exec_lo, s7
	s_mov_b32 s7, exec_lo
	v_cmpx_lt_u32_e32 0xffffff, v12
	s_cbranch_execz .LBB4_7027
; %bb.7018:                             ;   in Loop: Header=BB4_4959 Depth=2
	v_lshrrev_b32_e32 v10, 24, v12
	v_bfrev_b32_e32 v2, 1
	s_mov_b32 s28, exec_lo
	s_delay_alu instid0(VALU_DEP_2)
	v_cmpx_ne_u32_e32 0x80, v10
	s_cbranch_execz .LBB4_7026
; %bb.7019:                             ;   in Loop: Header=BB4_4959 Depth=2
	v_and_b32_e32 v2, 0x7c000000, v12
	v_bfe_u32 v14, v12, 24, 2
	s_delay_alu instid0(VALU_DEP_2) | instskip(SKIP_1) | instid1(SALU_CYCLE_1)
	v_cmp_ne_u32_e32 vcc_lo, 0x7c000000, v2
                                        ; implicit-def: $vgpr2
	s_and_saveexec_b32 s29, vcc_lo
	s_xor_b32 s29, exec_lo, s29
	s_cbranch_execz .LBB4_7023
; %bb.7020:                             ;   in Loop: Header=BB4_4959 Depth=2
	v_bfe_u32 v2, v12, 26, 5
	s_mov_b32 s40, exec_lo
	s_delay_alu instid0(VALU_DEP_1)
	v_cmpx_eq_u32_e32 0, v2
; %bb.7021:                             ;   in Loop: Header=BB4_4959 Depth=2
	v_clz_i32_u32_e32 v2, v14
	s_delay_alu instid0(VALU_DEP_1) | instskip(NEXT) | instid1(VALU_DEP_1)
	v_min_u32_e32 v2, 32, v2
	v_subrev_nc_u32_e32 v14, 29, v2
	v_sub_nc_u32_e32 v2, 30, v2
	s_delay_alu instid0(VALU_DEP_2) | instskip(NEXT) | instid1(VALU_DEP_1)
	v_lshlrev_b64_e32 v[14:15], v14, v[10:11]
	v_and_b32_e32 v14, 3, v14
; %bb.7022:                             ;   in Loop: Header=BB4_4959 Depth=2
	s_or_b32 exec_lo, exec_lo, s40
	v_and_b32_e32 v10, 0x80000000, v12
	s_delay_alu instid0(VALU_DEP_1) | instskip(NEXT) | instid1(VALU_DEP_1)
	v_lshl_add_u32 v2, v2, 23, v10
	v_lshl_or_b32 v2, v14, 21, v2
                                        ; implicit-def: $vgpr14
	s_delay_alu instid0(VALU_DEP_1)
	v_add_nc_u32_e32 v2, 0x38000000, v2
.LBB4_7023:                             ;   in Loop: Header=BB4_4959 Depth=2
	s_and_not1_saveexec_b32 s29, s29
; %bb.7024:                             ;   in Loop: Header=BB4_4959 Depth=2
	v_cmp_lt_i32_e32 vcc_lo, -1, v12
	v_cndmask_b32_e32 v2, 0xff800000, v109, vcc_lo
	v_cmp_eq_u32_e32 vcc_lo, 0, v14
	s_delay_alu instid0(VALU_DEP_2)
	v_cndmask_b32_e32 v2, 0x7f800001, v2, vcc_lo
; %bb.7025:                             ;   in Loop: Header=BB4_4959 Depth=2
	s_or_b32 exec_lo, exec_lo, s29
.LBB4_7026:                             ;   in Loop: Header=BB4_4959 Depth=2
	s_delay_alu instid0(SALU_CYCLE_1)
	s_or_b32 exec_lo, exec_lo, s28
.LBB4_7027:                             ;   in Loop: Header=BB4_4959 Depth=2
	s_delay_alu instid0(SALU_CYCLE_1) | instskip(NEXT) | instid1(VALU_DEP_1)
	s_or_b32 exec_lo, exec_lo, s7
	v_dual_add_f32 v10, v11, v2 :: v_dual_mov_b32 v15, v37
                                        ; implicit-def: $vgpr119
	s_mov_b32 s7, exec_lo
	s_delay_alu instid0(VALU_DEP_1) | instskip(SKIP_2) | instid1(VALU_DEP_3)
	v_and_b32_e32 v14, 0x7f800000, v10
	v_and_b32_e32 v36, 0x7fffff, v10
	v_lshrrev_b32_e32 v2, 24, v10
	v_cmpx_ne_u64_e32 0x7f800000, v[14:15]
	s_xor_b32 s28, exec_lo, s7
	s_cbranch_execz .LBB4_7041
; %bb.7028:                             ;   in Loop: Header=BB4_4959 Depth=2
	v_and_b32_e32 v14, 0x7fffffff, v10
	v_mov_b32_e32 v15, v37
	v_and_b32_e32 v2, 0x80, v2
                                        ; implicit-def: $vgpr119
	s_mov_b32 s7, exec_lo
	s_delay_alu instid0(VALU_DEP_2)
	v_cmpx_gt_u64_e32 0x47600001, v[14:15]
	s_xor_b32 s29, exec_lo, s7
	s_cbranch_execz .LBB4_7038
; %bb.7029:                             ;   in Loop: Header=BB4_4959 Depth=2
	v_mov_b32_e32 v119, 0
	s_mov_b32 s40, exec_lo
	v_cmpx_ne_u32_e32 0, v10
	s_cbranch_execz .LBB4_7037
; %bb.7030:                             ;   in Loop: Header=BB4_4959 Depth=2
	v_bfe_u32 v20, v10, 23, 8
	v_or_b32_e32 v14, 0x800000, v36
	s_mov_b32 s41, exec_lo
	s_delay_alu instid0(VALU_DEP_2) | instskip(SKIP_1) | instid1(VALU_DEP_2)
	v_dual_mov_b32 v15, v37 :: v_dual_sub_nc_u32 v10, 0x71, v20
	v_cmp_gt_u32_e32 vcc_lo, 0x72, v20
	v_cndmask_b32_e32 v10, 0, v10, vcc_lo
	v_cmp_eq_u32_e32 vcc_lo, 0, v20
	s_delay_alu instid0(VALU_DEP_2) | instskip(NEXT) | instid1(VALU_DEP_1)
	v_cndmask_b32_e64 v21, v10, 0x70, vcc_lo
	v_dual_cndmask_b32 v14, v14, v36, vcc_lo :: v_dual_add_nc_u32 v10, 21, v21
	v_add_nc_u32_e32 v24, 20, v21
	s_delay_alu instid0(VALU_DEP_2) | instskip(NEXT) | instid1(VALU_DEP_2)
	v_lshlrev_b64_e64 v[10:11], v10, -1
	v_lshlrev_b64_e64 v[24:25], v24, 1
	s_delay_alu instid0(VALU_DEP_2) | instskip(NEXT) | instid1(VALU_DEP_3)
	v_bfi_b32 v63, v11, 0, 0
	v_bfi_b32 v62, v10, 0, v14
	v_lshrrev_b64 v[10:11], v21, v[14:15]
	s_delay_alu instid0(VALU_DEP_1) | instskip(NEXT) | instid1(VALU_DEP_3)
	v_mov_b64_e32 v[14:15], v[10:11]
	v_cmpx_eq_u64_e64 v[62:63], v[24:25]
; %bb.7031:                             ;   in Loop: Header=BB4_4959 Depth=2
	v_bfe_u32 v14, v10, 21, 1
	v_mov_b32_e32 v15, v37
	s_delay_alu instid0(VALU_DEP_1) | instskip(NEXT) | instid1(VALU_DEP_1)
	v_add_nc_u64_e32 v[14:15], v[10:11], v[14:15]
	v_add_nc_u64_e32 v[14:15], -1, v[14:15]
; %bb.7032:                             ;   in Loop: Header=BB4_4959 Depth=2
	s_or_b32 exec_lo, exec_lo, s41
	v_add_nc_u32_e32 v11, 0xffffff81, v20
	v_lshrrev_b32_e32 v15, 23, v10
	s_mov_b32 s7, exec_lo
	s_delay_alu instid0(VALU_DEP_2) | instskip(NEXT) | instid1(VALU_DEP_1)
	v_cndmask_b32_e64 v11, v11, 0xffffff82, vcc_lo
	v_add3_u32 v15, v21, v11, v15
	v_and_b32_e32 v11, 0x1fffff, v14
                                        ; implicit-def: $vgpr14
	s_delay_alu instid0(VALU_DEP_1) | instskip(NEXT) | instid1(VALU_DEP_1)
	v_dual_add_nc_u32 v20, 14, v15 :: v_dual_add_nc_u32 v36, v11, v10
                                        ; implicit-def: $vgpr10_vgpr11
	v_cmpx_ne_u32_e32 0, v20
	s_xor_b32 s7, exec_lo, s7
; %bb.7033:                             ;   in Loop: Header=BB4_4959 Depth=2
	s_delay_alu instid0(VALU_DEP_2) | instskip(SKIP_1) | instid1(VALU_DEP_1)
	v_cmp_lt_u64_e32 vcc_lo, 0xffffff, v[36:37]
	v_add_nc_u32_e32 v10, 15, v15
	v_cndmask_b32_e32 v14, v20, v10, vcc_lo
	v_cndmask_b32_e64 v10, 0, 1, vcc_lo
	s_delay_alu instid0(VALU_DEP_1)
	v_lshrrev_b64 v[10:11], v10, v[36:37]
; %bb.7034:                             ;   in Loop: Header=BB4_4959 Depth=2
	s_and_not1_saveexec_b32 s7, s7
; %bb.7035:                             ;   in Loop: Header=BB4_4959 Depth=2
	v_mov_b64_e32 v[10:11], v[36:37]
	v_bfe_u32 v14, v36, 23, 1
; %bb.7036:                             ;   in Loop: Header=BB4_4959 Depth=2
	s_or_b32 exec_lo, exec_lo, s7
	s_delay_alu instid0(VALU_DEP_2) | instskip(NEXT) | instid1(VALU_DEP_2)
	v_lshrrev_b64 v[10:11], 21, v[10:11]
	v_cmp_gt_i32_e32 vcc_lo, 32, v14
	v_min_i32_e32 v15, 31, v14
	v_cmp_eq_u32_e64 s7, 0, v14
	s_delay_alu instid0(VALU_DEP_4) | instskip(NEXT) | instid1(VALU_DEP_3)
	v_cndmask_b32_e32 v11, 0, v11, vcc_lo
	v_dual_cndmask_b32 v10, 3, v10 :: v_dual_lshlrev_b32 v15, 2, v15
	s_delay_alu instid0(VALU_DEP_1) | instskip(NEXT) | instid1(VALU_DEP_2)
	v_and_b32_e32 v15, 0xfc, v15
	v_cmp_eq_u64_e32 vcc_lo, 0, v[10:11]
	s_delay_alu instid0(VALU_DEP_2)
	v_and_or_b32 v10, v10, 3, v15
	s_and_b32 s7, s7, vcc_lo
	s_delay_alu instid0(VALU_DEP_1) | instid1(SALU_CYCLE_1)
	v_cndmask_b32_e64 v10, v10, 0, s7
	s_delay_alu instid0(VALU_DEP_1)
	v_or_b32_e32 v119, v10, v2
.LBB4_7037:                             ;   in Loop: Header=BB4_4959 Depth=2
	s_or_b32 exec_lo, exec_lo, s40
                                        ; implicit-def: $vgpr2
.LBB4_7038:                             ;   in Loop: Header=BB4_4959 Depth=2
	s_and_not1_saveexec_b32 s7, s29
; %bb.7039:                             ;   in Loop: Header=BB4_4959 Depth=2
	v_or_b32_e32 v119, 0x7b, v2
; %bb.7040:                             ;   in Loop: Header=BB4_4959 Depth=2
	s_or_b32 exec_lo, exec_lo, s7
                                        ; implicit-def: $vgpr10
                                        ; implicit-def: $vgpr2
.LBB4_7041:                             ;   in Loop: Header=BB4_4959 Depth=2
	s_and_not1_saveexec_b32 s7, s28
	s_cbranch_execz .LBB4_7047
; %bb.7042:                             ;   in Loop: Header=BB4_4959 Depth=2
	s_mov_b32 s28, exec_lo
                                        ; implicit-def: $vgpr119
	v_cmpx_ne_u64_e32 0, v[36:37]
	s_xor_b32 s28, exec_lo, s28
; %bb.7043:                             ;   in Loop: Header=BB4_4959 Depth=2
	v_or_b32_e32 v119, 0x7f, v2
                                        ; implicit-def: $vgpr10
; %bb.7044:                             ;   in Loop: Header=BB4_4959 Depth=2
	s_and_not1_saveexec_b32 s28, s28
; %bb.7045:                             ;   in Loop: Header=BB4_4959 Depth=2
	v_cmp_lt_i32_e32 vcc_lo, -1, v10
	v_cndmask_b32_e32 v119, 0xfc, v110, vcc_lo
; %bb.7046:                             ;   in Loop: Header=BB4_4959 Depth=2
	s_or_b32 exec_lo, exec_lo, s28
.LBB4_7047:                             ;   in Loop: Header=BB4_4959 Depth=2
	s_delay_alu instid0(SALU_CYCLE_1) | instskip(SKIP_4) | instid1(VALU_DEP_2)
	s_or_b32 exec_lo, exec_lo, s7
	v_dual_lshlrev_b32 v10, 24, v114 :: v_dual_lshlrev_b32 v14, 16, v103
	v_lshl_or_b32 v2, v101, 8, v100
	v_mov_b32_e32 v11, 0
	s_mov_b32 s7, exec_lo
	v_or3_b32 v36, v14, v10, v2
	v_mov_b32_e32 v10, 0
	v_cmpx_ne_u32_e32 0, v100
	s_cbranch_execz .LBB4_7057
; %bb.7048:                             ;   in Loop: Header=BB4_4959 Depth=2
	v_bfrev_b32_e32 v10, 1
	s_mov_b32 s28, exec_lo
	v_cmpx_ne_u32_e32 0x80, v100
	s_cbranch_execz .LBB4_7056
; %bb.7049:                             ;   in Loop: Header=BB4_4959 Depth=2
	v_and_b32_e32 v10, 0x7c, v100
	v_and_b32_e32 v14, 3, v100
	s_delay_alu instid0(VALU_DEP_2) | instskip(SKIP_1) | instid1(SALU_CYCLE_1)
	v_cmp_ne_u32_e32 vcc_lo, 0x7c, v10
                                        ; implicit-def: $vgpr10
	s_and_saveexec_b32 s29, vcc_lo
	s_xor_b32 s29, exec_lo, s29
	s_cbranch_execz .LBB4_7053
; %bb.7050:                             ;   in Loop: Header=BB4_4959 Depth=2
	v_bfe_u32 v10, v100, 2, 5
	s_mov_b32 s40, exec_lo
	s_delay_alu instid0(VALU_DEP_1)
	v_cmpx_eq_u32_e32 0, v10
; %bb.7051:                             ;   in Loop: Header=BB4_4959 Depth=2
	v_clz_i32_u32_e32 v10, v14
	s_delay_alu instid0(VALU_DEP_1) | instskip(NEXT) | instid1(VALU_DEP_1)
	v_min_u32_e32 v10, 32, v10
	v_subrev_nc_u32_e32 v14, 29, v10
	v_sub_nc_u32_e32 v10, 30, v10
	s_delay_alu instid0(VALU_DEP_2) | instskip(NEXT) | instid1(VALU_DEP_1)
	v_lshlrev_b64_e32 v[14:15], v14, v[36:37]
	v_and_b32_e32 v14, 3, v14
; %bb.7052:                             ;   in Loop: Header=BB4_4959 Depth=2
	s_or_b32 exec_lo, exec_lo, s40
	v_lshlrev_b32_e32 v15, 24, v100
                                        ; implicit-def: $vgpr100
	s_delay_alu instid0(VALU_DEP_1) | instskip(NEXT) | instid1(VALU_DEP_1)
	v_and_b32_e32 v15, 0x80000000, v15
	v_lshl_add_u32 v10, v10, 23, v15
	s_delay_alu instid0(VALU_DEP_1) | instskip(NEXT) | instid1(VALU_DEP_1)
	v_lshl_or_b32 v10, v14, 21, v10
                                        ; implicit-def: $vgpr14
	v_add_nc_u32_e32 v10, 0x38000000, v10
.LBB4_7053:                             ;   in Loop: Header=BB4_4959 Depth=2
	s_and_not1_saveexec_b32 s29, s29
; %bb.7054:                             ;   in Loop: Header=BB4_4959 Depth=2
	v_and_b32_e32 v10, 0x80, v100
	s_delay_alu instid0(VALU_DEP_1) | instskip(SKIP_2) | instid1(VALU_DEP_2)
	v_cmp_eq_u32_e32 vcc_lo, 0, v10
	v_cndmask_b32_e32 v10, 0xff800000, v109, vcc_lo
	v_cmp_eq_u32_e32 vcc_lo, 0, v14
	v_cndmask_b32_e32 v10, 0x7f800001, v10, vcc_lo
; %bb.7055:                             ;   in Loop: Header=BB4_4959 Depth=2
	s_or_b32 exec_lo, exec_lo, s29
.LBB4_7056:                             ;   in Loop: Header=BB4_4959 Depth=2
	s_delay_alu instid0(SALU_CYCLE_1)
	s_or_b32 exec_lo, exec_lo, s28
.LBB4_7057:                             ;   in Loop: Header=BB4_4959 Depth=2
	s_delay_alu instid0(SALU_CYCLE_1) | instskip(SKIP_2) | instid1(VALU_DEP_1)
	s_or_b32 exec_lo, exec_lo, s7
	v_and_b32_e32 v14, 0xff, v13
	s_mov_b32 s7, exec_lo
	v_cmpx_ne_u16_e32 0, v14
	s_cbranch_execz .LBB4_7067
; %bb.7058:                             ;   in Loop: Header=BB4_4959 Depth=2
	v_bfrev_b32_e32 v11, 1
	s_mov_b32 s28, exec_lo
	v_cmpx_ne_u16_e32 0x80, v14
	s_cbranch_execz .LBB4_7066
; %bb.7059:                             ;   in Loop: Header=BB4_4959 Depth=2
	v_and_b32_e32 v11, 0x7c, v13
	v_and_b32_e32 v14, 3, v13
	s_delay_alu instid0(VALU_DEP_2) | instskip(SKIP_1) | instid1(SALU_CYCLE_1)
	v_cmp_ne_u32_e32 vcc_lo, 0x7c, v11
                                        ; implicit-def: $vgpr11
	s_and_saveexec_b32 s29, vcc_lo
	s_xor_b32 s29, exec_lo, s29
	s_cbranch_execz .LBB4_7063
; %bb.7060:                             ;   in Loop: Header=BB4_4959 Depth=2
	v_bfe_u32 v11, v13, 2, 5
	s_mov_b32 s40, exec_lo
	s_delay_alu instid0(VALU_DEP_1)
	v_cmpx_eq_u32_e32 0, v11
; %bb.7061:                             ;   in Loop: Header=BB4_4959 Depth=2
	v_clz_i32_u32_e32 v11, v14
	v_dual_mov_b32 v14, v13 :: v_dual_mov_b32 v15, v37
	s_delay_alu instid0(VALU_DEP_2) | instskip(NEXT) | instid1(VALU_DEP_1)
	v_min_u32_e32 v11, 32, v11
	v_subrev_nc_u32_e32 v20, 29, v11
	s_delay_alu instid0(VALU_DEP_1) | instskip(NEXT) | instid1(VALU_DEP_1)
	v_lshlrev_b64_e32 v[14:15], v20, v[14:15]
	v_dual_sub_nc_u32 v11, 30, v11 :: v_dual_bitop2_b32 v14, 3, v14 bitop3:0x40
; %bb.7062:                             ;   in Loop: Header=BB4_4959 Depth=2
	s_or_b32 exec_lo, exec_lo, s40
	v_lshlrev_b32_e32 v15, 24, v13
	s_delay_alu instid0(VALU_DEP_1) | instskip(NEXT) | instid1(VALU_DEP_1)
	v_and_b32_e32 v15, 0x80000000, v15
	v_lshl_add_u32 v11, v11, 23, v15
	s_delay_alu instid0(VALU_DEP_1) | instskip(NEXT) | instid1(VALU_DEP_1)
	v_lshl_or_b32 v11, v14, 21, v11
                                        ; implicit-def: $vgpr14
	v_add_nc_u32_e32 v11, 0x38000000, v11
.LBB4_7063:                             ;   in Loop: Header=BB4_4959 Depth=2
	s_and_not1_saveexec_b32 s29, s29
; %bb.7064:                             ;   in Loop: Header=BB4_4959 Depth=2
	v_bfe_i32 v11, v13, 0, 8
	s_delay_alu instid0(VALU_DEP_1) | instskip(SKIP_2) | instid1(VALU_DEP_2)
	v_cmp_lt_i16_e32 vcc_lo, -1, v11
	v_cndmask_b32_e32 v11, 0xff800000, v109, vcc_lo
	v_cmp_eq_u32_e32 vcc_lo, 0, v14
	v_cndmask_b32_e32 v11, 0x7f800001, v11, vcc_lo
; %bb.7065:                             ;   in Loop: Header=BB4_4959 Depth=2
	s_or_b32 exec_lo, exec_lo, s29
.LBB4_7066:                             ;   in Loop: Header=BB4_4959 Depth=2
	s_delay_alu instid0(SALU_CYCLE_1)
	s_or_b32 exec_lo, exec_lo, s28
.LBB4_7067:                             ;   in Loop: Header=BB4_4959 Depth=2
	s_delay_alu instid0(SALU_CYCLE_1) | instskip(NEXT) | instid1(VALU_DEP_1)
	s_or_b32 exec_lo, exec_lo, s7
	v_dual_add_f32 v14, v10, v11 :: v_dual_mov_b32 v21, v37
	v_mov_b32_e32 v11, v37
                                        ; implicit-def: $vgpr100
	s_mov_b32 s7, exec_lo
	s_delay_alu instid0(VALU_DEP_2) | instskip(SKIP_2) | instid1(VALU_DEP_3)
	v_and_b32_e32 v20, 0x7f800000, v14
	v_and_b32_e32 v10, 0x7fffff, v14
	v_lshrrev_b32_e32 v15, 24, v14
	v_cmpx_ne_u64_e32 0x7f800000, v[20:21]
	s_xor_b32 s28, exec_lo, s7
	s_cbranch_execz .LBB4_7081
; %bb.7068:                             ;   in Loop: Header=BB4_4959 Depth=2
	v_and_b32_e32 v20, 0x7fffffff, v14
	v_mov_b32_e32 v21, v37
	v_and_b32_e32 v101, 0x80, v15
                                        ; implicit-def: $vgpr100
	s_mov_b32 s7, exec_lo
	s_delay_alu instid0(VALU_DEP_2)
	v_cmpx_gt_u64_e32 0x47600001, v[20:21]
	s_xor_b32 s29, exec_lo, s7
	s_cbranch_execz .LBB4_7078
; %bb.7069:                             ;   in Loop: Header=BB4_4959 Depth=2
	v_mov_b32_e32 v100, 0
	s_mov_b32 s40, exec_lo
	v_cmpx_ne_u32_e32 0, v14
	s_cbranch_execz .LBB4_7077
; %bb.7070:                             ;   in Loop: Header=BB4_4959 Depth=2
	v_bfe_u32 v20, v14, 23, 8
	v_or_b32_e32 v24, 0x800000, v10
	s_delay_alu instid0(VALU_DEP_2) | instskip(SKIP_1) | instid1(VALU_DEP_2)
	v_sub_nc_u32_e32 v14, 0x71, v20
	v_cmp_gt_u32_e32 vcc_lo, 0x72, v20
	v_cndmask_b32_e32 v14, 0, v14, vcc_lo
	v_cmp_eq_u32_e32 vcc_lo, 0, v20
	s_delay_alu instid0(VALU_DEP_2) | instskip(NEXT) | instid1(VALU_DEP_1)
	v_cndmask_b32_e64 v21, v14, 0x70, vcc_lo
	v_dual_cndmask_b32 v10, v24, v10, vcc_lo :: v_dual_add_nc_u32 v14, 21, v21
	v_add_nc_u32_e32 v25, 20, v21
	s_delay_alu instid0(VALU_DEP_2) | instskip(NEXT) | instid1(VALU_DEP_2)
	v_lshlrev_b64_e64 v[14:15], v14, -1
	v_lshlrev_b64_e64 v[24:25], v25, 1
	s_delay_alu instid0(VALU_DEP_2) | instskip(SKIP_1) | instid1(VALU_DEP_4)
	v_bfi_b32 v14, v14, 0, v10
	v_lshrrev_b64 v[10:11], v21, v[10:11]
	v_bfi_b32 v15, v15, 0, 0
	s_delay_alu instid0(VALU_DEP_1) | instskip(NEXT) | instid1(VALU_DEP_3)
	v_cmp_eq_u64_e64 s7, v[14:15], v[24:25]
	v_mov_b64_e32 v[14:15], v[10:11]
	s_and_saveexec_b32 s41, s7
; %bb.7071:                             ;   in Loop: Header=BB4_4959 Depth=2
	v_bfe_u32 v14, v10, 21, 1
	v_mov_b32_e32 v15, v37
	s_delay_alu instid0(VALU_DEP_1) | instskip(NEXT) | instid1(VALU_DEP_1)
	v_add_nc_u64_e32 v[14:15], v[10:11], v[14:15]
	v_add_nc_u64_e32 v[14:15], -1, v[14:15]
; %bb.7072:                             ;   in Loop: Header=BB4_4959 Depth=2
	s_or_b32 exec_lo, exec_lo, s41
	v_add_nc_u32_e32 v11, 0xffffff81, v20
	v_lshrrev_b32_e32 v15, 23, v10
	s_mov_b32 s7, exec_lo
	s_delay_alu instid0(VALU_DEP_2) | instskip(NEXT) | instid1(VALU_DEP_1)
	v_cndmask_b32_e64 v11, v11, 0xffffff82, vcc_lo
	v_add3_u32 v15, v21, v11, v15
	v_and_b32_e32 v11, 0x1fffff, v14
                                        ; implicit-def: $vgpr14
	s_delay_alu instid0(VALU_DEP_1) | instskip(SKIP_1) | instid1(VALU_DEP_2)
	v_dual_add_nc_u32 v20, 14, v15 :: v_dual_add_nc_u32 v10, v11, v10
	v_mov_b32_e32 v11, v37
	v_cmpx_ne_u32_e32 0, v20
	s_xor_b32 s7, exec_lo, s7
; %bb.7073:                             ;   in Loop: Header=BB4_4959 Depth=2
	s_delay_alu instid0(VALU_DEP_2) | instskip(SKIP_2) | instid1(VALU_DEP_2)
	v_cmp_lt_u64_e32 vcc_lo, 0xffffff, v[10:11]
	v_add_nc_u32_e32 v14, 15, v15
	v_cndmask_b32_e64 v15, 0, 1, vcc_lo
	v_cndmask_b32_e32 v14, v20, v14, vcc_lo
	s_delay_alu instid0(VALU_DEP_2)
	v_lshrrev_b64 v[10:11], v15, v[10:11]
; %bb.7074:                             ;   in Loop: Header=BB4_4959 Depth=2
	s_and_not1_saveexec_b32 s7, s7
; %bb.7075:                             ;   in Loop: Header=BB4_4959 Depth=2
	s_delay_alu instid0(VALU_DEP_1)
	v_bfe_u32 v14, v10, 23, 1
; %bb.7076:                             ;   in Loop: Header=BB4_4959 Depth=2
	s_or_b32 exec_lo, exec_lo, s7
	s_delay_alu instid0(VALU_DEP_2) | instskip(NEXT) | instid1(VALU_DEP_2)
	v_lshrrev_b64 v[10:11], 21, v[10:11]
	v_cmp_gt_i32_e32 vcc_lo, 32, v14
	v_min_i32_e32 v15, 31, v14
	v_cmp_eq_u32_e64 s7, 0, v14
	s_delay_alu instid0(VALU_DEP_4) | instskip(NEXT) | instid1(VALU_DEP_3)
	v_cndmask_b32_e32 v11, 0, v11, vcc_lo
	v_dual_cndmask_b32 v10, 3, v10 :: v_dual_lshlrev_b32 v15, 2, v15
	s_delay_alu instid0(VALU_DEP_1) | instskip(NEXT) | instid1(VALU_DEP_2)
	v_and_b32_e32 v15, 0xfc, v15
	v_cmp_eq_u64_e32 vcc_lo, 0, v[10:11]
	s_delay_alu instid0(VALU_DEP_2)
	v_and_or_b32 v10, v10, 3, v15
	s_and_b32 s7, s7, vcc_lo
	s_delay_alu instid0(VALU_DEP_1) | instid1(SALU_CYCLE_1)
	v_cndmask_b32_e64 v10, v10, 0, s7
	s_delay_alu instid0(VALU_DEP_1)
	v_or_b32_e32 v100, v10, v101
.LBB4_7077:                             ;   in Loop: Header=BB4_4959 Depth=2
	s_or_b32 exec_lo, exec_lo, s40
                                        ; implicit-def: $vgpr101
.LBB4_7078:                             ;   in Loop: Header=BB4_4959 Depth=2
	s_and_not1_saveexec_b32 s7, s29
; %bb.7079:                             ;   in Loop: Header=BB4_4959 Depth=2
	v_or_b32_e32 v100, 0x7b, v101
; %bb.7080:                             ;   in Loop: Header=BB4_4959 Depth=2
	s_or_b32 exec_lo, exec_lo, s7
                                        ; implicit-def: $vgpr14
                                        ; implicit-def: $vgpr10_vgpr11
                                        ; implicit-def: $vgpr15
.LBB4_7081:                             ;   in Loop: Header=BB4_4959 Depth=2
	s_and_not1_saveexec_b32 s7, s28
	s_cbranch_execz .LBB4_7087
; %bb.7082:                             ;   in Loop: Header=BB4_4959 Depth=2
	s_mov_b32 s28, exec_lo
                                        ; implicit-def: $vgpr100
	v_cmpx_ne_u64_e32 0, v[10:11]
	s_xor_b32 s28, exec_lo, s28
; %bb.7083:                             ;   in Loop: Header=BB4_4959 Depth=2
	v_or_b32_e32 v100, 0x7f, v15
                                        ; implicit-def: $vgpr14
; %bb.7084:                             ;   in Loop: Header=BB4_4959 Depth=2
	s_and_not1_saveexec_b32 s28, s28
; %bb.7085:                             ;   in Loop: Header=BB4_4959 Depth=2
	v_cmp_lt_i32_e32 vcc_lo, -1, v14
	v_cndmask_b32_e32 v100, 0xfc, v110, vcc_lo
; %bb.7086:                             ;   in Loop: Header=BB4_4959 Depth=2
	s_or_b32 exec_lo, exec_lo, s28
.LBB4_7087:                             ;   in Loop: Header=BB4_4959 Depth=2
	s_delay_alu instid0(SALU_CYCLE_1) | instskip(SKIP_3) | instid1(VALU_DEP_2)
	s_or_b32 exec_lo, exec_lo, s7
	v_lshrrev_b16 v10, 8, v2
	v_dual_mov_b32 v14, 0 :: v_dual_mov_b32 v15, 0
	s_mov_b32 s7, exec_lo
	v_cmpx_ne_u16_e32 0, v10
	s_cbranch_execz .LBB4_7097
; %bb.7088:                             ;   in Loop: Header=BB4_4959 Depth=2
	v_bfrev_b32_e32 v15, 1
	s_mov_b32 s28, exec_lo
	v_cmpx_ne_u16_e32 0x80, v10
	s_cbranch_execz .LBB4_7096
; %bb.7089:                             ;   in Loop: Header=BB4_4959 Depth=2
	v_and_b32_e32 v20, 0xffff, v10
	s_delay_alu instid0(VALU_DEP_1) | instskip(SKIP_1) | instid1(VALU_DEP_2)
	v_and_b32_e32 v15, 0x7c, v20
	v_and_b32_e32 v11, 3, v20
	v_cmp_ne_u32_e32 vcc_lo, 0x7c, v15
                                        ; implicit-def: $vgpr15
	s_and_saveexec_b32 s29, vcc_lo
	s_delay_alu instid0(SALU_CYCLE_1)
	s_xor_b32 s29, exec_lo, s29
	s_cbranch_execz .LBB4_7093
; %bb.7090:                             ;   in Loop: Header=BB4_4959 Depth=2
	v_bfe_u32 v15, v20, 2, 5
	s_mov_b32 s40, exec_lo
	s_delay_alu instid0(VALU_DEP_1)
	v_cmpx_eq_u32_e32 0, v15
	s_cbranch_execz .LBB4_7092
; %bb.7091:                             ;   in Loop: Header=BB4_4959 Depth=2
	v_clz_i32_u32_e32 v11, v11
	s_delay_alu instid0(VALU_DEP_1) | instskip(SKIP_1) | instid1(VALU_DEP_2)
	v_min_u32_e32 v15, 32, v11
	v_mov_b32_e32 v11, v37
	v_subrev_nc_u32_e32 v20, 29, v15
	v_sub_nc_u32_e32 v15, 30, v15
	s_delay_alu instid0(VALU_DEP_2) | instskip(NEXT) | instid1(VALU_DEP_1)
	v_lshlrev_b64_e32 v[10:11], v20, v[10:11]
	v_and_b32_e32 v11, 3, v10
.LBB4_7092:                             ;   in Loop: Header=BB4_4959 Depth=2
	s_or_b32 exec_lo, exec_lo, s40
	v_lshlrev_b32_e32 v2, 16, v2
	s_delay_alu instid0(VALU_DEP_1) | instskip(NEXT) | instid1(VALU_DEP_1)
	v_and_b32_e32 v2, 0x80000000, v2
	v_lshl_add_u32 v2, v15, 23, v2
	s_delay_alu instid0(VALU_DEP_1) | instskip(NEXT) | instid1(VALU_DEP_1)
	v_lshl_or_b32 v2, v11, 21, v2
                                        ; implicit-def: $vgpr11
	v_add_nc_u32_e32 v15, 0x38000000, v2
                                        ; implicit-def: $vgpr2
.LBB4_7093:                             ;   in Loop: Header=BB4_4959 Depth=2
	s_and_not1_saveexec_b32 s29, s29
; %bb.7094:                             ;   in Loop: Header=BB4_4959 Depth=2
	v_cmp_lt_i16_e32 vcc_lo, -1, v2
	v_cndmask_b32_e32 v2, 0xff800000, v109, vcc_lo
	v_cmp_eq_u32_e32 vcc_lo, 0, v11
	s_delay_alu instid0(VALU_DEP_2)
	v_cndmask_b32_e32 v15, 0x7f800001, v2, vcc_lo
; %bb.7095:                             ;   in Loop: Header=BB4_4959 Depth=2
	s_or_b32 exec_lo, exec_lo, s29
.LBB4_7096:                             ;   in Loop: Header=BB4_4959 Depth=2
	s_delay_alu instid0(SALU_CYCLE_1)
	s_or_b32 exec_lo, exec_lo, s28
.LBB4_7097:                             ;   in Loop: Header=BB4_4959 Depth=2
	s_delay_alu instid0(SALU_CYCLE_1) | instskip(SKIP_2) | instid1(VALU_DEP_1)
	s_or_b32 exec_lo, exec_lo, s7
	v_lshrrev_b16 v10, 8, v13
	s_mov_b32 s7, exec_lo
	v_cmpx_ne_u16_e32 0, v10
	s_cbranch_execz .LBB4_7107
; %bb.7098:                             ;   in Loop: Header=BB4_4959 Depth=2
	v_bfrev_b32_e32 v14, 1
	s_mov_b32 s28, exec_lo
	v_cmpx_ne_u16_e32 0x80, v10
	s_cbranch_execz .LBB4_7106
; %bb.7099:                             ;   in Loop: Header=BB4_4959 Depth=2
	v_and_b32_e32 v11, 0xffff, v10
	s_delay_alu instid0(VALU_DEP_1) | instskip(SKIP_1) | instid1(VALU_DEP_2)
	v_and_b32_e32 v14, 0x7c, v11
	v_and_b32_e32 v2, 3, v11
	v_cmp_ne_u32_e32 vcc_lo, 0x7c, v14
                                        ; implicit-def: $vgpr14
	s_and_saveexec_b32 s29, vcc_lo
	s_delay_alu instid0(SALU_CYCLE_1)
	s_xor_b32 s29, exec_lo, s29
	s_cbranch_execz .LBB4_7103
; %bb.7100:                             ;   in Loop: Header=BB4_4959 Depth=2
	v_bfe_u32 v11, v11, 2, 5
	s_mov_b32 s40, exec_lo
	s_delay_alu instid0(VALU_DEP_1)
	v_cmpx_eq_u32_e32 0, v11
	s_cbranch_execz .LBB4_7102
; %bb.7101:                             ;   in Loop: Header=BB4_4959 Depth=2
	v_clz_i32_u32_e32 v2, v2
	v_mov_b32_e32 v11, v37
	s_delay_alu instid0(VALU_DEP_2) | instskip(NEXT) | instid1(VALU_DEP_1)
	v_min_u32_e32 v2, 32, v2
	v_subrev_nc_u32_e32 v14, 29, v2
	s_delay_alu instid0(VALU_DEP_1) | instskip(SKIP_1) | instid1(VALU_DEP_2)
	v_lshlrev_b64_e32 v[10:11], v14, v[10:11]
	v_sub_nc_u32_e32 v11, 30, v2
	v_and_b32_e32 v2, 3, v10
.LBB4_7102:                             ;   in Loop: Header=BB4_4959 Depth=2
	s_or_b32 exec_lo, exec_lo, s40
	v_lshlrev_b32_e32 v10, 16, v13
	s_delay_alu instid0(VALU_DEP_1) | instskip(NEXT) | instid1(VALU_DEP_1)
	v_and_b32_e32 v10, 0x80000000, v10
	v_lshl_add_u32 v10, v11, 23, v10
	s_delay_alu instid0(VALU_DEP_1) | instskip(NEXT) | instid1(VALU_DEP_1)
	v_lshl_or_b32 v2, v2, 21, v10
	v_add_nc_u32_e32 v14, 0x38000000, v2
                                        ; implicit-def: $vgpr2
.LBB4_7103:                             ;   in Loop: Header=BB4_4959 Depth=2
	s_and_not1_saveexec_b32 s29, s29
; %bb.7104:                             ;   in Loop: Header=BB4_4959 Depth=2
	v_cmp_lt_i16_e32 vcc_lo, -1, v13
	v_cndmask_b32_e32 v10, 0xff800000, v109, vcc_lo
	v_cmp_eq_u32_e32 vcc_lo, 0, v2
	s_delay_alu instid0(VALU_DEP_2)
	v_cndmask_b32_e32 v14, 0x7f800001, v10, vcc_lo
; %bb.7105:                             ;   in Loop: Header=BB4_4959 Depth=2
	s_or_b32 exec_lo, exec_lo, s29
.LBB4_7106:                             ;   in Loop: Header=BB4_4959 Depth=2
	s_delay_alu instid0(SALU_CYCLE_1)
	s_or_b32 exec_lo, exec_lo, s28
.LBB4_7107:                             ;   in Loop: Header=BB4_4959 Depth=2
	s_delay_alu instid0(SALU_CYCLE_1) | instskip(NEXT) | instid1(VALU_DEP_1)
	s_or_b32 exec_lo, exec_lo, s7
	v_dual_add_f32 v14, v15, v14 :: v_dual_mov_b32 v21, v37
	v_mov_b32_e32 v11, v37
                                        ; implicit-def: $vgpr2
	s_mov_b32 s7, exec_lo
	s_delay_alu instid0(VALU_DEP_2) | instskip(SKIP_2) | instid1(VALU_DEP_3)
	v_and_b32_e32 v20, 0x7f800000, v14
	v_and_b32_e32 v10, 0x7fffff, v14
	v_lshrrev_b32_e32 v15, 24, v14
	v_cmpx_ne_u64_e32 0x7f800000, v[20:21]
	s_xor_b32 s28, exec_lo, s7
	s_cbranch_execz .LBB4_7121
; %bb.7108:                             ;   in Loop: Header=BB4_4959 Depth=2
	v_and_b32_e32 v20, 0x7fffffff, v14
	v_mov_b32_e32 v21, v37
	v_and_b32_e32 v101, 0x80, v15
                                        ; implicit-def: $vgpr2
	s_mov_b32 s7, exec_lo
	s_delay_alu instid0(VALU_DEP_2)
	v_cmpx_gt_u64_e32 0x47600001, v[20:21]
	s_xor_b32 s29, exec_lo, s7
	s_cbranch_execz .LBB4_7118
; %bb.7109:                             ;   in Loop: Header=BB4_4959 Depth=2
	v_mov_b32_e32 v2, 0
	s_mov_b32 s40, exec_lo
	v_cmpx_ne_u32_e32 0, v14
	s_cbranch_execz .LBB4_7117
; %bb.7110:                             ;   in Loop: Header=BB4_4959 Depth=2
	v_bfe_u32 v2, v14, 23, 8
	v_or_b32_e32 v21, 0x800000, v10
	s_delay_alu instid0(VALU_DEP_2) | instskip(SKIP_1) | instid1(VALU_DEP_2)
	v_sub_nc_u32_e32 v14, 0x71, v2
	v_cmp_gt_u32_e32 vcc_lo, 0x72, v2
	v_cndmask_b32_e32 v14, 0, v14, vcc_lo
	v_cmp_eq_u32_e32 vcc_lo, 0, v2
	s_delay_alu instid0(VALU_DEP_2) | instskip(NEXT) | instid1(VALU_DEP_1)
	v_cndmask_b32_e64 v20, v14, 0x70, vcc_lo
	v_dual_cndmask_b32 v10, v21, v10, vcc_lo :: v_dual_add_nc_u32 v14, 21, v20
	v_add_nc_u32_e32 v24, 20, v20
	s_delay_alu instid0(VALU_DEP_2) | instskip(NEXT) | instid1(VALU_DEP_2)
	v_lshlrev_b64_e64 v[14:15], v14, -1
	v_lshlrev_b64_e64 v[24:25], v24, 1
	s_delay_alu instid0(VALU_DEP_2) | instskip(SKIP_1) | instid1(VALU_DEP_4)
	v_bfi_b32 v14, v14, 0, v10
	v_lshrrev_b64 v[10:11], v20, v[10:11]
	v_bfi_b32 v15, v15, 0, 0
	s_delay_alu instid0(VALU_DEP_1) | instskip(NEXT) | instid1(VALU_DEP_3)
	v_cmp_eq_u64_e64 s7, v[14:15], v[24:25]
	v_mov_b64_e32 v[14:15], v[10:11]
	s_and_saveexec_b32 s41, s7
; %bb.7111:                             ;   in Loop: Header=BB4_4959 Depth=2
	v_bfe_u32 v14, v10, 21, 1
	v_mov_b32_e32 v15, v37
	s_delay_alu instid0(VALU_DEP_1) | instskip(NEXT) | instid1(VALU_DEP_1)
	v_add_nc_u64_e32 v[14:15], v[10:11], v[14:15]
	v_add_nc_u64_e32 v[14:15], -1, v[14:15]
; %bb.7112:                             ;   in Loop: Header=BB4_4959 Depth=2
	s_or_b32 exec_lo, exec_lo, s41
	v_add_nc_u32_e32 v2, 0xffffff81, v2
	v_lshrrev_b32_e32 v11, 23, v10
	s_mov_b32 s7, exec_lo
	s_delay_alu instid0(VALU_DEP_2) | instskip(NEXT) | instid1(VALU_DEP_1)
	v_cndmask_b32_e64 v2, v2, 0xffffff82, vcc_lo
	v_add3_u32 v15, v20, v2, v11
	v_and_b32_e32 v2, 0x1fffff, v14
	s_delay_alu instid0(VALU_DEP_2) | instskip(NEXT) | instid1(VALU_DEP_2)
	v_dual_mov_b32 v11, v37 :: v_dual_add_nc_u32 v14, 14, v15
	v_add_nc_u32_e32 v10, v2, v10
                                        ; implicit-def: $vgpr2
	s_delay_alu instid0(VALU_DEP_2)
	v_cmpx_ne_u32_e32 0, v14
	s_xor_b32 s7, exec_lo, s7
; %bb.7113:                             ;   in Loop: Header=BB4_4959 Depth=2
	s_delay_alu instid0(VALU_DEP_2) | instskip(SKIP_1) | instid1(VALU_DEP_1)
	v_cmp_lt_u64_e32 vcc_lo, 0xffffff, v[10:11]
	v_add_nc_u32_e32 v2, 15, v15
	v_cndmask_b32_e32 v2, v14, v2, vcc_lo
	v_cndmask_b32_e64 v14, 0, 1, vcc_lo
	s_delay_alu instid0(VALU_DEP_1)
	v_lshrrev_b64 v[10:11], v14, v[10:11]
; %bb.7114:                             ;   in Loop: Header=BB4_4959 Depth=2
	s_and_not1_saveexec_b32 s7, s7
; %bb.7115:                             ;   in Loop: Header=BB4_4959 Depth=2
	s_delay_alu instid0(VALU_DEP_1)
	v_bfe_u32 v2, v10, 23, 1
; %bb.7116:                             ;   in Loop: Header=BB4_4959 Depth=2
	s_or_b32 exec_lo, exec_lo, s7
	s_delay_alu instid0(VALU_DEP_2) | instskip(NEXT) | instid1(VALU_DEP_2)
	v_lshrrev_b64 v[10:11], 21, v[10:11]
	v_cmp_gt_i32_e32 vcc_lo, 32, v2
	v_min_i32_e32 v14, 31, v2
	v_cmp_eq_u32_e64 s7, 0, v2
	s_delay_alu instid0(VALU_DEP_2) | instskip(SKIP_1) | instid1(VALU_DEP_2)
	v_dual_cndmask_b32 v11, 0, v11 :: v_dual_lshlrev_b32 v14, 2, v14
	v_cndmask_b32_e32 v10, 3, v10, vcc_lo
	v_and_b32_e32 v14, 0xfc, v14
	s_delay_alu instid0(VALU_DEP_2) | instskip(NEXT) | instid1(VALU_DEP_2)
	v_cmp_eq_u64_e32 vcc_lo, 0, v[10:11]
	v_and_or_b32 v2, v10, 3, v14
	s_and_b32 s7, s7, vcc_lo
	s_delay_alu instid0(VALU_DEP_1) | instid1(SALU_CYCLE_1)
	v_cndmask_b32_e64 v2, v2, 0, s7
	s_delay_alu instid0(VALU_DEP_1)
	v_or_b32_e32 v2, v2, v101
.LBB4_7117:                             ;   in Loop: Header=BB4_4959 Depth=2
	s_or_b32 exec_lo, exec_lo, s40
                                        ; implicit-def: $vgpr101
.LBB4_7118:                             ;   in Loop: Header=BB4_4959 Depth=2
	s_and_not1_saveexec_b32 s7, s29
; %bb.7119:                             ;   in Loop: Header=BB4_4959 Depth=2
	v_or_b32_e32 v2, 0x7b, v101
; %bb.7120:                             ;   in Loop: Header=BB4_4959 Depth=2
	s_or_b32 exec_lo, exec_lo, s7
                                        ; implicit-def: $vgpr14
                                        ; implicit-def: $vgpr10_vgpr11
                                        ; implicit-def: $vgpr15
.LBB4_7121:                             ;   in Loop: Header=BB4_4959 Depth=2
	s_and_not1_saveexec_b32 s7, s28
	s_cbranch_execz .LBB4_7127
; %bb.7122:                             ;   in Loop: Header=BB4_4959 Depth=2
	s_mov_b32 s28, exec_lo
                                        ; implicit-def: $vgpr2
	v_cmpx_ne_u64_e32 0, v[10:11]
	s_xor_b32 s28, exec_lo, s28
; %bb.7123:                             ;   in Loop: Header=BB4_4959 Depth=2
	v_or_b32_e32 v2, 0x7f, v15
                                        ; implicit-def: $vgpr14
; %bb.7124:                             ;   in Loop: Header=BB4_4959 Depth=2
	s_and_not1_saveexec_b32 s28, s28
; %bb.7125:                             ;   in Loop: Header=BB4_4959 Depth=2
	v_cmp_lt_i32_e32 vcc_lo, -1, v14
	v_cndmask_b32_e32 v2, 0xfc, v110, vcc_lo
; %bb.7126:                             ;   in Loop: Header=BB4_4959 Depth=2
	s_or_b32 exec_lo, exec_lo, s28
.LBB4_7127:                             ;   in Loop: Header=BB4_4959 Depth=2
	s_delay_alu instid0(SALU_CYCLE_1) | instskip(SKIP_3) | instid1(VALU_DEP_2)
	s_or_b32 exec_lo, exec_lo, s7
	v_dual_mov_b32 v11, 0 :: v_dual_lshrrev_b32 v10, 16, v36
	v_mov_b32_e32 v14, 0
	s_mov_b32 s7, exec_lo
	v_and_b32_e32 v15, 0xff, v10
	s_delay_alu instid0(VALU_DEP_1)
	v_cmpx_ne_u16_e32 0, v15
	s_cbranch_execz .LBB4_7137
; %bb.7128:                             ;   in Loop: Header=BB4_4959 Depth=2
	v_bfrev_b32_e32 v14, 1
	s_mov_b32 s28, exec_lo
	v_cmpx_ne_u16_e32 0x80, v15
	s_cbranch_execz .LBB4_7136
; %bb.7129:                             ;   in Loop: Header=BB4_4959 Depth=2
	v_and_b32_e32 v14, 0x7c0000, v36
	v_bfe_u32 v15, v36, 16, 2
	s_delay_alu instid0(VALU_DEP_2) | instskip(SKIP_1) | instid1(SALU_CYCLE_1)
	v_cmp_ne_u32_e32 vcc_lo, 0x7c0000, v14
                                        ; implicit-def: $vgpr14
	s_and_saveexec_b32 s29, vcc_lo
	s_xor_b32 s29, exec_lo, s29
	s_cbranch_execz .LBB4_7133
; %bb.7130:                             ;   in Loop: Header=BB4_4959 Depth=2
	v_bfe_u32 v14, v36, 18, 5
	s_mov_b32 s40, exec_lo
	s_delay_alu instid0(VALU_DEP_1)
	v_cmpx_eq_u32_e32 0, v14
; %bb.7131:                             ;   in Loop: Header=BB4_4959 Depth=2
	v_clz_i32_u32_e32 v14, v15
	s_delay_alu instid0(VALU_DEP_1) | instskip(NEXT) | instid1(VALU_DEP_1)
	v_min_u32_e32 v14, 32, v14
	v_subrev_nc_u32_e32 v15, 29, v14
	s_delay_alu instid0(VALU_DEP_1) | instskip(NEXT) | instid1(VALU_DEP_1)
	v_lshlrev_b64_e32 v[20:21], v15, v[10:11]
	v_dual_sub_nc_u32 v14, 30, v14 :: v_dual_bitop2_b32 v15, 3, v20 bitop3:0x40
; %bb.7132:                             ;   in Loop: Header=BB4_4959 Depth=2
	s_or_b32 exec_lo, exec_lo, s40
	v_lshlrev_b32_e32 v10, 24, v10
	s_delay_alu instid0(VALU_DEP_1) | instskip(NEXT) | instid1(VALU_DEP_1)
	v_and_b32_e32 v10, 0x80000000, v10
	v_lshl_add_u32 v10, v14, 23, v10
	s_delay_alu instid0(VALU_DEP_1) | instskip(NEXT) | instid1(VALU_DEP_1)
	v_lshl_or_b32 v10, v15, 21, v10
                                        ; implicit-def: $vgpr15
	v_add_nc_u32_e32 v14, 0x38000000, v10
                                        ; implicit-def: $vgpr10
.LBB4_7133:                             ;   in Loop: Header=BB4_4959 Depth=2
	s_and_not1_saveexec_b32 s29, s29
; %bb.7134:                             ;   in Loop: Header=BB4_4959 Depth=2
	v_bfe_i32 v10, v10, 0, 8
	s_delay_alu instid0(VALU_DEP_1) | instskip(SKIP_2) | instid1(VALU_DEP_2)
	v_cmp_lt_i16_e32 vcc_lo, -1, v10
	v_cndmask_b32_e32 v10, 0xff800000, v109, vcc_lo
	v_cmp_eq_u32_e32 vcc_lo, 0, v15
	v_cndmask_b32_e32 v14, 0x7f800001, v10, vcc_lo
; %bb.7135:                             ;   in Loop: Header=BB4_4959 Depth=2
	s_or_b32 exec_lo, exec_lo, s29
.LBB4_7136:                             ;   in Loop: Header=BB4_4959 Depth=2
	s_delay_alu instid0(SALU_CYCLE_1)
	s_or_b32 exec_lo, exec_lo, s28
.LBB4_7137:                             ;   in Loop: Header=BB4_4959 Depth=2
	s_delay_alu instid0(SALU_CYCLE_1) | instskip(SKIP_2) | instid1(VALU_DEP_1)
	s_or_b32 exec_lo, exec_lo, s7
	v_lshrrev_b32_e32 v10, 16, v13
	s_mov_b32 s7, exec_lo
	v_and_b32_e32 v15, 0xff, v10
	s_delay_alu instid0(VALU_DEP_1)
	v_cmpx_ne_u16_e32 0, v15
	s_cbranch_execz .LBB4_7147
; %bb.7138:                             ;   in Loop: Header=BB4_4959 Depth=2
	v_bfrev_b32_e32 v11, 1
	s_mov_b32 s28, exec_lo
	v_cmpx_ne_u16_e32 0x80, v15
	s_cbranch_execz .LBB4_7146
; %bb.7139:                             ;   in Loop: Header=BB4_4959 Depth=2
	v_and_b32_e32 v11, 0x7c0000, v13
	v_bfe_u32 v15, v13, 16, 2
	s_delay_alu instid0(VALU_DEP_2) | instskip(SKIP_1) | instid1(SALU_CYCLE_1)
	v_cmp_ne_u32_e32 vcc_lo, 0x7c0000, v11
                                        ; implicit-def: $vgpr11
	s_and_saveexec_b32 s29, vcc_lo
	s_xor_b32 s29, exec_lo, s29
	s_cbranch_execz .LBB4_7143
; %bb.7140:                             ;   in Loop: Header=BB4_4959 Depth=2
	v_bfe_u32 v11, v13, 18, 5
	s_mov_b32 s40, exec_lo
	s_delay_alu instid0(VALU_DEP_1)
	v_cmpx_eq_u32_e32 0, v11
; %bb.7141:                             ;   in Loop: Header=BB4_4959 Depth=2
	v_clz_i32_u32_e32 v11, v15
	s_delay_alu instid0(VALU_DEP_1) | instskip(NEXT) | instid1(VALU_DEP_1)
	v_min_u32_e32 v11, 32, v11
	v_subrev_nc_u32_e32 v15, 29, v11
	s_delay_alu instid0(VALU_DEP_1) | instskip(NEXT) | instid1(VALU_DEP_1)
	v_lshlrev_b64_e32 v[20:21], v15, v[10:11]
	v_dual_sub_nc_u32 v11, 30, v11 :: v_dual_bitop2_b32 v15, 3, v20 bitop3:0x40
; %bb.7142:                             ;   in Loop: Header=BB4_4959 Depth=2
	s_or_b32 exec_lo, exec_lo, s40
	v_lshlrev_b32_e32 v10, 24, v10
	s_delay_alu instid0(VALU_DEP_1) | instskip(NEXT) | instid1(VALU_DEP_1)
	v_and_b32_e32 v10, 0x80000000, v10
	v_lshl_add_u32 v10, v11, 23, v10
	s_delay_alu instid0(VALU_DEP_1) | instskip(NEXT) | instid1(VALU_DEP_1)
	v_lshl_or_b32 v10, v15, 21, v10
                                        ; implicit-def: $vgpr15
	v_add_nc_u32_e32 v11, 0x38000000, v10
                                        ; implicit-def: $vgpr10
.LBB4_7143:                             ;   in Loop: Header=BB4_4959 Depth=2
	s_and_not1_saveexec_b32 s29, s29
; %bb.7144:                             ;   in Loop: Header=BB4_4959 Depth=2
	v_bfe_i32 v10, v10, 0, 8
	s_delay_alu instid0(VALU_DEP_1) | instskip(SKIP_2) | instid1(VALU_DEP_2)
	v_cmp_lt_i16_e32 vcc_lo, -1, v10
	v_cndmask_b32_e32 v10, 0xff800000, v109, vcc_lo
	v_cmp_eq_u32_e32 vcc_lo, 0, v15
	v_cndmask_b32_e32 v11, 0x7f800001, v10, vcc_lo
; %bb.7145:                             ;   in Loop: Header=BB4_4959 Depth=2
	s_or_b32 exec_lo, exec_lo, s29
.LBB4_7146:                             ;   in Loop: Header=BB4_4959 Depth=2
	s_delay_alu instid0(SALU_CYCLE_1)
	s_or_b32 exec_lo, exec_lo, s28
.LBB4_7147:                             ;   in Loop: Header=BB4_4959 Depth=2
	s_delay_alu instid0(SALU_CYCLE_1) | instskip(NEXT) | instid1(VALU_DEP_1)
	s_or_b32 exec_lo, exec_lo, s7
	v_dual_add_f32 v15, v14, v11 :: v_dual_mov_b32 v21, v37
	v_mov_b32_e32 v11, v37
                                        ; implicit-def: $vgpr14
	s_delay_alu instid0(VALU_DEP_2) | instskip(SKIP_1) | instid1(VALU_DEP_2)
	v_and_b32_e32 v20, 0x7f800000, v15
	v_and_b32_e32 v10, 0x7fffff, v15
	v_cmp_ne_u64_e32 vcc_lo, 0x7f800000, v[20:21]
	v_lshrrev_b32_e32 v20, 24, v15
	s_and_saveexec_b32 s7, vcc_lo
	s_delay_alu instid0(SALU_CYCLE_1)
	s_xor_b32 s28, exec_lo, s7
	s_cbranch_execz .LBB4_7161
; %bb.7148:                             ;   in Loop: Header=BB4_4959 Depth=2
	v_and_b32_e32 v24, 0x7fffffff, v15
	v_mov_b32_e32 v25, v37
	v_and_b32_e32 v101, 0x80, v20
                                        ; implicit-def: $vgpr14
	s_mov_b32 s7, exec_lo
	s_delay_alu instid0(VALU_DEP_2)
	v_cmpx_gt_u64_e32 0x47600001, v[24:25]
	s_xor_b32 s29, exec_lo, s7
	s_cbranch_execz .LBB4_7158
; %bb.7149:                             ;   in Loop: Header=BB4_4959 Depth=2
	v_mov_b32_e32 v14, 0
	s_mov_b32 s40, exec_lo
	v_cmpx_ne_u32_e32 0, v15
	s_cbranch_execz .LBB4_7157
; %bb.7150:                             ;   in Loop: Header=BB4_4959 Depth=2
	v_bfe_u32 v20, v15, 23, 8
	v_or_b32_e32 v24, 0x800000, v10
	s_delay_alu instid0(VALU_DEP_2) | instskip(SKIP_1) | instid1(VALU_DEP_2)
	v_sub_nc_u32_e32 v14, 0x71, v20
	v_cmp_gt_u32_e32 vcc_lo, 0x72, v20
	v_cndmask_b32_e32 v14, 0, v14, vcc_lo
	v_cmp_eq_u32_e32 vcc_lo, 0, v20
	s_delay_alu instid0(VALU_DEP_2) | instskip(NEXT) | instid1(VALU_DEP_1)
	v_cndmask_b32_e64 v21, v14, 0x70, vcc_lo
	v_dual_cndmask_b32 v10, v24, v10, vcc_lo :: v_dual_add_nc_u32 v14, 21, v21
	v_add_nc_u32_e32 v25, 20, v21
	s_delay_alu instid0(VALU_DEP_2) | instskip(NEXT) | instid1(VALU_DEP_2)
	v_lshlrev_b64_e64 v[14:15], v14, -1
	v_lshlrev_b64_e64 v[24:25], v25, 1
	s_delay_alu instid0(VALU_DEP_2) | instskip(SKIP_1) | instid1(VALU_DEP_4)
	v_bfi_b32 v14, v14, 0, v10
	v_lshrrev_b64 v[10:11], v21, v[10:11]
	v_bfi_b32 v15, v15, 0, 0
	s_delay_alu instid0(VALU_DEP_1) | instskip(NEXT) | instid1(VALU_DEP_3)
	v_cmp_eq_u64_e64 s7, v[14:15], v[24:25]
	v_mov_b64_e32 v[14:15], v[10:11]
	s_and_saveexec_b32 s41, s7
; %bb.7151:                             ;   in Loop: Header=BB4_4959 Depth=2
	v_bfe_u32 v14, v10, 21, 1
	v_mov_b32_e32 v15, v37
	s_delay_alu instid0(VALU_DEP_1) | instskip(NEXT) | instid1(VALU_DEP_1)
	v_add_nc_u64_e32 v[14:15], v[10:11], v[14:15]
	v_add_nc_u64_e32 v[14:15], -1, v[14:15]
; %bb.7152:                             ;   in Loop: Header=BB4_4959 Depth=2
	s_or_b32 exec_lo, exec_lo, s41
	v_add_nc_u32_e32 v11, 0xffffff81, v20
	v_lshrrev_b32_e32 v15, 23, v10
	s_mov_b32 s7, exec_lo
	s_delay_alu instid0(VALU_DEP_2) | instskip(NEXT) | instid1(VALU_DEP_1)
	v_cndmask_b32_e64 v11, v11, 0xffffff82, vcc_lo
	v_add3_u32 v15, v21, v11, v15
	v_and_b32_e32 v11, 0x1fffff, v14
                                        ; implicit-def: $vgpr14
	s_delay_alu instid0(VALU_DEP_1) | instskip(SKIP_1) | instid1(VALU_DEP_2)
	v_dual_add_nc_u32 v20, 14, v15 :: v_dual_add_nc_u32 v10, v11, v10
	v_mov_b32_e32 v11, v37
	v_cmpx_ne_u32_e32 0, v20
	s_xor_b32 s7, exec_lo, s7
; %bb.7153:                             ;   in Loop: Header=BB4_4959 Depth=2
	s_delay_alu instid0(VALU_DEP_2) | instskip(SKIP_2) | instid1(VALU_DEP_2)
	v_cmp_lt_u64_e32 vcc_lo, 0xffffff, v[10:11]
	v_add_nc_u32_e32 v14, 15, v15
	v_cndmask_b32_e64 v15, 0, 1, vcc_lo
	v_cndmask_b32_e32 v14, v20, v14, vcc_lo
	s_delay_alu instid0(VALU_DEP_2)
	v_lshrrev_b64 v[10:11], v15, v[10:11]
; %bb.7154:                             ;   in Loop: Header=BB4_4959 Depth=2
	s_and_not1_saveexec_b32 s7, s7
; %bb.7155:                             ;   in Loop: Header=BB4_4959 Depth=2
	s_delay_alu instid0(VALU_DEP_1)
	v_bfe_u32 v14, v10, 23, 1
; %bb.7156:                             ;   in Loop: Header=BB4_4959 Depth=2
	s_or_b32 exec_lo, exec_lo, s7
	s_delay_alu instid0(VALU_DEP_2) | instskip(NEXT) | instid1(VALU_DEP_2)
	v_lshrrev_b64 v[10:11], 21, v[10:11]
	v_cmp_gt_i32_e32 vcc_lo, 32, v14
	v_min_i32_e32 v15, 31, v14
	v_cmp_eq_u32_e64 s7, 0, v14
	s_delay_alu instid0(VALU_DEP_4) | instskip(NEXT) | instid1(VALU_DEP_3)
	v_cndmask_b32_e32 v11, 0, v11, vcc_lo
	v_dual_cndmask_b32 v10, 3, v10 :: v_dual_lshlrev_b32 v15, 2, v15
	s_delay_alu instid0(VALU_DEP_1) | instskip(NEXT) | instid1(VALU_DEP_2)
	v_and_b32_e32 v15, 0xfc, v15
	v_cmp_eq_u64_e32 vcc_lo, 0, v[10:11]
	s_delay_alu instid0(VALU_DEP_2)
	v_and_or_b32 v10, v10, 3, v15
	s_and_b32 s7, s7, vcc_lo
	s_delay_alu instid0(VALU_DEP_1) | instid1(SALU_CYCLE_1)
	v_cndmask_b32_e64 v10, v10, 0, s7
	s_delay_alu instid0(VALU_DEP_1)
	v_or_b32_e32 v14, v10, v101
.LBB4_7157:                             ;   in Loop: Header=BB4_4959 Depth=2
	s_or_b32 exec_lo, exec_lo, s40
                                        ; implicit-def: $vgpr101
.LBB4_7158:                             ;   in Loop: Header=BB4_4959 Depth=2
	s_and_not1_saveexec_b32 s7, s29
; %bb.7159:                             ;   in Loop: Header=BB4_4959 Depth=2
	v_or_b32_e32 v14, 0x7b, v101
; %bb.7160:                             ;   in Loop: Header=BB4_4959 Depth=2
	s_or_b32 exec_lo, exec_lo, s7
                                        ; implicit-def: $vgpr15
                                        ; implicit-def: $vgpr10_vgpr11
                                        ; implicit-def: $vgpr20
.LBB4_7161:                             ;   in Loop: Header=BB4_4959 Depth=2
	s_and_not1_saveexec_b32 s7, s28
	s_cbranch_execz .LBB4_7167
; %bb.7162:                             ;   in Loop: Header=BB4_4959 Depth=2
	s_mov_b32 s28, exec_lo
                                        ; implicit-def: $vgpr14
	v_cmpx_ne_u64_e32 0, v[10:11]
	s_xor_b32 s28, exec_lo, s28
; %bb.7163:                             ;   in Loop: Header=BB4_4959 Depth=2
	v_or_b32_e32 v14, 0x7f, v20
                                        ; implicit-def: $vgpr15
; %bb.7164:                             ;   in Loop: Header=BB4_4959 Depth=2
	s_and_not1_saveexec_b32 s28, s28
; %bb.7165:                             ;   in Loop: Header=BB4_4959 Depth=2
	v_cmp_lt_i32_e32 vcc_lo, -1, v15
	v_cndmask_b32_e32 v14, 0xfc, v110, vcc_lo
; %bb.7166:                             ;   in Loop: Header=BB4_4959 Depth=2
	s_or_b32 exec_lo, exec_lo, s28
.LBB4_7167:                             ;   in Loop: Header=BB4_4959 Depth=2
	s_delay_alu instid0(SALU_CYCLE_1)
	s_or_b32 exec_lo, exec_lo, s7
	v_dual_mov_b32 v11, 0 :: v_dual_mov_b32 v15, 0
	s_mov_b32 s7, exec_lo
	v_cmpx_lt_u32_e32 0xffffff, v36
	s_cbranch_execz .LBB4_7177
; %bb.7168:                             ;   in Loop: Header=BB4_4959 Depth=2
	v_lshrrev_b32_e32 v10, 24, v36
	v_bfrev_b32_e32 v15, 1
	s_mov_b32 s28, exec_lo
	s_delay_alu instid0(VALU_DEP_2)
	v_cmpx_ne_u32_e32 0x80, v10
	s_cbranch_execz .LBB4_7176
; %bb.7169:                             ;   in Loop: Header=BB4_4959 Depth=2
	v_and_b32_e32 v15, 0x7c000000, v36
	v_bfe_u32 v20, v36, 24, 2
	s_delay_alu instid0(VALU_DEP_2) | instskip(SKIP_1) | instid1(SALU_CYCLE_1)
	v_cmp_ne_u32_e32 vcc_lo, 0x7c000000, v15
                                        ; implicit-def: $vgpr15
	s_and_saveexec_b32 s29, vcc_lo
	s_xor_b32 s29, exec_lo, s29
	s_cbranch_execz .LBB4_7173
; %bb.7170:                             ;   in Loop: Header=BB4_4959 Depth=2
	v_bfe_u32 v15, v36, 26, 5
	s_mov_b32 s40, exec_lo
	s_delay_alu instid0(VALU_DEP_1)
	v_cmpx_eq_u32_e32 0, v15
; %bb.7171:                             ;   in Loop: Header=BB4_4959 Depth=2
	v_clz_i32_u32_e32 v15, v20
	s_delay_alu instid0(VALU_DEP_1) | instskip(NEXT) | instid1(VALU_DEP_1)
	v_min_u32_e32 v15, 32, v15
	v_subrev_nc_u32_e32 v20, 29, v15
	s_delay_alu instid0(VALU_DEP_1) | instskip(NEXT) | instid1(VALU_DEP_1)
	v_lshlrev_b64_e32 v[20:21], v20, v[10:11]
	v_dual_sub_nc_u32 v15, 30, v15 :: v_dual_bitop2_b32 v20, 3, v20 bitop3:0x40
; %bb.7172:                             ;   in Loop: Header=BB4_4959 Depth=2
	s_or_b32 exec_lo, exec_lo, s40
	v_and_b32_e32 v10, 0x80000000, v36
	s_delay_alu instid0(VALU_DEP_1) | instskip(NEXT) | instid1(VALU_DEP_1)
	v_lshl_add_u32 v10, v15, 23, v10
	v_lshl_or_b32 v10, v20, 21, v10
                                        ; implicit-def: $vgpr20
	s_delay_alu instid0(VALU_DEP_1)
	v_add_nc_u32_e32 v15, 0x38000000, v10
.LBB4_7173:                             ;   in Loop: Header=BB4_4959 Depth=2
	s_and_not1_saveexec_b32 s29, s29
; %bb.7174:                             ;   in Loop: Header=BB4_4959 Depth=2
	v_cmp_lt_i32_e32 vcc_lo, -1, v36
	v_cndmask_b32_e32 v10, 0xff800000, v109, vcc_lo
	v_cmp_eq_u32_e32 vcc_lo, 0, v20
	s_delay_alu instid0(VALU_DEP_2)
	v_cndmask_b32_e32 v15, 0x7f800001, v10, vcc_lo
; %bb.7175:                             ;   in Loop: Header=BB4_4959 Depth=2
	s_or_b32 exec_lo, exec_lo, s29
.LBB4_7176:                             ;   in Loop: Header=BB4_4959 Depth=2
	s_delay_alu instid0(SALU_CYCLE_1)
	s_or_b32 exec_lo, exec_lo, s28
.LBB4_7177:                             ;   in Loop: Header=BB4_4959 Depth=2
	s_delay_alu instid0(SALU_CYCLE_1) | instskip(NEXT) | instid1(SALU_CYCLE_1)
	s_or_b32 exec_lo, exec_lo, s7
	s_mov_b32 s7, exec_lo
	v_cmpx_lt_u64_e64 s[12:13], v[12:13]
	s_cbranch_execz .LBB4_7187
; %bb.7178:                             ;   in Loop: Header=BB4_4959 Depth=2
	v_lshrrev_b32_e32 v10, 24, v13
	v_bfrev_b32_e32 v11, 1
	s_mov_b32 s28, exec_lo
	s_delay_alu instid0(VALU_DEP_2)
	v_cmpx_ne_u32_e32 0x80, v10
	s_cbranch_execz .LBB4_7186
; %bb.7179:                             ;   in Loop: Header=BB4_4959 Depth=2
	v_and_b32_e32 v11, 0x7c000000, v13
	v_bfe_u32 v20, v13, 24, 2
	s_delay_alu instid0(VALU_DEP_2) | instskip(SKIP_1) | instid1(SALU_CYCLE_1)
	v_cmp_ne_u32_e32 vcc_lo, 0x7c000000, v11
                                        ; implicit-def: $vgpr11
	s_and_saveexec_b32 s29, vcc_lo
	s_xor_b32 s29, exec_lo, s29
	s_cbranch_execz .LBB4_7183
; %bb.7180:                             ;   in Loop: Header=BB4_4959 Depth=2
	v_bfe_u32 v11, v13, 26, 5
	s_mov_b32 s40, exec_lo
	s_delay_alu instid0(VALU_DEP_1)
	v_cmpx_eq_u32_e32 0, v11
; %bb.7181:                             ;   in Loop: Header=BB4_4959 Depth=2
	v_clz_i32_u32_e32 v11, v20
	s_delay_alu instid0(VALU_DEP_1) | instskip(NEXT) | instid1(VALU_DEP_1)
	v_min_u32_e32 v12, 32, v11
	v_subrev_nc_u32_e32 v11, 29, v12
	s_delay_alu instid0(VALU_DEP_1) | instskip(NEXT) | instid1(VALU_DEP_1)
	v_lshlrev_b64_e32 v[10:11], v11, v[10:11]
	v_dual_sub_nc_u32 v11, 30, v12 :: v_dual_bitop2_b32 v20, 3, v10 bitop3:0x40
; %bb.7182:                             ;   in Loop: Header=BB4_4959 Depth=2
	s_or_b32 exec_lo, exec_lo, s40
	v_and_b32_e32 v10, 0x80000000, v13
                                        ; implicit-def: $vgpr12_vgpr13
	s_delay_alu instid0(VALU_DEP_1) | instskip(NEXT) | instid1(VALU_DEP_1)
	v_lshl_add_u32 v10, v11, 23, v10
	v_lshl_or_b32 v10, v20, 21, v10
                                        ; implicit-def: $vgpr20
	s_delay_alu instid0(VALU_DEP_1)
	v_add_nc_u32_e32 v11, 0x38000000, v10
.LBB4_7183:                             ;   in Loop: Header=BB4_4959 Depth=2
	s_and_not1_saveexec_b32 s29, s29
; %bb.7184:                             ;   in Loop: Header=BB4_4959 Depth=2
	v_cmp_lt_i64_e32 vcc_lo, -1, v[12:13]
	v_cndmask_b32_e32 v10, 0xff800000, v109, vcc_lo
	v_cmp_eq_u32_e32 vcc_lo, 0, v20
	s_delay_alu instid0(VALU_DEP_2)
	v_cndmask_b32_e32 v11, 0x7f800001, v10, vcc_lo
; %bb.7185:                             ;   in Loop: Header=BB4_4959 Depth=2
	s_or_b32 exec_lo, exec_lo, s29
.LBB4_7186:                             ;   in Loop: Header=BB4_4959 Depth=2
	s_delay_alu instid0(SALU_CYCLE_1)
	s_or_b32 exec_lo, exec_lo, s28
.LBB4_7187:                             ;   in Loop: Header=BB4_4959 Depth=2
	s_delay_alu instid0(SALU_CYCLE_1) | instskip(NEXT) | instid1(VALU_DEP_1)
	s_or_b32 exec_lo, exec_lo, s7
	v_dual_add_f32 v11, v15, v11 :: v_dual_mov_b32 v13, v37
                                        ; implicit-def: $vgpr10
	s_delay_alu instid0(VALU_DEP_1) | instskip(SKIP_1) | instid1(VALU_DEP_2)
	v_and_b32_e32 v12, 0x7f800000, v11
	v_and_b32_e32 v36, 0x7fffff, v11
	v_cmp_ne_u64_e32 vcc_lo, 0x7f800000, v[12:13]
	v_lshrrev_b32_e32 v12, 24, v11
	s_and_saveexec_b32 s7, vcc_lo
	s_delay_alu instid0(SALU_CYCLE_1)
	s_xor_b32 s28, exec_lo, s7
	s_cbranch_execz .LBB4_7201
; %bb.7188:                             ;   in Loop: Header=BB4_4959 Depth=2
	v_and_b32_e32 v20, 0x7fffffff, v11
	v_mov_b32_e32 v21, v37
	v_and_b32_e32 v15, 0x80, v12
                                        ; implicit-def: $vgpr10
	s_mov_b32 s7, exec_lo
	s_delay_alu instid0(VALU_DEP_2)
	v_cmpx_gt_u64_e32 0x47600001, v[20:21]
	s_xor_b32 s29, exec_lo, s7
	s_cbranch_execz .LBB4_7198
; %bb.7189:                             ;   in Loop: Header=BB4_4959 Depth=2
	v_mov_b32_e32 v10, 0
	s_mov_b32 s40, exec_lo
	v_cmpx_ne_u32_e32 0, v11
	s_cbranch_execz .LBB4_7197
; %bb.7190:                             ;   in Loop: Header=BB4_4959 Depth=2
	v_bfe_u32 v20, v11, 23, 8
	v_or_b32_e32 v12, 0x800000, v36
	s_mov_b32 s41, exec_lo
	s_delay_alu instid0(VALU_DEP_2) | instskip(SKIP_1) | instid1(VALU_DEP_2)
	v_dual_mov_b32 v13, v37 :: v_dual_sub_nc_u32 v10, 0x71, v20
	v_cmp_gt_u32_e32 vcc_lo, 0x72, v20
	v_cndmask_b32_e32 v10, 0, v10, vcc_lo
	v_cmp_eq_u32_e32 vcc_lo, 0, v20
	s_delay_alu instid0(VALU_DEP_2) | instskip(NEXT) | instid1(VALU_DEP_1)
	v_cndmask_b32_e64 v21, v10, 0x70, vcc_lo
	v_dual_cndmask_b32 v12, v12, v36, vcc_lo :: v_dual_add_nc_u32 v10, 21, v21
	v_add_nc_u32_e32 v24, 20, v21
	s_delay_alu instid0(VALU_DEP_2) | instskip(NEXT) | instid1(VALU_DEP_2)
	v_lshlrev_b64_e64 v[10:11], v10, -1
	v_lshlrev_b64_e64 v[24:25], v24, 1
	s_delay_alu instid0(VALU_DEP_2) | instskip(NEXT) | instid1(VALU_DEP_3)
	v_bfi_b32 v63, v11, 0, 0
	v_bfi_b32 v62, v10, 0, v12
	v_lshrrev_b64 v[10:11], v21, v[12:13]
	s_delay_alu instid0(VALU_DEP_1) | instskip(NEXT) | instid1(VALU_DEP_3)
	v_mov_b64_e32 v[12:13], v[10:11]
	v_cmpx_eq_u64_e64 v[62:63], v[24:25]
; %bb.7191:                             ;   in Loop: Header=BB4_4959 Depth=2
	v_bfe_u32 v12, v10, 21, 1
	v_mov_b32_e32 v13, v37
	s_delay_alu instid0(VALU_DEP_1) | instskip(NEXT) | instid1(VALU_DEP_1)
	v_add_nc_u64_e32 v[12:13], v[10:11], v[12:13]
	v_add_nc_u64_e32 v[12:13], -1, v[12:13]
; %bb.7192:                             ;   in Loop: Header=BB4_4959 Depth=2
	s_or_b32 exec_lo, exec_lo, s41
	v_add_nc_u32_e32 v11, 0xffffff81, v20
	v_lshrrev_b32_e32 v13, 23, v10
	s_mov_b32 s7, exec_lo
	s_delay_alu instid0(VALU_DEP_2) | instskip(NEXT) | instid1(VALU_DEP_1)
	v_cndmask_b32_e64 v11, v11, 0xffffff82, vcc_lo
	v_add3_u32 v13, v21, v11, v13
	v_and_b32_e32 v11, 0x1fffff, v12
                                        ; implicit-def: $vgpr12
	s_delay_alu instid0(VALU_DEP_1) | instskip(NEXT) | instid1(VALU_DEP_1)
	v_dual_add_nc_u32 v20, 14, v13 :: v_dual_add_nc_u32 v36, v11, v10
                                        ; implicit-def: $vgpr10_vgpr11
	v_cmpx_ne_u32_e32 0, v20
	s_xor_b32 s7, exec_lo, s7
; %bb.7193:                             ;   in Loop: Header=BB4_4959 Depth=2
	s_delay_alu instid0(VALU_DEP_2) | instskip(SKIP_1) | instid1(VALU_DEP_1)
	v_cmp_lt_u64_e32 vcc_lo, 0xffffff, v[36:37]
	v_add_nc_u32_e32 v10, 15, v13
	v_cndmask_b32_e32 v12, v20, v10, vcc_lo
	v_cndmask_b32_e64 v10, 0, 1, vcc_lo
	s_delay_alu instid0(VALU_DEP_1)
	v_lshrrev_b64 v[10:11], v10, v[36:37]
; %bb.7194:                             ;   in Loop: Header=BB4_4959 Depth=2
	s_and_not1_saveexec_b32 s7, s7
; %bb.7195:                             ;   in Loop: Header=BB4_4959 Depth=2
	v_mov_b64_e32 v[10:11], v[36:37]
	v_bfe_u32 v12, v36, 23, 1
; %bb.7196:                             ;   in Loop: Header=BB4_4959 Depth=2
	s_or_b32 exec_lo, exec_lo, s7
	s_delay_alu instid0(VALU_DEP_2) | instskip(NEXT) | instid1(VALU_DEP_2)
	v_lshrrev_b64 v[10:11], 21, v[10:11]
	v_cmp_gt_i32_e32 vcc_lo, 32, v12
	v_min_i32_e32 v13, 31, v12
	v_cmp_eq_u32_e64 s7, 0, v12
	s_delay_alu instid0(VALU_DEP_2) | instskip(SKIP_1) | instid1(VALU_DEP_2)
	v_dual_cndmask_b32 v11, 0, v11, vcc_lo :: v_dual_lshlrev_b32 v13, 2, v13
	v_cndmask_b32_e32 v10, 3, v10, vcc_lo
	v_and_b32_e32 v13, 0xfc, v13
	s_delay_alu instid0(VALU_DEP_2) | instskip(NEXT) | instid1(VALU_DEP_2)
	v_cmp_eq_u64_e32 vcc_lo, 0, v[10:11]
	v_and_or_b32 v10, v10, 3, v13
	s_and_b32 s7, s7, vcc_lo
	s_delay_alu instid0(VALU_DEP_1) | instid1(SALU_CYCLE_1)
	v_cndmask_b32_e64 v10, v10, 0, s7
	s_delay_alu instid0(VALU_DEP_1)
	v_or_b32_e32 v10, v10, v15
.LBB4_7197:                             ;   in Loop: Header=BB4_4959 Depth=2
	s_or_b32 exec_lo, exec_lo, s40
                                        ; implicit-def: $vgpr15
.LBB4_7198:                             ;   in Loop: Header=BB4_4959 Depth=2
	s_and_not1_saveexec_b32 s7, s29
; %bb.7199:                             ;   in Loop: Header=BB4_4959 Depth=2
	v_or_b32_e32 v10, 0x7b, v15
; %bb.7200:                             ;   in Loop: Header=BB4_4959 Depth=2
	s_or_b32 exec_lo, exec_lo, s7
                                        ; implicit-def: $vgpr11
                                        ; implicit-def: $vgpr12
.LBB4_7201:                             ;   in Loop: Header=BB4_4959 Depth=2
	s_and_not1_saveexec_b32 s7, s28
	s_cbranch_execz .LBB4_4958
; %bb.7202:                             ;   in Loop: Header=BB4_4959 Depth=2
	s_mov_b32 s28, exec_lo
                                        ; implicit-def: $vgpr10
	v_cmpx_ne_u64_e32 0, v[36:37]
	s_xor_b32 s28, exec_lo, s28
; %bb.7203:                             ;   in Loop: Header=BB4_4959 Depth=2
	v_or_b32_e32 v10, 0x7f, v12
                                        ; implicit-def: $vgpr11
; %bb.7204:                             ;   in Loop: Header=BB4_4959 Depth=2
	s_and_not1_saveexec_b32 s28, s28
	s_cbranch_execz .LBB4_4957
; %bb.7205:                             ;   in Loop: Header=BB4_4959 Depth=2
	v_cmp_lt_i32_e32 vcc_lo, -1, v11
	v_cndmask_b32_e32 v10, 0xfc, v110, vcc_lo
	s_branch .LBB4_4957
.LBB4_7206:                             ;   in Loop: Header=BB4_4883 Depth=1
	s_or_b32 exec_lo, exec_lo, s25
.LBB4_7207:                             ;   in Loop: Header=BB4_4883 Depth=1
	s_delay_alu instid0(SALU_CYCLE_1) | instskip(SKIP_4) | instid1(VALU_DEP_2)
	s_or_b32 exec_lo, exec_lo, s10
	v_and_b32_e32 v2, 0x3ffffc00, v111
	v_mov_b32_e32 v30, 0
	s_mov_b32 s7, 0
	s_mov_b32 s11, exec_lo
                                        ; implicit-def: $vgpr122
                                        ; implicit-def: $vgpr123
	v_cmpx_ne_u32_e64 v111, v2
	s_cbranch_execz .LBB4_8277
; %bb.7208:                             ;   in Loop: Header=BB4_4883 Depth=1
	v_lshlrev_b32_e32 v0, 5, v98
	v_bfe_u32 v13, v111, 9, 1
	v_and_b32_e32 v12, 0x3ff, v111
	s_mov_b32 s25, exec_lo
	s_delay_alu instid0(VALU_DEP_3) | instskip(NEXT) | instid1(VALU_DEP_1)
	v_sub_nc_u32_e32 v0, v107, v0
	v_ashrrev_i32_e32 v3, 31, v0
	s_delay_alu instid0(VALU_DEP_1) | instskip(NEXT) | instid1(VALU_DEP_1)
	v_lshrrev_b32_e32 v3, 27, v3
	v_add_nc_u32_e32 v3, v0, v3
	s_delay_alu instid0(VALU_DEP_1) | instskip(SKIP_2) | instid1(VALU_DEP_3)
	v_and_b32_e32 v10, 0xffffffe0, v3
	v_ashrrev_i32_e32 v11, 5, v3
	v_and_b32_e32 v3, 0x1ff, v111
	v_sub_nc_u32_e32 v0, v0, v10
	s_delay_alu instid0(VALU_DEP_2) | instskip(NEXT) | instid1(VALU_DEP_2)
	v_cmp_lt_u32_e64 s7, 15, v3
	v_lshlrev_b32_e32 v10, 4, v0
	s_delay_alu instid0(VALU_DEP_2) | instskip(NEXT) | instid1(VALU_DEP_2)
	v_add_co_ci_u32_e64 v13, null, 0, v13, s7
	v_lshl_add_u32 v10, v11, 9, v10
	s_delay_alu instid0(VALU_DEP_1) | instskip(NEXT) | instid1(VALU_DEP_1)
	v_dual_sub_nc_u32 v96, v13, v11 :: v_dual_sub_nc_u32 v97, v12, v10
	v_cmpx_lt_i32_e32 15, v97
	s_cbranch_execz .LBB4_8276
; %bb.7209:                             ;   in Loop: Header=BB4_4883 Depth=1
	s_trap 2
	ds_load_b64 v[12:13], v0
	v_add_nc_u32_e32 v10, v10, v2
	s_delay_alu instid0(VALU_DEP_1) | instskip(NEXT) | instid1(VALU_DEP_1)
	v_ashrrev_i32_e32 v11, 31, v10
	v_add_nc_u64_e32 v[14:15], v[10:11], v[68:69]
	v_add_nc_u64_e32 v[16:17], v[10:11], v[70:71]
	s_wait_dscnt 0x0
	v_readfirstlane_b32 s26, v12
	v_readfirstlane_b32 s27, v13
	v_add_nc_u64_e32 v[80:81], v[12:13], v[10:11]
	s_and_b32 s28, s26, 3
	s_bfe_i32 s10, s26, 0x80000
	s_clz_i32_u32 s41, s28
	s_bfe_u32 s29, s26, 0x50002
	s_min_u32 s41, s41, 32
	s_and_b32 s40, s26, 0x7c
	s_sub_co_i32 s44, s41, 29
	s_lshl_b32 s42, s26, 24
	s_sext_i32_i8 s43, s26
	s_lshl_b64 s[26:27], s[26:27], s44
	s_and_b32 s42, s42, 0x80000000
	s_sub_co_i32 s27, 30, s41
	s_and_b32 s26, s26, 3
	s_cmp_gt_i32 s43, -1
	s_cselect_b32 s41, s22, 0xff800000
	s_cmp_eq_u32 s28, 0
	s_cselect_b32 s41, s41, 0x7f800001
	s_cmp_eq_u32 s29, 0
	s_cselect_b32 s27, s27, s29
	s_cselect_b32 s26, s26, s28
	s_lshl_b32 s27, s27, 23
	s_lshl_b32 s26, s26, 21
	s_add_co_i32 s27, s27, s42
	s_delay_alu instid0(SALU_CYCLE_1) | instskip(NEXT) | instid1(SALU_CYCLE_1)
	s_or_b32 s26, s27, s26
	s_add_co_i32 s27, s26, 0x38000000
	s_cmp_eq_u32 s40, 0x7c
	s_mov_b32 s26, 0
	s_cselect_b32 s27, s41, s27
	s_and_b32 s28, s10, 0xff
	s_branch .LBB4_7212
.LBB4_7210:                             ;   in Loop: Header=BB4_7212 Depth=2
	s_or_b32 exec_lo, exec_lo, s29
.LBB4_7211:                             ;   in Loop: Header=BB4_7212 Depth=2
	s_delay_alu instid0(SALU_CYCLE_1)
	s_or_b32 exec_lo, exec_lo, s10
	v_lshl_or_b32 v11, v87, 8, v86
	v_dual_lshlrev_b32 v12, 16, v117 :: v_dual_lshlrev_b32 v13, 24, v30
	v_lshl_or_b32 v20, v100, 8, v98
	v_dual_lshlrev_b32 v21, 16, v103 :: v_dual_lshlrev_b32 v24, 24, v114
	;; [unrolled: 2-line block ×3, first 2 shown]
	v_dual_lshlrev_b32 v36, 24, v10 :: v_dual_sub_nc_u32 v97, v97, v52
	v_lshlrev_b32_e32 v82, 16, v82
	v_lshl_or_b32 v2, v2, 8, v84
	v_or3_b32 v11, v11, v12, v13
	v_or3_b32 v10, v20, v21, v24
	;; [unrolled: 1-line block ×3, first 2 shown]
	v_add_nc_u64_e32 v[14:15], v[14:15], v[52:53]
	v_or3_b32 v13, v2, v82, v36
	v_add_nc_u64_e32 v[80:81], v[80:81], v[52:53]
	v_cmp_gt_i32_e32 vcc_lo, 16, v97
	v_sub_nc_u32_e32 v96, v96, v38
	global_store_b128 v[16:17], v[10:13], off th:TH_STORE_NT
	s_wait_xcnt 0x0
	v_add_nc_u64_e32 v[16:17], v[16:17], v[52:53]
	s_or_b32 s26, vcc_lo, s26
	s_delay_alu instid0(SALU_CYCLE_1)
	s_and_not1_b32 exec_lo, exec_lo, s26
	s_cbranch_execz .LBB4_8275
.LBB4_7212:                             ;   Parent Loop BB4_4883 Depth=1
                                        ; =>  This Inner Loop Header: Depth=2
	s_cmp_lt_i32 s28, 0x80
	s_cbranch_scc1 .LBB4_7216
; %bb.7213:                             ;   in Loop: Header=BB4_7212 Depth=2
	s_and_b32 s10, 0xffff, s28
	s_delay_alu instid0(SALU_CYCLE_1)
	s_cmp_eq_u32 s10, 0x80
	s_mov_b32 s10, -1
	s_cbranch_scc0 .LBB4_7215
; %bb.7214:                             ;   in Loop: Header=BB4_7212 Depth=2
	s_mov_b32 s10, 0
.LBB4_7215:                             ;   in Loop: Header=BB4_7212 Depth=2
	s_brev_b32 s29, 1
	s_branch .LBB4_7218
.LBB4_7216:                             ;   in Loop: Header=BB4_7212 Depth=2
	s_mov_b32 s10, 0
	s_brev_b32 s29, 1
	s_cbranch_execz .LBB4_7218
; %bb.7217:                             ;   in Loop: Header=BB4_7212 Depth=2
	s_and_b32 s10, 0xffff, s28
	s_mov_b32 s29, 0
	s_cmp_lg_u32 s10, 0
	s_cselect_b32 s10, -1, 0
.LBB4_7218:                             ;   in Loop: Header=BB4_7212 Depth=2
	s_delay_alu instid0(SALU_CYCLE_1)
	s_and_not1_b32 vcc_lo, exec_lo, s10
	s_cbranch_vccnz .LBB4_7220
; %bb.7219:                             ;   in Loop: Header=BB4_7212 Depth=2
	s_mov_b32 s29, s27
.LBB4_7220:                             ;   in Loop: Header=BB4_7212 Depth=2
	global_load_b128 v[10:13], v[14:15], off th:TH_LOAD_NT
	s_wait_loadcnt 0x0
	v_and_b32_e32 v2, 0xff, v10
	s_delay_alu instid0(VALU_DEP_1)
	v_cmp_ne_u16_e32 vcc_lo, 0, v2
	v_mov_b32_e32 v2, 0
	s_wait_xcnt 0x0
	s_and_saveexec_b32 s10, vcc_lo
	s_cbranch_execz .LBB4_7230
; %bb.7221:                             ;   in Loop: Header=BB4_7212 Depth=2
	v_bfe_i32 v21, v10, 0, 8
	v_bfrev_b32_e32 v2, 1
	s_mov_b32 s40, exec_lo
	s_delay_alu instid0(VALU_DEP_2)
	v_cmpx_ne_u16_e32 0xff80, v21
	s_cbranch_execz .LBB4_7229
; %bb.7222:                             ;   in Loop: Header=BB4_7212 Depth=2
	v_and_b32_e32 v2, 0x7c, v10
	v_and_b32_e32 v20, 3, v10
	s_delay_alu instid0(VALU_DEP_2) | instskip(SKIP_1) | instid1(SALU_CYCLE_1)
	v_cmp_ne_u32_e32 vcc_lo, 0x7c, v2
                                        ; implicit-def: $vgpr2
	s_and_saveexec_b32 s41, vcc_lo
	s_xor_b32 s41, exec_lo, s41
	s_cbranch_execz .LBB4_7226
; %bb.7223:                             ;   in Loop: Header=BB4_7212 Depth=2
	v_bfe_u32 v2, v10, 2, 5
	s_mov_b32 s42, exec_lo
	s_delay_alu instid0(VALU_DEP_1)
	v_cmpx_eq_u32_e32 0, v2
; %bb.7224:                             ;   in Loop: Header=BB4_7212 Depth=2
	v_clz_i32_u32_e32 v2, v20
	s_delay_alu instid0(VALU_DEP_1) | instskip(NEXT) | instid1(VALU_DEP_1)
	v_min_u32_e32 v2, 32, v2
	v_subrev_nc_u32_e32 v20, 29, v2
	s_delay_alu instid0(VALU_DEP_1) | instskip(NEXT) | instid1(VALU_DEP_1)
	v_lshlrev_b64_e32 v[20:21], v20, v[10:11]
	v_dual_sub_nc_u32 v2, 30, v2 :: v_dual_bitop2_b32 v20, 3, v20 bitop3:0x40
; %bb.7225:                             ;   in Loop: Header=BB4_7212 Depth=2
	s_or_b32 exec_lo, exec_lo, s42
	v_lshlrev_b32_e32 v21, 24, v10
	s_delay_alu instid0(VALU_DEP_1) | instskip(NEXT) | instid1(VALU_DEP_1)
	v_and_b32_e32 v21, 0x80000000, v21
	v_lshl_add_u32 v2, v2, 23, v21
                                        ; implicit-def: $vgpr21
	s_delay_alu instid0(VALU_DEP_1) | instskip(NEXT) | instid1(VALU_DEP_1)
	v_lshl_or_b32 v2, v20, 21, v2
                                        ; implicit-def: $vgpr20
	v_add_nc_u32_e32 v2, 0x38000000, v2
.LBB4_7226:                             ;   in Loop: Header=BB4_7212 Depth=2
	s_and_not1_saveexec_b32 s41, s41
; %bb.7227:                             ;   in Loop: Header=BB4_7212 Depth=2
	v_cmp_lt_i16_e32 vcc_lo, -1, v21
	v_cndmask_b32_e32 v2, 0xff800000, v109, vcc_lo
	v_cmp_eq_u32_e32 vcc_lo, 0, v20
	s_delay_alu instid0(VALU_DEP_2)
	v_cndmask_b32_e32 v2, 0x7f800001, v2, vcc_lo
; %bb.7228:                             ;   in Loop: Header=BB4_7212 Depth=2
	s_or_b32 exec_lo, exec_lo, s41
.LBB4_7229:                             ;   in Loop: Header=BB4_7212 Depth=2
	s_delay_alu instid0(SALU_CYCLE_1)
	s_or_b32 exec_lo, exec_lo, s40
.LBB4_7230:                             ;   in Loop: Header=BB4_7212 Depth=2
	s_delay_alu instid0(SALU_CYCLE_1) | instskip(NEXT) | instid1(VALU_DEP_1)
	s_or_b32 exec_lo, exec_lo, s10
	v_dual_mul_f32 v30, s29, v2 :: v_dual_mov_b32 v21, v37
                                        ; implicit-def: $vgpr87
	s_mov_b32 s10, exec_lo
	s_delay_alu instid0(VALU_DEP_1) | instskip(SKIP_2) | instid1(VALU_DEP_3)
	v_and_b32_e32 v20, 0x7f800000, v30
	v_and_b32_e32 v36, 0x7fffff, v30
	v_lshrrev_b32_e32 v2, 24, v30
	v_cmpx_ne_u64_e32 0x7f800000, v[20:21]
	s_xor_b32 s40, exec_lo, s10
	s_cbranch_execz .LBB4_7244
; %bb.7231:                             ;   in Loop: Header=BB4_7212 Depth=2
	v_and_b32_e32 v20, 0x7fffffff, v30
	v_mov_b32_e32 v21, v37
	v_and_b32_e32 v2, 0x80, v2
                                        ; implicit-def: $vgpr87
	s_mov_b32 s10, exec_lo
	s_delay_alu instid0(VALU_DEP_2)
	v_cmpx_gt_u64_e32 0x47600001, v[20:21]
	s_xor_b32 s41, exec_lo, s10
	s_cbranch_execz .LBB4_7241
; %bb.7232:                             ;   in Loop: Header=BB4_7212 Depth=2
	v_mov_b32_e32 v87, 0
	s_mov_b32 s42, exec_lo
	v_cmpx_ne_u32_e32 0, v30
	s_cbranch_execz .LBB4_7240
; %bb.7233:                             ;   in Loop: Header=BB4_7212 Depth=2
	v_bfe_u32 v20, v30, 23, 8
	v_or_b32_e32 v30, 0x800000, v36
	v_mov_b32_e32 v31, v37
	s_delay_alu instid0(VALU_DEP_3) | instskip(SKIP_1) | instid1(VALU_DEP_2)
	v_sub_nc_u32_e32 v21, 0x71, v20
	v_cmp_gt_u32_e32 vcc_lo, 0x72, v20
	v_cndmask_b32_e32 v21, 0, v21, vcc_lo
	v_cmp_eq_u32_e32 vcc_lo, 0, v20
	v_cndmask_b32_e32 v30, v30, v36, vcc_lo
	s_delay_alu instid0(VALU_DEP_3) | instskip(NEXT) | instid1(VALU_DEP_1)
	v_cndmask_b32_e64 v21, v21, 0x70, vcc_lo
	v_dual_add_nc_u32 v24, 21, v21 :: v_dual_add_nc_u32 v82, 20, v21
	s_delay_alu instid0(VALU_DEP_1) | instskip(NEXT) | instid1(VALU_DEP_2)
	v_lshlrev_b64_e64 v[24:25], v24, -1
	v_lshlrev_b64_e64 v[84:85], v82, 1
	v_lshrrev_b64 v[82:83], v21, v[30:31]
	s_delay_alu instid0(VALU_DEP_3) | instskip(NEXT) | instid1(VALU_DEP_4)
	v_bfi_b32 v25, v25, 0, 0
	v_bfi_b32 v24, v24, 0, v30
	s_delay_alu instid0(VALU_DEP_1) | instskip(NEXT) | instid1(VALU_DEP_4)
	v_cmp_eq_u64_e64 s10, v[24:25], v[84:85]
	v_mov_b64_e32 v[84:85], v[82:83]
	s_and_saveexec_b32 s43, s10
; %bb.7234:                             ;   in Loop: Header=BB4_7212 Depth=2
	v_bfe_u32 v24, v82, 21, 1
	v_mov_b32_e32 v25, v37
	s_delay_alu instid0(VALU_DEP_1) | instskip(NEXT) | instid1(VALU_DEP_1)
	v_add_nc_u64_e32 v[24:25], v[82:83], v[24:25]
	v_add_nc_u64_e32 v[84:85], -1, v[24:25]
; %bb.7235:                             ;   in Loop: Header=BB4_7212 Depth=2
	s_or_b32 exec_lo, exec_lo, s43
	v_add_nc_u32_e32 v20, 0xffffff81, v20
	v_lshrrev_b32_e32 v24, 23, v82
	s_mov_b32 s10, exec_lo
	s_delay_alu instid0(VALU_DEP_2) | instskip(NEXT) | instid1(VALU_DEP_1)
	v_cndmask_b32_e64 v20, v20, 0xffffff82, vcc_lo
	v_add3_u32 v21, v21, v20, v24
	v_and_b32_e32 v20, 0x1fffff, v84
	s_delay_alu instid0(VALU_DEP_1) | instskip(NEXT) | instid1(VALU_DEP_1)
	v_dual_add_nc_u32 v30, 14, v21 :: v_dual_add_nc_u32 v36, v20, v82
                                        ; implicit-def: $vgpr82_vgpr83
                                        ; implicit-def: $vgpr20
	v_cmpx_ne_u32_e32 0, v30
	s_xor_b32 s10, exec_lo, s10
; %bb.7236:                             ;   in Loop: Header=BB4_7212 Depth=2
	s_delay_alu instid0(VALU_DEP_2) | instskip(SKIP_2) | instid1(VALU_DEP_2)
	v_cmp_lt_u64_e32 vcc_lo, 0xffffff, v[36:37]
	v_add_nc_u32_e32 v20, 15, v21
	v_cndmask_b32_e64 v21, 0, 1, vcc_lo
	v_cndmask_b32_e32 v20, v30, v20, vcc_lo
	s_delay_alu instid0(VALU_DEP_2)
	v_lshrrev_b64 v[82:83], v21, v[36:37]
; %bb.7237:                             ;   in Loop: Header=BB4_7212 Depth=2
	s_and_not1_saveexec_b32 s10, s10
; %bb.7238:                             ;   in Loop: Header=BB4_7212 Depth=2
	v_mov_b64_e32 v[82:83], v[36:37]
	v_bfe_u32 v20, v36, 23, 1
; %bb.7239:                             ;   in Loop: Header=BB4_7212 Depth=2
	s_or_b32 exec_lo, exec_lo, s10
	s_delay_alu instid0(VALU_DEP_2) | instskip(NEXT) | instid1(VALU_DEP_2)
	v_lshrrev_b64 v[24:25], 21, v[82:83]
	v_cmp_gt_i32_e32 vcc_lo, 32, v20
	v_min_i32_e32 v21, 31, v20
	v_cmp_eq_u32_e64 s10, 0, v20
	s_delay_alu instid0(VALU_DEP_4) | instskip(NEXT) | instid1(VALU_DEP_3)
	v_cndmask_b32_e32 v25, 0, v25, vcc_lo
	v_dual_cndmask_b32 v24, 3, v24 :: v_dual_lshlrev_b32 v21, 2, v21
	s_delay_alu instid0(VALU_DEP_1) | instskip(NEXT) | instid1(VALU_DEP_2)
	v_and_b32_e32 v21, 0xfc, v21
	v_cmp_eq_u64_e32 vcc_lo, 0, v[24:25]
	s_delay_alu instid0(VALU_DEP_2)
	v_and_or_b32 v20, v24, 3, v21
	s_and_b32 s10, s10, vcc_lo
	s_delay_alu instid0(VALU_DEP_1) | instid1(SALU_CYCLE_1)
	v_cndmask_b32_e64 v20, v20, 0, s10
	s_delay_alu instid0(VALU_DEP_1)
	v_or_b32_e32 v87, v20, v2
.LBB4_7240:                             ;   in Loop: Header=BB4_7212 Depth=2
	s_or_b32 exec_lo, exec_lo, s42
                                        ; implicit-def: $vgpr2
.LBB4_7241:                             ;   in Loop: Header=BB4_7212 Depth=2
	s_and_not1_saveexec_b32 s10, s41
; %bb.7242:                             ;   in Loop: Header=BB4_7212 Depth=2
	v_or_b32_e32 v87, 0x7b, v2
; %bb.7243:                             ;   in Loop: Header=BB4_7212 Depth=2
	s_or_b32 exec_lo, exec_lo, s10
                                        ; implicit-def: $vgpr30
                                        ; implicit-def: $vgpr2
.LBB4_7244:                             ;   in Loop: Header=BB4_7212 Depth=2
	s_and_not1_saveexec_b32 s10, s40
	s_cbranch_execz .LBB4_7250
; %bb.7245:                             ;   in Loop: Header=BB4_7212 Depth=2
	s_mov_b32 s40, exec_lo
                                        ; implicit-def: $vgpr87
	v_cmpx_ne_u64_e32 0, v[36:37]
	s_xor_b32 s40, exec_lo, s40
; %bb.7246:                             ;   in Loop: Header=BB4_7212 Depth=2
	v_or_b32_e32 v87, 0x7f, v2
                                        ; implicit-def: $vgpr30
; %bb.7247:                             ;   in Loop: Header=BB4_7212 Depth=2
	s_and_not1_saveexec_b32 s40, s40
; %bb.7248:                             ;   in Loop: Header=BB4_7212 Depth=2
	v_cmp_lt_i32_e32 vcc_lo, -1, v30
	v_cndmask_b32_e32 v87, 0xfc, v110, vcc_lo
; %bb.7249:                             ;   in Loop: Header=BB4_7212 Depth=2
	s_or_b32 exec_lo, exec_lo, s40
.LBB4_7250:                             ;   in Loop: Header=BB4_7212 Depth=2
	s_delay_alu instid0(SALU_CYCLE_1) | instskip(SKIP_3) | instid1(VALU_DEP_2)
	s_or_b32 exec_lo, exec_lo, s10
	v_lshrrev_b16 v82, 8, v10
	v_mov_b32_e32 v20, 0
	s_mov_b32 s10, exec_lo
	v_cmpx_ne_u16_e32 0, v82
	s_cbranch_execz .LBB4_7260
; %bb.7251:                             ;   in Loop: Header=BB4_7212 Depth=2
	v_bfrev_b32_e32 v20, 1
	s_mov_b32 s40, exec_lo
	v_cmpx_ne_u16_e32 0x80, v82
	s_cbranch_execz .LBB4_7259
; %bb.7252:                             ;   in Loop: Header=BB4_7212 Depth=2
	v_and_b32_e32 v21, 0xffff, v82
	s_delay_alu instid0(VALU_DEP_1) | instskip(SKIP_1) | instid1(VALU_DEP_2)
	v_and_b32_e32 v20, 0x7c, v21
	v_and_b32_e32 v2, 3, v21
	v_cmp_ne_u32_e32 vcc_lo, 0x7c, v20
                                        ; implicit-def: $vgpr20
	s_and_saveexec_b32 s41, vcc_lo
	s_delay_alu instid0(SALU_CYCLE_1)
	s_xor_b32 s41, exec_lo, s41
	s_cbranch_execz .LBB4_7256
; %bb.7253:                             ;   in Loop: Header=BB4_7212 Depth=2
	v_bfe_u32 v20, v21, 2, 5
	s_mov_b32 s42, exec_lo
	s_delay_alu instid0(VALU_DEP_1)
	v_cmpx_eq_u32_e32 0, v20
; %bb.7254:                             ;   in Loop: Header=BB4_7212 Depth=2
	v_clz_i32_u32_e32 v2, v2
	s_delay_alu instid0(VALU_DEP_1) | instskip(SKIP_1) | instid1(VALU_DEP_2)
	v_min_u32_e32 v2, 32, v2
	v_mov_b32_e32 v83, v37
	v_subrev_nc_u32_e32 v20, 29, v2
	s_delay_alu instid0(VALU_DEP_1) | instskip(NEXT) | instid1(VALU_DEP_1)
	v_lshlrev_b64_e32 v[24:25], v20, v[82:83]
	v_dual_sub_nc_u32 v20, 30, v2 :: v_dual_bitop2_b32 v2, 3, v24 bitop3:0x40
; %bb.7255:                             ;   in Loop: Header=BB4_7212 Depth=2
	s_or_b32 exec_lo, exec_lo, s42
	v_lshlrev_b32_e32 v21, 16, v10
	s_delay_alu instid0(VALU_DEP_1) | instskip(NEXT) | instid1(VALU_DEP_1)
	v_and_b32_e32 v21, 0x80000000, v21
	v_lshl_add_u32 v20, v20, 23, v21
	s_delay_alu instid0(VALU_DEP_1) | instskip(NEXT) | instid1(VALU_DEP_1)
	v_lshl_or_b32 v2, v2, 21, v20
	v_add_nc_u32_e32 v20, 0x38000000, v2
                                        ; implicit-def: $vgpr2
.LBB4_7256:                             ;   in Loop: Header=BB4_7212 Depth=2
	s_and_not1_saveexec_b32 s41, s41
; %bb.7257:                             ;   in Loop: Header=BB4_7212 Depth=2
	v_cmp_lt_i16_e32 vcc_lo, -1, v10
	v_cndmask_b32_e32 v20, 0xff800000, v109, vcc_lo
	v_cmp_eq_u32_e32 vcc_lo, 0, v2
	s_delay_alu instid0(VALU_DEP_2)
	v_cndmask_b32_e32 v20, 0x7f800001, v20, vcc_lo
; %bb.7258:                             ;   in Loop: Header=BB4_7212 Depth=2
	s_or_b32 exec_lo, exec_lo, s41
.LBB4_7259:                             ;   in Loop: Header=BB4_7212 Depth=2
	s_delay_alu instid0(SALU_CYCLE_1)
	s_or_b32 exec_lo, exec_lo, s40
.LBB4_7260:                             ;   in Loop: Header=BB4_7212 Depth=2
	s_delay_alu instid0(SALU_CYCLE_1) | instskip(NEXT) | instid1(VALU_DEP_1)
	s_or_b32 exec_lo, exec_lo, s10
	v_dual_mul_f32 v30, s29, v20 :: v_dual_mov_b32 v21, v37
                                        ; implicit-def: $vgpr98
	s_mov_b32 s10, exec_lo
	s_delay_alu instid0(VALU_DEP_1) | instskip(SKIP_2) | instid1(VALU_DEP_3)
	v_and_b32_e32 v20, 0x7f800000, v30
	v_and_b32_e32 v36, 0x7fffff, v30
	v_lshrrev_b32_e32 v2, 24, v30
	v_cmpx_ne_u64_e32 0x7f800000, v[20:21]
	s_xor_b32 s40, exec_lo, s10
	s_cbranch_execz .LBB4_7274
; %bb.7261:                             ;   in Loop: Header=BB4_7212 Depth=2
	v_and_b32_e32 v20, 0x7fffffff, v30
	v_mov_b32_e32 v21, v37
	v_and_b32_e32 v2, 0x80, v2
                                        ; implicit-def: $vgpr98
	s_mov_b32 s10, exec_lo
	s_delay_alu instid0(VALU_DEP_2)
	v_cmpx_gt_u64_e32 0x47600001, v[20:21]
	s_xor_b32 s41, exec_lo, s10
	s_cbranch_execz .LBB4_7271
; %bb.7262:                             ;   in Loop: Header=BB4_7212 Depth=2
	v_mov_b32_e32 v98, 0
	s_mov_b32 s42, exec_lo
	v_cmpx_ne_u32_e32 0, v30
	s_cbranch_execz .LBB4_7270
; %bb.7263:                             ;   in Loop: Header=BB4_7212 Depth=2
	v_bfe_u32 v20, v30, 23, 8
	v_or_b32_e32 v30, 0x800000, v36
	v_mov_b32_e32 v31, v37
	s_delay_alu instid0(VALU_DEP_3) | instskip(SKIP_1) | instid1(VALU_DEP_2)
	v_sub_nc_u32_e32 v21, 0x71, v20
	v_cmp_gt_u32_e32 vcc_lo, 0x72, v20
	v_cndmask_b32_e32 v21, 0, v21, vcc_lo
	v_cmp_eq_u32_e32 vcc_lo, 0, v20
	v_cndmask_b32_e32 v30, v30, v36, vcc_lo
	s_delay_alu instid0(VALU_DEP_3) | instskip(NEXT) | instid1(VALU_DEP_1)
	v_cndmask_b32_e64 v21, v21, 0x70, vcc_lo
	v_dual_add_nc_u32 v24, 21, v21 :: v_dual_add_nc_u32 v82, 20, v21
	s_delay_alu instid0(VALU_DEP_1) | instskip(NEXT) | instid1(VALU_DEP_2)
	v_lshlrev_b64_e64 v[24:25], v24, -1
	v_lshlrev_b64_e64 v[84:85], v82, 1
	v_lshrrev_b64 v[82:83], v21, v[30:31]
	s_delay_alu instid0(VALU_DEP_3) | instskip(NEXT) | instid1(VALU_DEP_4)
	v_bfi_b32 v25, v25, 0, 0
	v_bfi_b32 v24, v24, 0, v30
	s_delay_alu instid0(VALU_DEP_1) | instskip(NEXT) | instid1(VALU_DEP_4)
	v_cmp_eq_u64_e64 s10, v[24:25], v[84:85]
	v_mov_b64_e32 v[84:85], v[82:83]
	s_and_saveexec_b32 s43, s10
; %bb.7264:                             ;   in Loop: Header=BB4_7212 Depth=2
	v_bfe_u32 v24, v82, 21, 1
	v_mov_b32_e32 v25, v37
	s_delay_alu instid0(VALU_DEP_1) | instskip(NEXT) | instid1(VALU_DEP_1)
	v_add_nc_u64_e32 v[24:25], v[82:83], v[24:25]
	v_add_nc_u64_e32 v[84:85], -1, v[24:25]
; %bb.7265:                             ;   in Loop: Header=BB4_7212 Depth=2
	s_or_b32 exec_lo, exec_lo, s43
	v_add_nc_u32_e32 v20, 0xffffff81, v20
	v_lshrrev_b32_e32 v24, 23, v82
	s_mov_b32 s10, exec_lo
	s_delay_alu instid0(VALU_DEP_2) | instskip(NEXT) | instid1(VALU_DEP_1)
	v_cndmask_b32_e64 v20, v20, 0xffffff82, vcc_lo
	v_add3_u32 v21, v21, v20, v24
	v_and_b32_e32 v20, 0x1fffff, v84
	s_delay_alu instid0(VALU_DEP_1) | instskip(NEXT) | instid1(VALU_DEP_1)
	v_dual_add_nc_u32 v30, 14, v21 :: v_dual_add_nc_u32 v36, v20, v82
                                        ; implicit-def: $vgpr82_vgpr83
                                        ; implicit-def: $vgpr20
	v_cmpx_ne_u32_e32 0, v30
	s_xor_b32 s10, exec_lo, s10
; %bb.7266:                             ;   in Loop: Header=BB4_7212 Depth=2
	s_delay_alu instid0(VALU_DEP_2) | instskip(SKIP_2) | instid1(VALU_DEP_2)
	v_cmp_lt_u64_e32 vcc_lo, 0xffffff, v[36:37]
	v_add_nc_u32_e32 v20, 15, v21
	v_cndmask_b32_e64 v21, 0, 1, vcc_lo
	v_cndmask_b32_e32 v20, v30, v20, vcc_lo
	s_delay_alu instid0(VALU_DEP_2)
	v_lshrrev_b64 v[82:83], v21, v[36:37]
; %bb.7267:                             ;   in Loop: Header=BB4_7212 Depth=2
	s_and_not1_saveexec_b32 s10, s10
; %bb.7268:                             ;   in Loop: Header=BB4_7212 Depth=2
	v_mov_b64_e32 v[82:83], v[36:37]
	v_bfe_u32 v20, v36, 23, 1
; %bb.7269:                             ;   in Loop: Header=BB4_7212 Depth=2
	s_or_b32 exec_lo, exec_lo, s10
	s_delay_alu instid0(VALU_DEP_2) | instskip(NEXT) | instid1(VALU_DEP_2)
	v_lshrrev_b64 v[24:25], 21, v[82:83]
	v_cmp_gt_i32_e32 vcc_lo, 32, v20
	v_min_i32_e32 v21, 31, v20
	v_cmp_eq_u32_e64 s10, 0, v20
	s_delay_alu instid0(VALU_DEP_4) | instskip(NEXT) | instid1(VALU_DEP_3)
	v_cndmask_b32_e32 v25, 0, v25, vcc_lo
	v_dual_cndmask_b32 v24, 3, v24 :: v_dual_lshlrev_b32 v21, 2, v21
	s_delay_alu instid0(VALU_DEP_1) | instskip(NEXT) | instid1(VALU_DEP_2)
	v_and_b32_e32 v21, 0xfc, v21
	v_cmp_eq_u64_e32 vcc_lo, 0, v[24:25]
	s_delay_alu instid0(VALU_DEP_2)
	v_and_or_b32 v20, v24, 3, v21
	s_and_b32 s10, s10, vcc_lo
	s_delay_alu instid0(VALU_DEP_1) | instid1(SALU_CYCLE_1)
	v_cndmask_b32_e64 v20, v20, 0, s10
	s_delay_alu instid0(VALU_DEP_1)
	v_or_b32_e32 v98, v20, v2
.LBB4_7270:                             ;   in Loop: Header=BB4_7212 Depth=2
	s_or_b32 exec_lo, exec_lo, s42
                                        ; implicit-def: $vgpr2
.LBB4_7271:                             ;   in Loop: Header=BB4_7212 Depth=2
	s_and_not1_saveexec_b32 s10, s41
; %bb.7272:                             ;   in Loop: Header=BB4_7212 Depth=2
	v_or_b32_e32 v98, 0x7b, v2
; %bb.7273:                             ;   in Loop: Header=BB4_7212 Depth=2
	s_or_b32 exec_lo, exec_lo, s10
                                        ; implicit-def: $vgpr30
                                        ; implicit-def: $vgpr2
.LBB4_7274:                             ;   in Loop: Header=BB4_7212 Depth=2
	s_and_not1_saveexec_b32 s10, s40
	s_cbranch_execz .LBB4_7280
; %bb.7275:                             ;   in Loop: Header=BB4_7212 Depth=2
	s_mov_b32 s40, exec_lo
                                        ; implicit-def: $vgpr98
	v_cmpx_ne_u64_e32 0, v[36:37]
	s_xor_b32 s40, exec_lo, s40
; %bb.7276:                             ;   in Loop: Header=BB4_7212 Depth=2
	v_or_b32_e32 v98, 0x7f, v2
                                        ; implicit-def: $vgpr30
; %bb.7277:                             ;   in Loop: Header=BB4_7212 Depth=2
	s_and_not1_saveexec_b32 s40, s40
; %bb.7278:                             ;   in Loop: Header=BB4_7212 Depth=2
	v_cmp_lt_i32_e32 vcc_lo, -1, v30
	v_cndmask_b32_e32 v98, 0xfc, v110, vcc_lo
; %bb.7279:                             ;   in Loop: Header=BB4_7212 Depth=2
	s_or_b32 exec_lo, exec_lo, s40
.LBB4_7280:                             ;   in Loop: Header=BB4_7212 Depth=2
	s_delay_alu instid0(SALU_CYCLE_1) | instskip(SKIP_2) | instid1(VALU_DEP_1)
	s_or_b32 exec_lo, exec_lo, s10
	v_dual_lshrrev_b32 v30, 16, v10 :: v_dual_mov_b32 v2, 0
	s_mov_b32 s10, exec_lo
	v_and_b32_e32 v20, 0xff, v30
	s_delay_alu instid0(VALU_DEP_1)
	v_cmpx_ne_u16_e32 0, v20
	s_cbranch_execz .LBB4_7290
; %bb.7281:                             ;   in Loop: Header=BB4_7212 Depth=2
	v_bfrev_b32_e32 v2, 1
	s_mov_b32 s40, exec_lo
	v_cmpx_ne_u16_e32 0x80, v20
	s_cbranch_execz .LBB4_7289
; %bb.7282:                             ;   in Loop: Header=BB4_7212 Depth=2
	v_and_b32_e32 v2, 0x7c0000, v10
	v_bfe_u32 v20, v10, 16, 2
	s_delay_alu instid0(VALU_DEP_2) | instskip(SKIP_1) | instid1(SALU_CYCLE_1)
	v_cmp_ne_u32_e32 vcc_lo, 0x7c0000, v2
                                        ; implicit-def: $vgpr2
	s_and_saveexec_b32 s41, vcc_lo
	s_xor_b32 s41, exec_lo, s41
	s_cbranch_execz .LBB4_7286
; %bb.7283:                             ;   in Loop: Header=BB4_7212 Depth=2
	v_bfe_u32 v2, v10, 18, 5
	s_mov_b32 s42, exec_lo
	s_delay_alu instid0(VALU_DEP_1)
	v_cmpx_eq_u32_e32 0, v2
; %bb.7284:                             ;   in Loop: Header=BB4_7212 Depth=2
	v_clz_i32_u32_e32 v2, v20
	s_delay_alu instid0(VALU_DEP_1) | instskip(NEXT) | instid1(VALU_DEP_1)
	v_min_u32_e32 v2, 32, v2
	v_subrev_nc_u32_e32 v20, 29, v2
	s_delay_alu instid0(VALU_DEP_1) | instskip(NEXT) | instid1(VALU_DEP_1)
	v_lshlrev_b64_e32 v[20:21], v20, v[30:31]
	v_dual_sub_nc_u32 v2, 30, v2 :: v_dual_bitop2_b32 v20, 3, v20 bitop3:0x40
; %bb.7285:                             ;   in Loop: Header=BB4_7212 Depth=2
	s_or_b32 exec_lo, exec_lo, s42
	v_lshlrev_b32_e32 v21, 24, v30
                                        ; implicit-def: $vgpr30
	s_delay_alu instid0(VALU_DEP_1) | instskip(NEXT) | instid1(VALU_DEP_1)
	v_and_b32_e32 v21, 0x80000000, v21
	v_lshl_add_u32 v2, v2, 23, v21
	s_delay_alu instid0(VALU_DEP_1) | instskip(NEXT) | instid1(VALU_DEP_1)
	v_lshl_or_b32 v2, v20, 21, v2
                                        ; implicit-def: $vgpr20
	v_add_nc_u32_e32 v2, 0x38000000, v2
.LBB4_7286:                             ;   in Loop: Header=BB4_7212 Depth=2
	s_and_not1_saveexec_b32 s41, s41
; %bb.7287:                             ;   in Loop: Header=BB4_7212 Depth=2
	v_bfe_i32 v2, v30, 0, 8
	s_delay_alu instid0(VALU_DEP_1) | instskip(SKIP_2) | instid1(VALU_DEP_2)
	v_cmp_lt_i16_e32 vcc_lo, -1, v2
	v_cndmask_b32_e32 v2, 0xff800000, v109, vcc_lo
	v_cmp_eq_u32_e32 vcc_lo, 0, v20
	v_cndmask_b32_e32 v2, 0x7f800001, v2, vcc_lo
; %bb.7288:                             ;   in Loop: Header=BB4_7212 Depth=2
	s_or_b32 exec_lo, exec_lo, s41
.LBB4_7289:                             ;   in Loop: Header=BB4_7212 Depth=2
	s_delay_alu instid0(SALU_CYCLE_1)
	s_or_b32 exec_lo, exec_lo, s40
.LBB4_7290:                             ;   in Loop: Header=BB4_7212 Depth=2
	s_delay_alu instid0(SALU_CYCLE_1) | instskip(NEXT) | instid1(VALU_DEP_1)
	s_or_b32 exec_lo, exec_lo, s10
	v_dual_mul_f32 v30, s29, v2 :: v_dual_mov_b32 v21, v37
                                        ; implicit-def: $vgpr100
	s_mov_b32 s10, exec_lo
	s_delay_alu instid0(VALU_DEP_1) | instskip(SKIP_2) | instid1(VALU_DEP_3)
	v_and_b32_e32 v20, 0x7f800000, v30
	v_and_b32_e32 v36, 0x7fffff, v30
	v_lshrrev_b32_e32 v2, 24, v30
	v_cmpx_ne_u64_e32 0x7f800000, v[20:21]
	s_xor_b32 s40, exec_lo, s10
	s_cbranch_execz .LBB4_7304
; %bb.7291:                             ;   in Loop: Header=BB4_7212 Depth=2
	v_and_b32_e32 v20, 0x7fffffff, v30
	v_mov_b32_e32 v21, v37
	v_and_b32_e32 v2, 0x80, v2
                                        ; implicit-def: $vgpr100
	s_mov_b32 s10, exec_lo
	s_delay_alu instid0(VALU_DEP_2)
	v_cmpx_gt_u64_e32 0x47600001, v[20:21]
	s_xor_b32 s41, exec_lo, s10
	s_cbranch_execz .LBB4_7301
; %bb.7292:                             ;   in Loop: Header=BB4_7212 Depth=2
	v_mov_b32_e32 v100, 0
	s_mov_b32 s42, exec_lo
	v_cmpx_ne_u32_e32 0, v30
	s_cbranch_execz .LBB4_7300
; %bb.7293:                             ;   in Loop: Header=BB4_7212 Depth=2
	v_bfe_u32 v20, v30, 23, 8
	v_or_b32_e32 v30, 0x800000, v36
	v_mov_b32_e32 v31, v37
	s_delay_alu instid0(VALU_DEP_3) | instskip(SKIP_1) | instid1(VALU_DEP_2)
	v_sub_nc_u32_e32 v21, 0x71, v20
	v_cmp_gt_u32_e32 vcc_lo, 0x72, v20
	v_cndmask_b32_e32 v21, 0, v21, vcc_lo
	v_cmp_eq_u32_e32 vcc_lo, 0, v20
	v_cndmask_b32_e32 v30, v30, v36, vcc_lo
	s_delay_alu instid0(VALU_DEP_3) | instskip(NEXT) | instid1(VALU_DEP_1)
	v_cndmask_b32_e64 v21, v21, 0x70, vcc_lo
	v_dual_add_nc_u32 v24, 21, v21 :: v_dual_add_nc_u32 v82, 20, v21
	s_delay_alu instid0(VALU_DEP_1) | instskip(NEXT) | instid1(VALU_DEP_2)
	v_lshlrev_b64_e64 v[24:25], v24, -1
	v_lshlrev_b64_e64 v[84:85], v82, 1
	v_lshrrev_b64 v[82:83], v21, v[30:31]
	s_delay_alu instid0(VALU_DEP_3) | instskip(NEXT) | instid1(VALU_DEP_4)
	v_bfi_b32 v25, v25, 0, 0
	v_bfi_b32 v24, v24, 0, v30
	s_delay_alu instid0(VALU_DEP_1) | instskip(NEXT) | instid1(VALU_DEP_4)
	v_cmp_eq_u64_e64 s10, v[24:25], v[84:85]
	v_mov_b64_e32 v[84:85], v[82:83]
	s_and_saveexec_b32 s43, s10
; %bb.7294:                             ;   in Loop: Header=BB4_7212 Depth=2
	v_bfe_u32 v24, v82, 21, 1
	v_mov_b32_e32 v25, v37
	s_delay_alu instid0(VALU_DEP_1) | instskip(NEXT) | instid1(VALU_DEP_1)
	v_add_nc_u64_e32 v[24:25], v[82:83], v[24:25]
	v_add_nc_u64_e32 v[84:85], -1, v[24:25]
; %bb.7295:                             ;   in Loop: Header=BB4_7212 Depth=2
	s_or_b32 exec_lo, exec_lo, s43
	v_add_nc_u32_e32 v20, 0xffffff81, v20
	v_lshrrev_b32_e32 v24, 23, v82
	s_mov_b32 s10, exec_lo
	s_delay_alu instid0(VALU_DEP_2) | instskip(NEXT) | instid1(VALU_DEP_1)
	v_cndmask_b32_e64 v20, v20, 0xffffff82, vcc_lo
	v_add3_u32 v21, v21, v20, v24
	v_and_b32_e32 v20, 0x1fffff, v84
	s_delay_alu instid0(VALU_DEP_1) | instskip(NEXT) | instid1(VALU_DEP_1)
	v_dual_add_nc_u32 v30, 14, v21 :: v_dual_add_nc_u32 v36, v20, v82
                                        ; implicit-def: $vgpr82_vgpr83
                                        ; implicit-def: $vgpr20
	v_cmpx_ne_u32_e32 0, v30
	s_xor_b32 s10, exec_lo, s10
; %bb.7296:                             ;   in Loop: Header=BB4_7212 Depth=2
	s_delay_alu instid0(VALU_DEP_2) | instskip(SKIP_2) | instid1(VALU_DEP_2)
	v_cmp_lt_u64_e32 vcc_lo, 0xffffff, v[36:37]
	v_add_nc_u32_e32 v20, 15, v21
	v_cndmask_b32_e64 v21, 0, 1, vcc_lo
	v_cndmask_b32_e32 v20, v30, v20, vcc_lo
	s_delay_alu instid0(VALU_DEP_2)
	v_lshrrev_b64 v[82:83], v21, v[36:37]
; %bb.7297:                             ;   in Loop: Header=BB4_7212 Depth=2
	s_and_not1_saveexec_b32 s10, s10
; %bb.7298:                             ;   in Loop: Header=BB4_7212 Depth=2
	v_mov_b64_e32 v[82:83], v[36:37]
	v_bfe_u32 v20, v36, 23, 1
; %bb.7299:                             ;   in Loop: Header=BB4_7212 Depth=2
	s_or_b32 exec_lo, exec_lo, s10
	s_delay_alu instid0(VALU_DEP_2) | instskip(NEXT) | instid1(VALU_DEP_2)
	v_lshrrev_b64 v[24:25], 21, v[82:83]
	v_cmp_gt_i32_e32 vcc_lo, 32, v20
	v_min_i32_e32 v21, 31, v20
	v_cmp_eq_u32_e64 s10, 0, v20
	s_delay_alu instid0(VALU_DEP_4) | instskip(NEXT) | instid1(VALU_DEP_3)
	v_cndmask_b32_e32 v25, 0, v25, vcc_lo
	v_dual_cndmask_b32 v24, 3, v24 :: v_dual_lshlrev_b32 v21, 2, v21
	s_delay_alu instid0(VALU_DEP_1) | instskip(NEXT) | instid1(VALU_DEP_2)
	v_and_b32_e32 v21, 0xfc, v21
	v_cmp_eq_u64_e32 vcc_lo, 0, v[24:25]
	s_delay_alu instid0(VALU_DEP_2)
	v_and_or_b32 v20, v24, 3, v21
	s_and_b32 s10, s10, vcc_lo
	s_delay_alu instid0(VALU_DEP_1) | instid1(SALU_CYCLE_1)
	v_cndmask_b32_e64 v20, v20, 0, s10
	s_delay_alu instid0(VALU_DEP_1)
	v_or_b32_e32 v100, v20, v2
.LBB4_7300:                             ;   in Loop: Header=BB4_7212 Depth=2
	s_or_b32 exec_lo, exec_lo, s42
                                        ; implicit-def: $vgpr2
.LBB4_7301:                             ;   in Loop: Header=BB4_7212 Depth=2
	s_and_not1_saveexec_b32 s10, s41
; %bb.7302:                             ;   in Loop: Header=BB4_7212 Depth=2
	v_or_b32_e32 v100, 0x7b, v2
; %bb.7303:                             ;   in Loop: Header=BB4_7212 Depth=2
	s_or_b32 exec_lo, exec_lo, s10
                                        ; implicit-def: $vgpr30
                                        ; implicit-def: $vgpr2
.LBB4_7304:                             ;   in Loop: Header=BB4_7212 Depth=2
	s_and_not1_saveexec_b32 s10, s40
	s_cbranch_execz .LBB4_7310
; %bb.7305:                             ;   in Loop: Header=BB4_7212 Depth=2
	s_mov_b32 s40, exec_lo
                                        ; implicit-def: $vgpr100
	v_cmpx_ne_u64_e32 0, v[36:37]
	s_xor_b32 s40, exec_lo, s40
; %bb.7306:                             ;   in Loop: Header=BB4_7212 Depth=2
	v_or_b32_e32 v100, 0x7f, v2
                                        ; implicit-def: $vgpr30
; %bb.7307:                             ;   in Loop: Header=BB4_7212 Depth=2
	s_and_not1_saveexec_b32 s40, s40
; %bb.7308:                             ;   in Loop: Header=BB4_7212 Depth=2
	v_cmp_lt_i32_e32 vcc_lo, -1, v30
	v_cndmask_b32_e32 v100, 0xfc, v110, vcc_lo
; %bb.7309:                             ;   in Loop: Header=BB4_7212 Depth=2
	s_or_b32 exec_lo, exec_lo, s40
.LBB4_7310:                             ;   in Loop: Header=BB4_7212 Depth=2
	s_delay_alu instid0(SALU_CYCLE_1)
	s_or_b32 exec_lo, exec_lo, s10
	v_mov_b32_e32 v2, 0
	s_mov_b32 s10, exec_lo
	v_cmpx_lt_u32_e32 0xffffff, v10
	s_cbranch_execz .LBB4_7320
; %bb.7311:                             ;   in Loop: Header=BB4_7212 Depth=2
	v_lshrrev_b32_e32 v30, 24, v10
	v_bfrev_b32_e32 v2, 1
	s_mov_b32 s40, exec_lo
	s_delay_alu instid0(VALU_DEP_2)
	v_cmpx_ne_u32_e32 0x80, v30
	s_cbranch_execz .LBB4_7319
; %bb.7312:                             ;   in Loop: Header=BB4_7212 Depth=2
	v_and_b32_e32 v2, 0x7c000000, v10
	v_bfe_u32 v20, v10, 24, 2
	s_delay_alu instid0(VALU_DEP_2) | instskip(SKIP_1) | instid1(SALU_CYCLE_1)
	v_cmp_ne_u32_e32 vcc_lo, 0x7c000000, v2
                                        ; implicit-def: $vgpr2
	s_and_saveexec_b32 s41, vcc_lo
	s_xor_b32 s41, exec_lo, s41
	s_cbranch_execz .LBB4_7316
; %bb.7313:                             ;   in Loop: Header=BB4_7212 Depth=2
	v_bfe_u32 v2, v10, 26, 5
	s_mov_b32 s42, exec_lo
	s_delay_alu instid0(VALU_DEP_1)
	v_cmpx_eq_u32_e32 0, v2
; %bb.7314:                             ;   in Loop: Header=BB4_7212 Depth=2
	v_clz_i32_u32_e32 v2, v20
	s_delay_alu instid0(VALU_DEP_1) | instskip(NEXT) | instid1(VALU_DEP_1)
	v_min_u32_e32 v2, 32, v2
	v_subrev_nc_u32_e32 v20, 29, v2
	s_delay_alu instid0(VALU_DEP_1) | instskip(NEXT) | instid1(VALU_DEP_1)
	v_lshlrev_b64_e32 v[20:21], v20, v[30:31]
	v_dual_sub_nc_u32 v2, 30, v2 :: v_dual_bitop2_b32 v20, 3, v20 bitop3:0x40
; %bb.7315:                             ;   in Loop: Header=BB4_7212 Depth=2
	s_or_b32 exec_lo, exec_lo, s42
	v_and_b32_e32 v21, 0x80000000, v10
	s_delay_alu instid0(VALU_DEP_1) | instskip(NEXT) | instid1(VALU_DEP_1)
	v_lshl_add_u32 v2, v2, 23, v21
	v_lshl_or_b32 v2, v20, 21, v2
                                        ; implicit-def: $vgpr20
	s_delay_alu instid0(VALU_DEP_1)
	v_add_nc_u32_e32 v2, 0x38000000, v2
.LBB4_7316:                             ;   in Loop: Header=BB4_7212 Depth=2
	s_and_not1_saveexec_b32 s41, s41
; %bb.7317:                             ;   in Loop: Header=BB4_7212 Depth=2
	v_cmp_lt_i32_e32 vcc_lo, -1, v10
	v_cndmask_b32_e32 v2, 0xff800000, v109, vcc_lo
	v_cmp_eq_u32_e32 vcc_lo, 0, v20
	s_delay_alu instid0(VALU_DEP_2)
	v_cndmask_b32_e32 v2, 0x7f800001, v2, vcc_lo
; %bb.7318:                             ;   in Loop: Header=BB4_7212 Depth=2
	s_or_b32 exec_lo, exec_lo, s41
.LBB4_7319:                             ;   in Loop: Header=BB4_7212 Depth=2
	s_delay_alu instid0(SALU_CYCLE_1)
	s_or_b32 exec_lo, exec_lo, s40
.LBB4_7320:                             ;   in Loop: Header=BB4_7212 Depth=2
	s_delay_alu instid0(SALU_CYCLE_1) | instskip(NEXT) | instid1(VALU_DEP_1)
	s_or_b32 exec_lo, exec_lo, s10
	v_dual_mul_f32 v30, s29, v2 :: v_dual_mov_b32 v21, v37
                                        ; implicit-def: $vgpr103
	s_mov_b32 s10, exec_lo
	s_delay_alu instid0(VALU_DEP_1) | instskip(SKIP_2) | instid1(VALU_DEP_3)
	v_and_b32_e32 v20, 0x7f800000, v30
	v_and_b32_e32 v36, 0x7fffff, v30
	v_lshrrev_b32_e32 v2, 24, v30
	v_cmpx_ne_u64_e32 0x7f800000, v[20:21]
	s_xor_b32 s40, exec_lo, s10
	s_cbranch_execz .LBB4_7334
; %bb.7321:                             ;   in Loop: Header=BB4_7212 Depth=2
	v_and_b32_e32 v20, 0x7fffffff, v30
	v_mov_b32_e32 v21, v37
	v_and_b32_e32 v2, 0x80, v2
                                        ; implicit-def: $vgpr103
	s_mov_b32 s10, exec_lo
	s_delay_alu instid0(VALU_DEP_2)
	v_cmpx_gt_u64_e32 0x47600001, v[20:21]
	s_xor_b32 s41, exec_lo, s10
	s_cbranch_execz .LBB4_7331
; %bb.7322:                             ;   in Loop: Header=BB4_7212 Depth=2
	v_mov_b32_e32 v103, 0
	s_mov_b32 s42, exec_lo
	v_cmpx_ne_u32_e32 0, v30
	s_cbranch_execz .LBB4_7330
; %bb.7323:                             ;   in Loop: Header=BB4_7212 Depth=2
	v_bfe_u32 v20, v30, 23, 8
	v_or_b32_e32 v30, 0x800000, v36
	v_mov_b32_e32 v31, v37
	s_delay_alu instid0(VALU_DEP_3) | instskip(SKIP_1) | instid1(VALU_DEP_2)
	v_sub_nc_u32_e32 v21, 0x71, v20
	v_cmp_gt_u32_e32 vcc_lo, 0x72, v20
	v_cndmask_b32_e32 v21, 0, v21, vcc_lo
	v_cmp_eq_u32_e32 vcc_lo, 0, v20
	v_cndmask_b32_e32 v30, v30, v36, vcc_lo
	s_delay_alu instid0(VALU_DEP_3) | instskip(NEXT) | instid1(VALU_DEP_1)
	v_cndmask_b32_e64 v21, v21, 0x70, vcc_lo
	v_dual_add_nc_u32 v24, 21, v21 :: v_dual_add_nc_u32 v82, 20, v21
	s_delay_alu instid0(VALU_DEP_1) | instskip(NEXT) | instid1(VALU_DEP_2)
	v_lshlrev_b64_e64 v[24:25], v24, -1
	v_lshlrev_b64_e64 v[84:85], v82, 1
	v_lshrrev_b64 v[82:83], v21, v[30:31]
	s_delay_alu instid0(VALU_DEP_3) | instskip(NEXT) | instid1(VALU_DEP_4)
	v_bfi_b32 v25, v25, 0, 0
	v_bfi_b32 v24, v24, 0, v30
	s_delay_alu instid0(VALU_DEP_1) | instskip(NEXT) | instid1(VALU_DEP_4)
	v_cmp_eq_u64_e64 s10, v[24:25], v[84:85]
	v_mov_b64_e32 v[84:85], v[82:83]
	s_and_saveexec_b32 s43, s10
; %bb.7324:                             ;   in Loop: Header=BB4_7212 Depth=2
	v_bfe_u32 v24, v82, 21, 1
	v_mov_b32_e32 v25, v37
	s_delay_alu instid0(VALU_DEP_1) | instskip(NEXT) | instid1(VALU_DEP_1)
	v_add_nc_u64_e32 v[24:25], v[82:83], v[24:25]
	v_add_nc_u64_e32 v[84:85], -1, v[24:25]
; %bb.7325:                             ;   in Loop: Header=BB4_7212 Depth=2
	s_or_b32 exec_lo, exec_lo, s43
	v_add_nc_u32_e32 v20, 0xffffff81, v20
	v_lshrrev_b32_e32 v24, 23, v82
	s_mov_b32 s10, exec_lo
	s_delay_alu instid0(VALU_DEP_2) | instskip(NEXT) | instid1(VALU_DEP_1)
	v_cndmask_b32_e64 v20, v20, 0xffffff82, vcc_lo
	v_add3_u32 v21, v21, v20, v24
	v_and_b32_e32 v20, 0x1fffff, v84
	s_delay_alu instid0(VALU_DEP_1) | instskip(NEXT) | instid1(VALU_DEP_1)
	v_dual_add_nc_u32 v30, 14, v21 :: v_dual_add_nc_u32 v36, v20, v82
                                        ; implicit-def: $vgpr82_vgpr83
                                        ; implicit-def: $vgpr20
	v_cmpx_ne_u32_e32 0, v30
	s_xor_b32 s10, exec_lo, s10
; %bb.7326:                             ;   in Loop: Header=BB4_7212 Depth=2
	s_delay_alu instid0(VALU_DEP_2) | instskip(SKIP_2) | instid1(VALU_DEP_2)
	v_cmp_lt_u64_e32 vcc_lo, 0xffffff, v[36:37]
	v_add_nc_u32_e32 v20, 15, v21
	v_cndmask_b32_e64 v21, 0, 1, vcc_lo
	v_cndmask_b32_e32 v20, v30, v20, vcc_lo
	s_delay_alu instid0(VALU_DEP_2)
	v_lshrrev_b64 v[82:83], v21, v[36:37]
; %bb.7327:                             ;   in Loop: Header=BB4_7212 Depth=2
	s_and_not1_saveexec_b32 s10, s10
; %bb.7328:                             ;   in Loop: Header=BB4_7212 Depth=2
	v_mov_b64_e32 v[82:83], v[36:37]
	v_bfe_u32 v20, v36, 23, 1
; %bb.7329:                             ;   in Loop: Header=BB4_7212 Depth=2
	s_or_b32 exec_lo, exec_lo, s10
	s_delay_alu instid0(VALU_DEP_2) | instskip(NEXT) | instid1(VALU_DEP_2)
	v_lshrrev_b64 v[24:25], 21, v[82:83]
	v_cmp_gt_i32_e32 vcc_lo, 32, v20
	v_min_i32_e32 v21, 31, v20
	v_cmp_eq_u32_e64 s10, 0, v20
	s_delay_alu instid0(VALU_DEP_4) | instskip(NEXT) | instid1(VALU_DEP_3)
	v_cndmask_b32_e32 v25, 0, v25, vcc_lo
	v_dual_cndmask_b32 v24, 3, v24 :: v_dual_lshlrev_b32 v21, 2, v21
	s_delay_alu instid0(VALU_DEP_1) | instskip(NEXT) | instid1(VALU_DEP_2)
	v_and_b32_e32 v21, 0xfc, v21
	v_cmp_eq_u64_e32 vcc_lo, 0, v[24:25]
	s_delay_alu instid0(VALU_DEP_2)
	v_and_or_b32 v20, v24, 3, v21
	s_and_b32 s10, s10, vcc_lo
	s_delay_alu instid0(VALU_DEP_1) | instid1(SALU_CYCLE_1)
	v_cndmask_b32_e64 v20, v20, 0, s10
	s_delay_alu instid0(VALU_DEP_1)
	v_or_b32_e32 v103, v20, v2
.LBB4_7330:                             ;   in Loop: Header=BB4_7212 Depth=2
	s_or_b32 exec_lo, exec_lo, s42
                                        ; implicit-def: $vgpr2
.LBB4_7331:                             ;   in Loop: Header=BB4_7212 Depth=2
	s_and_not1_saveexec_b32 s10, s41
; %bb.7332:                             ;   in Loop: Header=BB4_7212 Depth=2
	v_or_b32_e32 v103, 0x7b, v2
; %bb.7333:                             ;   in Loop: Header=BB4_7212 Depth=2
	s_or_b32 exec_lo, exec_lo, s10
                                        ; implicit-def: $vgpr30
                                        ; implicit-def: $vgpr2
.LBB4_7334:                             ;   in Loop: Header=BB4_7212 Depth=2
	s_and_not1_saveexec_b32 s10, s40
	s_cbranch_execz .LBB4_7340
; %bb.7335:                             ;   in Loop: Header=BB4_7212 Depth=2
	s_mov_b32 s40, exec_lo
                                        ; implicit-def: $vgpr103
	v_cmpx_ne_u64_e32 0, v[36:37]
	s_xor_b32 s40, exec_lo, s40
; %bb.7336:                             ;   in Loop: Header=BB4_7212 Depth=2
	v_or_b32_e32 v103, 0x7f, v2
                                        ; implicit-def: $vgpr30
; %bb.7337:                             ;   in Loop: Header=BB4_7212 Depth=2
	s_and_not1_saveexec_b32 s40, s40
; %bb.7338:                             ;   in Loop: Header=BB4_7212 Depth=2
	v_cmp_lt_i32_e32 vcc_lo, -1, v30
	v_cndmask_b32_e32 v103, 0xfc, v110, vcc_lo
; %bb.7339:                             ;   in Loop: Header=BB4_7212 Depth=2
	s_or_b32 exec_lo, exec_lo, s40
.LBB4_7340:                             ;   in Loop: Header=BB4_7212 Depth=2
	s_delay_alu instid0(SALU_CYCLE_1) | instskip(SKIP_3) | instid1(VALU_DEP_2)
	s_or_b32 exec_lo, exec_lo, s10
	v_and_b32_e32 v20, 0xff, v11
	v_dual_mov_b32 v36, v11 :: v_dual_mov_b32 v2, 0
	s_mov_b32 s10, exec_lo
	v_cmpx_ne_u16_e32 0, v20
	s_cbranch_execz .LBB4_7350
; %bb.7341:                             ;   in Loop: Header=BB4_7212 Depth=2
	v_bfrev_b32_e32 v2, 1
	s_mov_b32 s40, exec_lo
	v_cmpx_ne_u16_e32 0x80, v20
	s_cbranch_execz .LBB4_7349
; %bb.7342:                             ;   in Loop: Header=BB4_7212 Depth=2
	v_and_b32_e32 v2, 0x7c, v11
	v_and_b32_e32 v20, 3, v11
	s_delay_alu instid0(VALU_DEP_2) | instskip(SKIP_1) | instid1(SALU_CYCLE_1)
	v_cmp_ne_u32_e32 vcc_lo, 0x7c, v2
                                        ; implicit-def: $vgpr2
	s_and_saveexec_b32 s41, vcc_lo
	s_xor_b32 s41, exec_lo, s41
	s_cbranch_execz .LBB4_7346
; %bb.7343:                             ;   in Loop: Header=BB4_7212 Depth=2
	v_bfe_u32 v2, v11, 2, 5
	s_mov_b32 s42, exec_lo
	s_delay_alu instid0(VALU_DEP_1)
	v_cmpx_eq_u32_e32 0, v2
; %bb.7344:                             ;   in Loop: Header=BB4_7212 Depth=2
	v_clz_i32_u32_e32 v2, v20
	s_delay_alu instid0(VALU_DEP_1) | instskip(NEXT) | instid1(VALU_DEP_1)
	v_min_u32_e32 v2, 32, v2
	v_subrev_nc_u32_e32 v20, 29, v2
	s_delay_alu instid0(VALU_DEP_1) | instskip(NEXT) | instid1(VALU_DEP_1)
	v_lshlrev_b64_e32 v[20:21], v20, v[36:37]
	v_dual_sub_nc_u32 v2, 30, v2 :: v_dual_bitop2_b32 v20, 3, v20 bitop3:0x40
; %bb.7345:                             ;   in Loop: Header=BB4_7212 Depth=2
	s_or_b32 exec_lo, exec_lo, s42
	v_lshlrev_b32_e32 v21, 24, v11
	s_delay_alu instid0(VALU_DEP_1) | instskip(NEXT) | instid1(VALU_DEP_1)
	v_and_b32_e32 v21, 0x80000000, v21
	v_lshl_add_u32 v2, v2, 23, v21
	s_delay_alu instid0(VALU_DEP_1) | instskip(NEXT) | instid1(VALU_DEP_1)
	v_lshl_or_b32 v2, v20, 21, v2
                                        ; implicit-def: $vgpr20
	v_add_nc_u32_e32 v2, 0x38000000, v2
.LBB4_7346:                             ;   in Loop: Header=BB4_7212 Depth=2
	s_and_not1_saveexec_b32 s41, s41
; %bb.7347:                             ;   in Loop: Header=BB4_7212 Depth=2
	v_bfe_i32 v2, v11, 0, 8
	s_delay_alu instid0(VALU_DEP_1) | instskip(SKIP_2) | instid1(VALU_DEP_2)
	v_cmp_lt_i16_e32 vcc_lo, -1, v2
	v_cndmask_b32_e32 v2, 0xff800000, v109, vcc_lo
	v_cmp_eq_u32_e32 vcc_lo, 0, v20
	v_cndmask_b32_e32 v2, 0x7f800001, v2, vcc_lo
; %bb.7348:                             ;   in Loop: Header=BB4_7212 Depth=2
	s_or_b32 exec_lo, exec_lo, s41
.LBB4_7349:                             ;   in Loop: Header=BB4_7212 Depth=2
	s_delay_alu instid0(SALU_CYCLE_1)
	s_or_b32 exec_lo, exec_lo, s40
.LBB4_7350:                             ;   in Loop: Header=BB4_7212 Depth=2
	s_delay_alu instid0(SALU_CYCLE_1) | instskip(NEXT) | instid1(VALU_DEP_1)
	s_or_b32 exec_lo, exec_lo, s10
	v_dual_mul_f32 v30, s29, v2 :: v_dual_mov_b32 v21, v37
	v_mov_b32_e32 v83, v37
                                        ; implicit-def: $vgpr86
	s_mov_b32 s10, exec_lo
	s_delay_alu instid0(VALU_DEP_2) | instskip(SKIP_2) | instid1(VALU_DEP_3)
	v_and_b32_e32 v20, 0x7f800000, v30
	v_and_b32_e32 v82, 0x7fffff, v30
	v_lshrrev_b32_e32 v2, 24, v30
	v_cmpx_ne_u64_e32 0x7f800000, v[20:21]
	s_xor_b32 s40, exec_lo, s10
	s_cbranch_execz .LBB4_7364
; %bb.7351:                             ;   in Loop: Header=BB4_7212 Depth=2
	v_and_b32_e32 v20, 0x7fffffff, v30
	v_mov_b32_e32 v21, v37
	v_and_b32_e32 v2, 0x80, v2
                                        ; implicit-def: $vgpr86
	s_mov_b32 s10, exec_lo
	s_delay_alu instid0(VALU_DEP_2)
	v_cmpx_gt_u64_e32 0x47600001, v[20:21]
	s_xor_b32 s41, exec_lo, s10
	s_cbranch_execz .LBB4_7361
; %bb.7352:                             ;   in Loop: Header=BB4_7212 Depth=2
	v_mov_b32_e32 v86, 0
	s_mov_b32 s42, exec_lo
	v_cmpx_ne_u32_e32 0, v30
	s_cbranch_execz .LBB4_7360
; %bb.7353:                             ;   in Loop: Header=BB4_7212 Depth=2
	v_bfe_u32 v20, v30, 23, 8
	v_or_b32_e32 v30, 0x800000, v82
	s_mov_b32 s43, exec_lo
	s_delay_alu instid0(VALU_DEP_2) | instskip(SKIP_1) | instid1(VALU_DEP_2)
	v_sub_nc_u32_e32 v21, 0x71, v20
	v_cmp_gt_u32_e32 vcc_lo, 0x72, v20
	v_cndmask_b32_e32 v21, 0, v21, vcc_lo
	v_cmp_eq_u32_e32 vcc_lo, 0, v20
	s_delay_alu instid0(VALU_DEP_2) | instskip(NEXT) | instid1(VALU_DEP_1)
	v_cndmask_b32_e64 v21, v21, 0x70, vcc_lo
	v_dual_cndmask_b32 v82, v30, v82, vcc_lo :: v_dual_add_nc_u32 v24, 21, v21
	v_add_nc_u32_e32 v31, 20, v21
	s_delay_alu instid0(VALU_DEP_2) | instskip(NEXT) | instid1(VALU_DEP_2)
	v_lshlrev_b64_e64 v[24:25], v24, -1
	v_lshlrev_b64_e64 v[30:31], v31, 1
	s_delay_alu instid0(VALU_DEP_2) | instskip(SKIP_1) | instid1(VALU_DEP_4)
	v_bfi_b32 v24, v24, 0, v82
	v_lshrrev_b64 v[82:83], v21, v[82:83]
	v_bfi_b32 v25, v25, 0, 0
	s_delay_alu instid0(VALU_DEP_2) | instskip(NEXT) | instid1(VALU_DEP_2)
	v_mov_b64_e32 v[84:85], v[82:83]
	v_cmpx_eq_u64_e64 v[24:25], v[30:31]
; %bb.7354:                             ;   in Loop: Header=BB4_7212 Depth=2
	v_bfe_u32 v24, v82, 21, 1
	v_mov_b32_e32 v25, v37
	s_delay_alu instid0(VALU_DEP_1) | instskip(NEXT) | instid1(VALU_DEP_1)
	v_add_nc_u64_e32 v[24:25], v[82:83], v[24:25]
	v_add_nc_u64_e32 v[84:85], -1, v[24:25]
; %bb.7355:                             ;   in Loop: Header=BB4_7212 Depth=2
	s_or_b32 exec_lo, exec_lo, s43
	v_dual_mov_b32 v83, v37 :: v_dual_add_nc_u32 v20, 0xffffff81, v20
	v_lshrrev_b32_e32 v24, 23, v82
	s_mov_b32 s10, exec_lo
	s_delay_alu instid0(VALU_DEP_2) | instskip(NEXT) | instid1(VALU_DEP_1)
	v_cndmask_b32_e64 v20, v20, 0xffffff82, vcc_lo
	v_add3_u32 v21, v21, v20, v24
	v_and_b32_e32 v20, 0x1fffff, v84
	s_delay_alu instid0(VALU_DEP_1) | instskip(NEXT) | instid1(VALU_DEP_1)
	v_dual_add_nc_u32 v30, 14, v21 :: v_dual_add_nc_u32 v82, v20, v82
                                        ; implicit-def: $vgpr20
	v_cmpx_ne_u32_e32 0, v30
	s_xor_b32 s10, exec_lo, s10
; %bb.7356:                             ;   in Loop: Header=BB4_7212 Depth=2
	s_delay_alu instid0(VALU_DEP_2) | instskip(SKIP_2) | instid1(VALU_DEP_2)
	v_cmp_lt_u64_e32 vcc_lo, 0xffffff, v[82:83]
	v_add_nc_u32_e32 v20, 15, v21
	v_cndmask_b32_e64 v21, 0, 1, vcc_lo
	v_cndmask_b32_e32 v20, v30, v20, vcc_lo
	s_delay_alu instid0(VALU_DEP_2)
	v_lshrrev_b64 v[82:83], v21, v[82:83]
; %bb.7357:                             ;   in Loop: Header=BB4_7212 Depth=2
	s_and_not1_saveexec_b32 s10, s10
; %bb.7358:                             ;   in Loop: Header=BB4_7212 Depth=2
	s_delay_alu instid0(VALU_DEP_1)
	v_bfe_u32 v20, v82, 23, 1
; %bb.7359:                             ;   in Loop: Header=BB4_7212 Depth=2
	s_or_b32 exec_lo, exec_lo, s10
	s_delay_alu instid0(VALU_DEP_2) | instskip(NEXT) | instid1(VALU_DEP_2)
	v_lshrrev_b64 v[24:25], 21, v[82:83]
	v_cmp_gt_i32_e32 vcc_lo, 32, v20
	v_min_i32_e32 v21, 31, v20
	v_cmp_eq_u32_e64 s10, 0, v20
	s_delay_alu instid0(VALU_DEP_4) | instskip(NEXT) | instid1(VALU_DEP_3)
	v_cndmask_b32_e32 v25, 0, v25, vcc_lo
	v_dual_cndmask_b32 v24, 3, v24 :: v_dual_lshlrev_b32 v21, 2, v21
	s_delay_alu instid0(VALU_DEP_1) | instskip(NEXT) | instid1(VALU_DEP_2)
	v_and_b32_e32 v21, 0xfc, v21
	v_cmp_eq_u64_e32 vcc_lo, 0, v[24:25]
	s_delay_alu instid0(VALU_DEP_2)
	v_and_or_b32 v20, v24, 3, v21
	s_and_b32 s10, s10, vcc_lo
	s_delay_alu instid0(VALU_DEP_1) | instid1(SALU_CYCLE_1)
	v_cndmask_b32_e64 v20, v20, 0, s10
	s_delay_alu instid0(VALU_DEP_1)
	v_or_b32_e32 v86, v20, v2
.LBB4_7360:                             ;   in Loop: Header=BB4_7212 Depth=2
	s_or_b32 exec_lo, exec_lo, s42
                                        ; implicit-def: $vgpr2
.LBB4_7361:                             ;   in Loop: Header=BB4_7212 Depth=2
	s_and_not1_saveexec_b32 s10, s41
; %bb.7362:                             ;   in Loop: Header=BB4_7212 Depth=2
	v_or_b32_e32 v86, 0x7b, v2
; %bb.7363:                             ;   in Loop: Header=BB4_7212 Depth=2
	s_or_b32 exec_lo, exec_lo, s10
                                        ; implicit-def: $vgpr30
                                        ; implicit-def: $vgpr82_vgpr83
                                        ; implicit-def: $vgpr2
.LBB4_7364:                             ;   in Loop: Header=BB4_7212 Depth=2
	s_and_not1_saveexec_b32 s10, s40
	s_cbranch_execz .LBB4_7370
; %bb.7365:                             ;   in Loop: Header=BB4_7212 Depth=2
	s_mov_b32 s40, exec_lo
                                        ; implicit-def: $vgpr86
	v_cmpx_ne_u64_e32 0, v[82:83]
	s_xor_b32 s40, exec_lo, s40
; %bb.7366:                             ;   in Loop: Header=BB4_7212 Depth=2
	v_or_b32_e32 v86, 0x7f, v2
                                        ; implicit-def: $vgpr30
; %bb.7367:                             ;   in Loop: Header=BB4_7212 Depth=2
	s_and_not1_saveexec_b32 s40, s40
; %bb.7368:                             ;   in Loop: Header=BB4_7212 Depth=2
	v_cmp_lt_i32_e32 vcc_lo, -1, v30
	v_cndmask_b32_e32 v86, 0xfc, v110, vcc_lo
; %bb.7369:                             ;   in Loop: Header=BB4_7212 Depth=2
	s_or_b32 exec_lo, exec_lo, s40
.LBB4_7370:                             ;   in Loop: Header=BB4_7212 Depth=2
	s_delay_alu instid0(SALU_CYCLE_1) | instskip(SKIP_3) | instid1(VALU_DEP_2)
	s_or_b32 exec_lo, exec_lo, s10
	v_lshrrev_b16 v82, 8, v36
	v_mov_b32_e32 v20, 0
	s_mov_b32 s10, exec_lo
	v_cmpx_ne_u16_e32 0, v82
	s_cbranch_execz .LBB4_7380
; %bb.7371:                             ;   in Loop: Header=BB4_7212 Depth=2
	v_bfrev_b32_e32 v20, 1
	s_mov_b32 s40, exec_lo
	v_cmpx_ne_u16_e32 0x80, v82
	s_cbranch_execz .LBB4_7379
; %bb.7372:                             ;   in Loop: Header=BB4_7212 Depth=2
	v_and_b32_e32 v21, 0xffff, v82
	s_delay_alu instid0(VALU_DEP_1) | instskip(SKIP_1) | instid1(VALU_DEP_2)
	v_and_b32_e32 v20, 0x7c, v21
	v_and_b32_e32 v2, 3, v21
	v_cmp_ne_u32_e32 vcc_lo, 0x7c, v20
                                        ; implicit-def: $vgpr20
	s_and_saveexec_b32 s41, vcc_lo
	s_delay_alu instid0(SALU_CYCLE_1)
	s_xor_b32 s41, exec_lo, s41
	s_cbranch_execz .LBB4_7376
; %bb.7373:                             ;   in Loop: Header=BB4_7212 Depth=2
	v_bfe_u32 v20, v21, 2, 5
	s_mov_b32 s42, exec_lo
	s_delay_alu instid0(VALU_DEP_1)
	v_cmpx_eq_u32_e32 0, v20
; %bb.7374:                             ;   in Loop: Header=BB4_7212 Depth=2
	v_clz_i32_u32_e32 v2, v2
	s_delay_alu instid0(VALU_DEP_1) | instskip(SKIP_1) | instid1(VALU_DEP_2)
	v_min_u32_e32 v2, 32, v2
	v_mov_b32_e32 v83, v37
	v_subrev_nc_u32_e32 v20, 29, v2
	s_delay_alu instid0(VALU_DEP_1) | instskip(NEXT) | instid1(VALU_DEP_1)
	v_lshlrev_b64_e32 v[24:25], v20, v[82:83]
	v_dual_sub_nc_u32 v20, 30, v2 :: v_dual_bitop2_b32 v2, 3, v24 bitop3:0x40
; %bb.7375:                             ;   in Loop: Header=BB4_7212 Depth=2
	s_or_b32 exec_lo, exec_lo, s42
	v_lshlrev_b32_e32 v21, 16, v36
	s_delay_alu instid0(VALU_DEP_1) | instskip(NEXT) | instid1(VALU_DEP_1)
	v_and_b32_e32 v21, 0x80000000, v21
	v_lshl_add_u32 v20, v20, 23, v21
	s_delay_alu instid0(VALU_DEP_1) | instskip(NEXT) | instid1(VALU_DEP_1)
	v_lshl_or_b32 v2, v2, 21, v20
	v_add_nc_u32_e32 v20, 0x38000000, v2
                                        ; implicit-def: $vgpr2
.LBB4_7376:                             ;   in Loop: Header=BB4_7212 Depth=2
	s_and_not1_saveexec_b32 s41, s41
; %bb.7377:                             ;   in Loop: Header=BB4_7212 Depth=2
	v_cmp_lt_i16_e32 vcc_lo, -1, v36
	v_cndmask_b32_e32 v20, 0xff800000, v109, vcc_lo
	v_cmp_eq_u32_e32 vcc_lo, 0, v2
	s_delay_alu instid0(VALU_DEP_2)
	v_cndmask_b32_e32 v20, 0x7f800001, v20, vcc_lo
; %bb.7378:                             ;   in Loop: Header=BB4_7212 Depth=2
	s_or_b32 exec_lo, exec_lo, s41
.LBB4_7379:                             ;   in Loop: Header=BB4_7212 Depth=2
	s_delay_alu instid0(SALU_CYCLE_1)
	s_or_b32 exec_lo, exec_lo, s40
.LBB4_7380:                             ;   in Loop: Header=BB4_7212 Depth=2
	s_delay_alu instid0(SALU_CYCLE_1) | instskip(NEXT) | instid1(VALU_DEP_1)
	s_or_b32 exec_lo, exec_lo, s10
	v_dual_mul_f32 v30, s29, v20 :: v_dual_mov_b32 v21, v37
                                        ; implicit-def: $vgpr117
	s_mov_b32 s10, exec_lo
	s_delay_alu instid0(VALU_DEP_1) | instskip(SKIP_2) | instid1(VALU_DEP_3)
	v_and_b32_e32 v20, 0x7f800000, v30
	v_and_b32_e32 v36, 0x7fffff, v30
	v_lshrrev_b32_e32 v2, 24, v30
	v_cmpx_ne_u64_e32 0x7f800000, v[20:21]
	s_xor_b32 s40, exec_lo, s10
	s_cbranch_execz .LBB4_7394
; %bb.7381:                             ;   in Loop: Header=BB4_7212 Depth=2
	v_and_b32_e32 v20, 0x7fffffff, v30
	v_mov_b32_e32 v21, v37
	v_and_b32_e32 v2, 0x80, v2
                                        ; implicit-def: $vgpr117
	s_mov_b32 s10, exec_lo
	s_delay_alu instid0(VALU_DEP_2)
	v_cmpx_gt_u64_e32 0x47600001, v[20:21]
	s_xor_b32 s41, exec_lo, s10
	s_cbranch_execz .LBB4_7391
; %bb.7382:                             ;   in Loop: Header=BB4_7212 Depth=2
	v_mov_b32_e32 v117, 0
	s_mov_b32 s42, exec_lo
	v_cmpx_ne_u32_e32 0, v30
	s_cbranch_execz .LBB4_7390
; %bb.7383:                             ;   in Loop: Header=BB4_7212 Depth=2
	v_bfe_u32 v20, v30, 23, 8
	v_or_b32_e32 v30, 0x800000, v36
	v_mov_b32_e32 v31, v37
	s_delay_alu instid0(VALU_DEP_3) | instskip(SKIP_1) | instid1(VALU_DEP_2)
	v_sub_nc_u32_e32 v21, 0x71, v20
	v_cmp_gt_u32_e32 vcc_lo, 0x72, v20
	v_cndmask_b32_e32 v21, 0, v21, vcc_lo
	v_cmp_eq_u32_e32 vcc_lo, 0, v20
	v_cndmask_b32_e32 v30, v30, v36, vcc_lo
	s_delay_alu instid0(VALU_DEP_3) | instskip(NEXT) | instid1(VALU_DEP_1)
	v_cndmask_b32_e64 v21, v21, 0x70, vcc_lo
	v_dual_add_nc_u32 v24, 21, v21 :: v_dual_add_nc_u32 v82, 20, v21
	s_delay_alu instid0(VALU_DEP_1) | instskip(NEXT) | instid1(VALU_DEP_2)
	v_lshlrev_b64_e64 v[24:25], v24, -1
	v_lshlrev_b64_e64 v[84:85], v82, 1
	v_lshrrev_b64 v[82:83], v21, v[30:31]
	s_delay_alu instid0(VALU_DEP_3) | instskip(NEXT) | instid1(VALU_DEP_4)
	v_bfi_b32 v25, v25, 0, 0
	v_bfi_b32 v24, v24, 0, v30
	s_delay_alu instid0(VALU_DEP_1) | instskip(NEXT) | instid1(VALU_DEP_4)
	v_cmp_eq_u64_e64 s10, v[24:25], v[84:85]
	v_mov_b64_e32 v[84:85], v[82:83]
	s_and_saveexec_b32 s43, s10
; %bb.7384:                             ;   in Loop: Header=BB4_7212 Depth=2
	v_bfe_u32 v24, v82, 21, 1
	v_mov_b32_e32 v25, v37
	s_delay_alu instid0(VALU_DEP_1) | instskip(NEXT) | instid1(VALU_DEP_1)
	v_add_nc_u64_e32 v[24:25], v[82:83], v[24:25]
	v_add_nc_u64_e32 v[84:85], -1, v[24:25]
; %bb.7385:                             ;   in Loop: Header=BB4_7212 Depth=2
	s_or_b32 exec_lo, exec_lo, s43
	v_add_nc_u32_e32 v20, 0xffffff81, v20
	v_lshrrev_b32_e32 v24, 23, v82
	s_mov_b32 s10, exec_lo
	s_delay_alu instid0(VALU_DEP_2) | instskip(NEXT) | instid1(VALU_DEP_1)
	v_cndmask_b32_e64 v20, v20, 0xffffff82, vcc_lo
	v_add3_u32 v21, v21, v20, v24
	v_and_b32_e32 v20, 0x1fffff, v84
	s_delay_alu instid0(VALU_DEP_1) | instskip(NEXT) | instid1(VALU_DEP_1)
	v_dual_add_nc_u32 v30, 14, v21 :: v_dual_add_nc_u32 v36, v20, v82
                                        ; implicit-def: $vgpr82_vgpr83
                                        ; implicit-def: $vgpr20
	v_cmpx_ne_u32_e32 0, v30
	s_xor_b32 s10, exec_lo, s10
; %bb.7386:                             ;   in Loop: Header=BB4_7212 Depth=2
	s_delay_alu instid0(VALU_DEP_2) | instskip(SKIP_2) | instid1(VALU_DEP_2)
	v_cmp_lt_u64_e32 vcc_lo, 0xffffff, v[36:37]
	v_add_nc_u32_e32 v20, 15, v21
	v_cndmask_b32_e64 v21, 0, 1, vcc_lo
	v_cndmask_b32_e32 v20, v30, v20, vcc_lo
	s_delay_alu instid0(VALU_DEP_2)
	v_lshrrev_b64 v[82:83], v21, v[36:37]
; %bb.7387:                             ;   in Loop: Header=BB4_7212 Depth=2
	s_and_not1_saveexec_b32 s10, s10
; %bb.7388:                             ;   in Loop: Header=BB4_7212 Depth=2
	v_mov_b64_e32 v[82:83], v[36:37]
	v_bfe_u32 v20, v36, 23, 1
; %bb.7389:                             ;   in Loop: Header=BB4_7212 Depth=2
	s_or_b32 exec_lo, exec_lo, s10
	s_delay_alu instid0(VALU_DEP_2) | instskip(NEXT) | instid1(VALU_DEP_2)
	v_lshrrev_b64 v[24:25], 21, v[82:83]
	v_cmp_gt_i32_e32 vcc_lo, 32, v20
	v_min_i32_e32 v21, 31, v20
	v_cmp_eq_u32_e64 s10, 0, v20
	s_delay_alu instid0(VALU_DEP_4) | instskip(NEXT) | instid1(VALU_DEP_3)
	v_cndmask_b32_e32 v25, 0, v25, vcc_lo
	v_dual_cndmask_b32 v24, 3, v24 :: v_dual_lshlrev_b32 v21, 2, v21
	s_delay_alu instid0(VALU_DEP_1) | instskip(NEXT) | instid1(VALU_DEP_2)
	v_and_b32_e32 v21, 0xfc, v21
	v_cmp_eq_u64_e32 vcc_lo, 0, v[24:25]
	s_delay_alu instid0(VALU_DEP_2)
	v_and_or_b32 v20, v24, 3, v21
	s_and_b32 s10, s10, vcc_lo
	s_delay_alu instid0(VALU_DEP_1) | instid1(SALU_CYCLE_1)
	v_cndmask_b32_e64 v20, v20, 0, s10
	s_delay_alu instid0(VALU_DEP_1)
	v_or_b32_e32 v117, v20, v2
.LBB4_7390:                             ;   in Loop: Header=BB4_7212 Depth=2
	s_or_b32 exec_lo, exec_lo, s42
                                        ; implicit-def: $vgpr2
.LBB4_7391:                             ;   in Loop: Header=BB4_7212 Depth=2
	s_and_not1_saveexec_b32 s10, s41
; %bb.7392:                             ;   in Loop: Header=BB4_7212 Depth=2
	v_or_b32_e32 v117, 0x7b, v2
; %bb.7393:                             ;   in Loop: Header=BB4_7212 Depth=2
	s_or_b32 exec_lo, exec_lo, s10
                                        ; implicit-def: $vgpr30
                                        ; implicit-def: $vgpr2
.LBB4_7394:                             ;   in Loop: Header=BB4_7212 Depth=2
	s_and_not1_saveexec_b32 s10, s40
	s_cbranch_execz .LBB4_7400
; %bb.7395:                             ;   in Loop: Header=BB4_7212 Depth=2
	s_mov_b32 s40, exec_lo
                                        ; implicit-def: $vgpr117
	v_cmpx_ne_u64_e32 0, v[36:37]
	s_xor_b32 s40, exec_lo, s40
; %bb.7396:                             ;   in Loop: Header=BB4_7212 Depth=2
	v_or_b32_e32 v117, 0x7f, v2
                                        ; implicit-def: $vgpr30
; %bb.7397:                             ;   in Loop: Header=BB4_7212 Depth=2
	s_and_not1_saveexec_b32 s40, s40
; %bb.7398:                             ;   in Loop: Header=BB4_7212 Depth=2
	v_cmp_lt_i32_e32 vcc_lo, -1, v30
	v_cndmask_b32_e32 v117, 0xfc, v110, vcc_lo
; %bb.7399:                             ;   in Loop: Header=BB4_7212 Depth=2
	s_or_b32 exec_lo, exec_lo, s40
.LBB4_7400:                             ;   in Loop: Header=BB4_7212 Depth=2
	s_delay_alu instid0(SALU_CYCLE_1) | instskip(SKIP_2) | instid1(VALU_DEP_1)
	s_or_b32 exec_lo, exec_lo, s10
	v_dual_lshrrev_b32 v30, 16, v11 :: v_dual_mov_b32 v2, 0
	s_mov_b32 s10, exec_lo
	v_and_b32_e32 v20, 0xff, v30
	s_delay_alu instid0(VALU_DEP_1)
	v_cmpx_ne_u16_e32 0, v20
	s_cbranch_execz .LBB4_7410
; %bb.7401:                             ;   in Loop: Header=BB4_7212 Depth=2
	v_bfrev_b32_e32 v2, 1
	s_mov_b32 s40, exec_lo
	v_cmpx_ne_u16_e32 0x80, v20
	s_cbranch_execz .LBB4_7409
; %bb.7402:                             ;   in Loop: Header=BB4_7212 Depth=2
	v_and_b32_e32 v2, 0x7c0000, v11
	v_bfe_u32 v20, v11, 16, 2
	s_delay_alu instid0(VALU_DEP_2) | instskip(SKIP_1) | instid1(SALU_CYCLE_1)
	v_cmp_ne_u32_e32 vcc_lo, 0x7c0000, v2
                                        ; implicit-def: $vgpr2
	s_and_saveexec_b32 s41, vcc_lo
	s_xor_b32 s41, exec_lo, s41
	s_cbranch_execz .LBB4_7406
; %bb.7403:                             ;   in Loop: Header=BB4_7212 Depth=2
	v_bfe_u32 v2, v11, 18, 5
	s_mov_b32 s42, exec_lo
	s_delay_alu instid0(VALU_DEP_1)
	v_cmpx_eq_u32_e32 0, v2
; %bb.7404:                             ;   in Loop: Header=BB4_7212 Depth=2
	v_clz_i32_u32_e32 v2, v20
	s_delay_alu instid0(VALU_DEP_1) | instskip(NEXT) | instid1(VALU_DEP_1)
	v_min_u32_e32 v2, 32, v2
	v_subrev_nc_u32_e32 v20, 29, v2
	s_delay_alu instid0(VALU_DEP_1) | instskip(NEXT) | instid1(VALU_DEP_1)
	v_lshlrev_b64_e32 v[20:21], v20, v[30:31]
	v_dual_sub_nc_u32 v2, 30, v2 :: v_dual_bitop2_b32 v20, 3, v20 bitop3:0x40
; %bb.7405:                             ;   in Loop: Header=BB4_7212 Depth=2
	s_or_b32 exec_lo, exec_lo, s42
	v_lshlrev_b32_e32 v21, 24, v30
                                        ; implicit-def: $vgpr30
	s_delay_alu instid0(VALU_DEP_1) | instskip(NEXT) | instid1(VALU_DEP_1)
	v_and_b32_e32 v21, 0x80000000, v21
	v_lshl_add_u32 v2, v2, 23, v21
	s_delay_alu instid0(VALU_DEP_1) | instskip(NEXT) | instid1(VALU_DEP_1)
	v_lshl_or_b32 v2, v20, 21, v2
                                        ; implicit-def: $vgpr20
	v_add_nc_u32_e32 v2, 0x38000000, v2
.LBB4_7406:                             ;   in Loop: Header=BB4_7212 Depth=2
	s_and_not1_saveexec_b32 s41, s41
; %bb.7407:                             ;   in Loop: Header=BB4_7212 Depth=2
	v_bfe_i32 v2, v30, 0, 8
	s_delay_alu instid0(VALU_DEP_1) | instskip(SKIP_2) | instid1(VALU_DEP_2)
	v_cmp_lt_i16_e32 vcc_lo, -1, v2
	v_cndmask_b32_e32 v2, 0xff800000, v109, vcc_lo
	v_cmp_eq_u32_e32 vcc_lo, 0, v20
	v_cndmask_b32_e32 v2, 0x7f800001, v2, vcc_lo
; %bb.7408:                             ;   in Loop: Header=BB4_7212 Depth=2
	s_or_b32 exec_lo, exec_lo, s41
.LBB4_7409:                             ;   in Loop: Header=BB4_7212 Depth=2
	s_delay_alu instid0(SALU_CYCLE_1)
	s_or_b32 exec_lo, exec_lo, s40
.LBB4_7410:                             ;   in Loop: Header=BB4_7212 Depth=2
	s_delay_alu instid0(SALU_CYCLE_1) | instskip(NEXT) | instid1(VALU_DEP_1)
	s_or_b32 exec_lo, exec_lo, s10
	v_dual_mul_f32 v30, s29, v2 :: v_dual_mov_b32 v21, v37
                                        ; implicit-def: $vgpr119
	s_mov_b32 s10, exec_lo
	s_delay_alu instid0(VALU_DEP_1) | instskip(SKIP_2) | instid1(VALU_DEP_3)
	v_and_b32_e32 v20, 0x7f800000, v30
	v_and_b32_e32 v36, 0x7fffff, v30
	v_lshrrev_b32_e32 v2, 24, v30
	v_cmpx_ne_u64_e32 0x7f800000, v[20:21]
	s_xor_b32 s40, exec_lo, s10
	s_cbranch_execz .LBB4_7424
; %bb.7411:                             ;   in Loop: Header=BB4_7212 Depth=2
	v_and_b32_e32 v20, 0x7fffffff, v30
	v_mov_b32_e32 v21, v37
	v_and_b32_e32 v2, 0x80, v2
                                        ; implicit-def: $vgpr119
	s_mov_b32 s10, exec_lo
	s_delay_alu instid0(VALU_DEP_2)
	v_cmpx_gt_u64_e32 0x47600001, v[20:21]
	s_xor_b32 s41, exec_lo, s10
	s_cbranch_execz .LBB4_7421
; %bb.7412:                             ;   in Loop: Header=BB4_7212 Depth=2
	v_mov_b32_e32 v119, 0
	s_mov_b32 s42, exec_lo
	v_cmpx_ne_u32_e32 0, v30
	s_cbranch_execz .LBB4_7420
; %bb.7413:                             ;   in Loop: Header=BB4_7212 Depth=2
	v_bfe_u32 v20, v30, 23, 8
	v_or_b32_e32 v30, 0x800000, v36
	v_mov_b32_e32 v31, v37
	s_delay_alu instid0(VALU_DEP_3) | instskip(SKIP_1) | instid1(VALU_DEP_2)
	v_sub_nc_u32_e32 v21, 0x71, v20
	v_cmp_gt_u32_e32 vcc_lo, 0x72, v20
	v_cndmask_b32_e32 v21, 0, v21, vcc_lo
	v_cmp_eq_u32_e32 vcc_lo, 0, v20
	v_cndmask_b32_e32 v30, v30, v36, vcc_lo
	s_delay_alu instid0(VALU_DEP_3) | instskip(NEXT) | instid1(VALU_DEP_1)
	v_cndmask_b32_e64 v21, v21, 0x70, vcc_lo
	v_dual_add_nc_u32 v24, 21, v21 :: v_dual_add_nc_u32 v82, 20, v21
	s_delay_alu instid0(VALU_DEP_1) | instskip(NEXT) | instid1(VALU_DEP_2)
	v_lshlrev_b64_e64 v[24:25], v24, -1
	v_lshlrev_b64_e64 v[84:85], v82, 1
	v_lshrrev_b64 v[82:83], v21, v[30:31]
	s_delay_alu instid0(VALU_DEP_3) | instskip(NEXT) | instid1(VALU_DEP_4)
	v_bfi_b32 v25, v25, 0, 0
	v_bfi_b32 v24, v24, 0, v30
	s_delay_alu instid0(VALU_DEP_1) | instskip(NEXT) | instid1(VALU_DEP_4)
	v_cmp_eq_u64_e64 s10, v[24:25], v[84:85]
	v_mov_b64_e32 v[84:85], v[82:83]
	s_and_saveexec_b32 s43, s10
; %bb.7414:                             ;   in Loop: Header=BB4_7212 Depth=2
	v_bfe_u32 v24, v82, 21, 1
	v_mov_b32_e32 v25, v37
	s_delay_alu instid0(VALU_DEP_1) | instskip(NEXT) | instid1(VALU_DEP_1)
	v_add_nc_u64_e32 v[24:25], v[82:83], v[24:25]
	v_add_nc_u64_e32 v[84:85], -1, v[24:25]
; %bb.7415:                             ;   in Loop: Header=BB4_7212 Depth=2
	s_or_b32 exec_lo, exec_lo, s43
	v_add_nc_u32_e32 v20, 0xffffff81, v20
	v_lshrrev_b32_e32 v24, 23, v82
	s_mov_b32 s10, exec_lo
	s_delay_alu instid0(VALU_DEP_2) | instskip(NEXT) | instid1(VALU_DEP_1)
	v_cndmask_b32_e64 v20, v20, 0xffffff82, vcc_lo
	v_add3_u32 v21, v21, v20, v24
	v_and_b32_e32 v20, 0x1fffff, v84
	s_delay_alu instid0(VALU_DEP_1) | instskip(NEXT) | instid1(VALU_DEP_1)
	v_dual_add_nc_u32 v30, 14, v21 :: v_dual_add_nc_u32 v36, v20, v82
                                        ; implicit-def: $vgpr82_vgpr83
                                        ; implicit-def: $vgpr20
	v_cmpx_ne_u32_e32 0, v30
	s_xor_b32 s10, exec_lo, s10
; %bb.7416:                             ;   in Loop: Header=BB4_7212 Depth=2
	s_delay_alu instid0(VALU_DEP_2) | instskip(SKIP_2) | instid1(VALU_DEP_2)
	v_cmp_lt_u64_e32 vcc_lo, 0xffffff, v[36:37]
	v_add_nc_u32_e32 v20, 15, v21
	v_cndmask_b32_e64 v21, 0, 1, vcc_lo
	v_cndmask_b32_e32 v20, v30, v20, vcc_lo
	s_delay_alu instid0(VALU_DEP_2)
	v_lshrrev_b64 v[82:83], v21, v[36:37]
; %bb.7417:                             ;   in Loop: Header=BB4_7212 Depth=2
	s_and_not1_saveexec_b32 s10, s10
; %bb.7418:                             ;   in Loop: Header=BB4_7212 Depth=2
	v_mov_b64_e32 v[82:83], v[36:37]
	v_bfe_u32 v20, v36, 23, 1
; %bb.7419:                             ;   in Loop: Header=BB4_7212 Depth=2
	s_or_b32 exec_lo, exec_lo, s10
	s_delay_alu instid0(VALU_DEP_2) | instskip(NEXT) | instid1(VALU_DEP_2)
	v_lshrrev_b64 v[24:25], 21, v[82:83]
	v_cmp_gt_i32_e32 vcc_lo, 32, v20
	v_min_i32_e32 v21, 31, v20
	v_cmp_eq_u32_e64 s10, 0, v20
	s_delay_alu instid0(VALU_DEP_4) | instskip(NEXT) | instid1(VALU_DEP_3)
	v_cndmask_b32_e32 v25, 0, v25, vcc_lo
	v_dual_cndmask_b32 v24, 3, v24 :: v_dual_lshlrev_b32 v21, 2, v21
	s_delay_alu instid0(VALU_DEP_1) | instskip(NEXT) | instid1(VALU_DEP_2)
	v_and_b32_e32 v21, 0xfc, v21
	v_cmp_eq_u64_e32 vcc_lo, 0, v[24:25]
	s_delay_alu instid0(VALU_DEP_2)
	v_and_or_b32 v20, v24, 3, v21
	s_and_b32 s10, s10, vcc_lo
	s_delay_alu instid0(VALU_DEP_1) | instid1(SALU_CYCLE_1)
	v_cndmask_b32_e64 v20, v20, 0, s10
	s_delay_alu instid0(VALU_DEP_1)
	v_or_b32_e32 v119, v20, v2
.LBB4_7420:                             ;   in Loop: Header=BB4_7212 Depth=2
	s_or_b32 exec_lo, exec_lo, s42
                                        ; implicit-def: $vgpr2
.LBB4_7421:                             ;   in Loop: Header=BB4_7212 Depth=2
	s_and_not1_saveexec_b32 s10, s41
; %bb.7422:                             ;   in Loop: Header=BB4_7212 Depth=2
	v_or_b32_e32 v119, 0x7b, v2
; %bb.7423:                             ;   in Loop: Header=BB4_7212 Depth=2
	s_or_b32 exec_lo, exec_lo, s10
                                        ; implicit-def: $vgpr30
                                        ; implicit-def: $vgpr2
.LBB4_7424:                             ;   in Loop: Header=BB4_7212 Depth=2
	s_and_not1_saveexec_b32 s10, s40
	s_cbranch_execz .LBB4_7430
; %bb.7425:                             ;   in Loop: Header=BB4_7212 Depth=2
	s_mov_b32 s40, exec_lo
                                        ; implicit-def: $vgpr119
	v_cmpx_ne_u64_e32 0, v[36:37]
	s_xor_b32 s40, exec_lo, s40
; %bb.7426:                             ;   in Loop: Header=BB4_7212 Depth=2
	v_or_b32_e32 v119, 0x7f, v2
                                        ; implicit-def: $vgpr30
; %bb.7427:                             ;   in Loop: Header=BB4_7212 Depth=2
	s_and_not1_saveexec_b32 s40, s40
; %bb.7428:                             ;   in Loop: Header=BB4_7212 Depth=2
	v_cmp_lt_i32_e32 vcc_lo, -1, v30
	v_cndmask_b32_e32 v119, 0xfc, v110, vcc_lo
; %bb.7429:                             ;   in Loop: Header=BB4_7212 Depth=2
	s_or_b32 exec_lo, exec_lo, s40
.LBB4_7430:                             ;   in Loop: Header=BB4_7212 Depth=2
	s_delay_alu instid0(SALU_CYCLE_1)
	s_or_b32 exec_lo, exec_lo, s10
	v_mov_b32_e32 v2, 0
	s_mov_b32 s10, exec_lo
	v_cmpx_lt_u64_e64 s[12:13], v[10:11]
	s_cbranch_execz .LBB4_7440
; %bb.7431:                             ;   in Loop: Header=BB4_7212 Depth=2
	v_lshrrev_b32_e32 v30, 24, v11
	v_bfrev_b32_e32 v2, 1
	s_mov_b32 s40, exec_lo
	s_delay_alu instid0(VALU_DEP_2)
	v_cmpx_ne_u32_e32 0x80, v30
	s_cbranch_execz .LBB4_7439
; %bb.7432:                             ;   in Loop: Header=BB4_7212 Depth=2
	v_and_b32_e32 v2, 0x7c000000, v11
	v_bfe_u32 v20, v11, 24, 2
	s_delay_alu instid0(VALU_DEP_2) | instskip(SKIP_1) | instid1(SALU_CYCLE_1)
	v_cmp_ne_u32_e32 vcc_lo, 0x7c000000, v2
                                        ; implicit-def: $vgpr2
	s_and_saveexec_b32 s41, vcc_lo
	s_xor_b32 s41, exec_lo, s41
	s_cbranch_execz .LBB4_7436
; %bb.7433:                             ;   in Loop: Header=BB4_7212 Depth=2
	v_bfe_u32 v2, v11, 26, 5
	s_mov_b32 s42, exec_lo
	s_delay_alu instid0(VALU_DEP_1)
	v_cmpx_eq_u32_e32 0, v2
; %bb.7434:                             ;   in Loop: Header=BB4_7212 Depth=2
	v_clz_i32_u32_e32 v2, v20
	s_delay_alu instid0(VALU_DEP_1) | instskip(NEXT) | instid1(VALU_DEP_1)
	v_min_u32_e32 v2, 32, v2
	v_subrev_nc_u32_e32 v20, 29, v2
	s_delay_alu instid0(VALU_DEP_1) | instskip(NEXT) | instid1(VALU_DEP_1)
	v_lshlrev_b64_e32 v[20:21], v20, v[30:31]
	v_dual_sub_nc_u32 v2, 30, v2 :: v_dual_bitop2_b32 v20, 3, v20 bitop3:0x40
; %bb.7435:                             ;   in Loop: Header=BB4_7212 Depth=2
	s_or_b32 exec_lo, exec_lo, s42
	v_and_b32_e32 v21, 0x80000000, v11
	s_delay_alu instid0(VALU_DEP_1) | instskip(NEXT) | instid1(VALU_DEP_1)
	v_lshl_add_u32 v2, v2, 23, v21
	v_lshl_or_b32 v2, v20, 21, v2
                                        ; implicit-def: $vgpr20
	s_delay_alu instid0(VALU_DEP_1)
	v_add_nc_u32_e32 v2, 0x38000000, v2
.LBB4_7436:                             ;   in Loop: Header=BB4_7212 Depth=2
	s_and_not1_saveexec_b32 s41, s41
; %bb.7437:                             ;   in Loop: Header=BB4_7212 Depth=2
	v_cmp_lt_i64_e32 vcc_lo, -1, v[10:11]
	v_cndmask_b32_e32 v2, 0xff800000, v109, vcc_lo
	v_cmp_eq_u32_e32 vcc_lo, 0, v20
	s_delay_alu instid0(VALU_DEP_2)
	v_cndmask_b32_e32 v2, 0x7f800001, v2, vcc_lo
; %bb.7438:                             ;   in Loop: Header=BB4_7212 Depth=2
	s_or_b32 exec_lo, exec_lo, s41
.LBB4_7439:                             ;   in Loop: Header=BB4_7212 Depth=2
	s_delay_alu instid0(SALU_CYCLE_1)
	s_or_b32 exec_lo, exec_lo, s40
.LBB4_7440:                             ;   in Loop: Header=BB4_7212 Depth=2
	s_delay_alu instid0(SALU_CYCLE_1) | instskip(NEXT) | instid1(VALU_DEP_1)
	s_or_b32 exec_lo, exec_lo, s10
	v_dual_mul_f32 v10, s29, v2 :: v_dual_mov_b32 v21, v37
                                        ; implicit-def: $vgpr40
	s_mov_b32 s10, exec_lo
	s_delay_alu instid0(VALU_DEP_1) | instskip(SKIP_2) | instid1(VALU_DEP_3)
	v_and_b32_e32 v20, 0x7f800000, v10
	v_and_b32_e32 v36, 0x7fffff, v10
	v_lshrrev_b32_e32 v2, 24, v10
	v_cmpx_ne_u64_e32 0x7f800000, v[20:21]
	s_xor_b32 s40, exec_lo, s10
	s_cbranch_execz .LBB4_7454
; %bb.7441:                             ;   in Loop: Header=BB4_7212 Depth=2
	v_and_b32_e32 v20, 0x7fffffff, v10
	v_mov_b32_e32 v21, v37
	v_and_b32_e32 v2, 0x80, v2
                                        ; implicit-def: $vgpr40
	s_mov_b32 s10, exec_lo
	s_delay_alu instid0(VALU_DEP_2)
	v_cmpx_gt_u64_e32 0x47600001, v[20:21]
	s_xor_b32 s41, exec_lo, s10
	s_cbranch_execz .LBB4_7451
; %bb.7442:                             ;   in Loop: Header=BB4_7212 Depth=2
	v_mov_b32_e32 v40, 0
	s_mov_b32 s42, exec_lo
	v_cmpx_ne_u32_e32 0, v10
	s_cbranch_execz .LBB4_7450
; %bb.7443:                             ;   in Loop: Header=BB4_7212 Depth=2
	v_bfe_u32 v20, v10, 23, 8
	v_or_b32_e32 v24, 0x800000, v36
	s_delay_alu instid0(VALU_DEP_2) | instskip(SKIP_1) | instid1(VALU_DEP_2)
	v_dual_mov_b32 v25, v37 :: v_dual_sub_nc_u32 v10, 0x71, v20
	v_cmp_gt_u32_e32 vcc_lo, 0x72, v20
	v_cndmask_b32_e32 v10, 0, v10, vcc_lo
	v_cmp_eq_u32_e32 vcc_lo, 0, v20
	s_delay_alu instid0(VALU_DEP_2) | instskip(NEXT) | instid1(VALU_DEP_1)
	v_cndmask_b32_e64 v21, v10, 0x70, vcc_lo
	v_dual_cndmask_b32 v24, v24, v36, vcc_lo :: v_dual_add_nc_u32 v10, 21, v21
	v_add_nc_u32_e32 v30, 20, v21
	s_delay_alu instid0(VALU_DEP_2) | instskip(NEXT) | instid1(VALU_DEP_2)
	v_lshlrev_b64_e64 v[10:11], v10, -1
	v_lshlrev_b64_e64 v[30:31], v30, 1
	s_delay_alu instid0(VALU_DEP_2) | instskip(NEXT) | instid1(VALU_DEP_3)
	v_bfi_b32 v83, v11, 0, 0
	v_bfi_b32 v82, v10, 0, v24
	v_lshrrev_b64 v[10:11], v21, v[24:25]
	s_delay_alu instid0(VALU_DEP_2) | instskip(NEXT) | instid1(VALU_DEP_2)
	v_cmp_eq_u64_e64 s10, v[82:83], v[30:31]
	v_mov_b64_e32 v[82:83], v[10:11]
	s_and_saveexec_b32 s43, s10
; %bb.7444:                             ;   in Loop: Header=BB4_7212 Depth=2
	v_bfe_u32 v24, v10, 21, 1
	v_mov_b32_e32 v25, v37
	s_delay_alu instid0(VALU_DEP_1) | instskip(NEXT) | instid1(VALU_DEP_1)
	v_add_nc_u64_e32 v[24:25], v[10:11], v[24:25]
	v_add_nc_u64_e32 v[82:83], -1, v[24:25]
; %bb.7445:                             ;   in Loop: Header=BB4_7212 Depth=2
	s_or_b32 exec_lo, exec_lo, s43
	v_add_nc_u32_e32 v11, 0xffffff81, v20
	v_lshrrev_b32_e32 v20, 23, v10
	s_mov_b32 s10, exec_lo
	s_delay_alu instid0(VALU_DEP_2) | instskip(NEXT) | instid1(VALU_DEP_1)
	v_cndmask_b32_e64 v11, v11, 0xffffff82, vcc_lo
	v_add3_u32 v21, v21, v11, v20
	v_and_b32_e32 v11, 0x1fffff, v82
                                        ; implicit-def: $vgpr20
	s_delay_alu instid0(VALU_DEP_1) | instskip(NEXT) | instid1(VALU_DEP_1)
	v_dual_add_nc_u32 v30, 14, v21 :: v_dual_add_nc_u32 v36, v11, v10
                                        ; implicit-def: $vgpr10_vgpr11
	v_cmpx_ne_u32_e32 0, v30
	s_xor_b32 s10, exec_lo, s10
; %bb.7446:                             ;   in Loop: Header=BB4_7212 Depth=2
	s_delay_alu instid0(VALU_DEP_2) | instskip(SKIP_1) | instid1(VALU_DEP_1)
	v_cmp_lt_u64_e32 vcc_lo, 0xffffff, v[36:37]
	v_add_nc_u32_e32 v10, 15, v21
	v_cndmask_b32_e32 v20, v30, v10, vcc_lo
	v_cndmask_b32_e64 v10, 0, 1, vcc_lo
	s_delay_alu instid0(VALU_DEP_1)
	v_lshrrev_b64 v[10:11], v10, v[36:37]
; %bb.7447:                             ;   in Loop: Header=BB4_7212 Depth=2
	s_and_not1_saveexec_b32 s10, s10
; %bb.7448:                             ;   in Loop: Header=BB4_7212 Depth=2
	v_mov_b64_e32 v[10:11], v[36:37]
	v_bfe_u32 v20, v36, 23, 1
; %bb.7449:                             ;   in Loop: Header=BB4_7212 Depth=2
	s_or_b32 exec_lo, exec_lo, s10
	s_delay_alu instid0(VALU_DEP_2) | instskip(NEXT) | instid1(VALU_DEP_2)
	v_lshrrev_b64 v[10:11], 21, v[10:11]
	v_cmp_gt_i32_e32 vcc_lo, 32, v20
	v_min_i32_e32 v21, 31, v20
	v_cmp_eq_u32_e64 s10, 0, v20
	s_delay_alu instid0(VALU_DEP_2) | instskip(SKIP_1) | instid1(VALU_DEP_2)
	v_dual_cndmask_b32 v11, 0, v11, vcc_lo :: v_dual_lshlrev_b32 v21, 2, v21
	v_cndmask_b32_e32 v10, 3, v10, vcc_lo
	v_and_b32_e32 v21, 0xfc, v21
	s_delay_alu instid0(VALU_DEP_2) | instskip(NEXT) | instid1(VALU_DEP_2)
	v_cmp_eq_u64_e32 vcc_lo, 0, v[10:11]
	v_and_or_b32 v10, v10, 3, v21
	s_and_b32 s10, s10, vcc_lo
	s_delay_alu instid0(VALU_DEP_1) | instid1(SALU_CYCLE_1)
	v_cndmask_b32_e64 v10, v10, 0, s10
	s_delay_alu instid0(VALU_DEP_1)
	v_or_b32_e32 v40, v10, v2
.LBB4_7450:                             ;   in Loop: Header=BB4_7212 Depth=2
	s_or_b32 exec_lo, exec_lo, s42
                                        ; implicit-def: $vgpr2
.LBB4_7451:                             ;   in Loop: Header=BB4_7212 Depth=2
	s_and_not1_saveexec_b32 s10, s41
; %bb.7452:                             ;   in Loop: Header=BB4_7212 Depth=2
	v_or_b32_e32 v40, 0x7b, v2
; %bb.7453:                             ;   in Loop: Header=BB4_7212 Depth=2
	s_or_b32 exec_lo, exec_lo, s10
                                        ; implicit-def: $vgpr10
                                        ; implicit-def: $vgpr2
.LBB4_7454:                             ;   in Loop: Header=BB4_7212 Depth=2
	s_and_not1_saveexec_b32 s10, s40
	s_cbranch_execz .LBB4_7460
; %bb.7455:                             ;   in Loop: Header=BB4_7212 Depth=2
	s_mov_b32 s40, exec_lo
                                        ; implicit-def: $vgpr40
	v_cmpx_ne_u64_e32 0, v[36:37]
	s_xor_b32 s40, exec_lo, s40
; %bb.7456:                             ;   in Loop: Header=BB4_7212 Depth=2
	v_or_b32_e32 v40, 0x7f, v2
                                        ; implicit-def: $vgpr10
; %bb.7457:                             ;   in Loop: Header=BB4_7212 Depth=2
	s_and_not1_saveexec_b32 s40, s40
; %bb.7458:                             ;   in Loop: Header=BB4_7212 Depth=2
	v_cmp_lt_i32_e32 vcc_lo, -1, v10
	v_cndmask_b32_e32 v40, 0xfc, v110, vcc_lo
; %bb.7459:                             ;   in Loop: Header=BB4_7212 Depth=2
	s_or_b32 exec_lo, exec_lo, s40
.LBB4_7460:                             ;   in Loop: Header=BB4_7212 Depth=2
	s_delay_alu instid0(SALU_CYCLE_1) | instskip(SKIP_1) | instid1(VALU_DEP_1)
	s_or_b32 exec_lo, exec_lo, s10
	v_and_b32_e32 v2, 0xff, v12
	v_cmp_ne_u16_e32 vcc_lo, 0, v2
	v_mov_b32_e32 v2, 0
	s_and_saveexec_b32 s10, vcc_lo
	s_cbranch_execz .LBB4_7470
; %bb.7461:                             ;   in Loop: Header=BB4_7212 Depth=2
	v_bfe_i32 v11, v12, 0, 8
	v_bfrev_b32_e32 v2, 1
	s_mov_b32 s40, exec_lo
	s_delay_alu instid0(VALU_DEP_2)
	v_cmpx_ne_u16_e32 0xff80, v11
	s_cbranch_execz .LBB4_7469
; %bb.7462:                             ;   in Loop: Header=BB4_7212 Depth=2
	v_and_b32_e32 v2, 0x7c, v12
	v_and_b32_e32 v10, 3, v12
	s_delay_alu instid0(VALU_DEP_2) | instskip(SKIP_1) | instid1(SALU_CYCLE_1)
	v_cmp_ne_u32_e32 vcc_lo, 0x7c, v2
                                        ; implicit-def: $vgpr2
	s_and_saveexec_b32 s41, vcc_lo
	s_xor_b32 s41, exec_lo, s41
	s_cbranch_execz .LBB4_7466
; %bb.7463:                             ;   in Loop: Header=BB4_7212 Depth=2
	v_bfe_u32 v2, v12, 2, 5
	s_mov_b32 s42, exec_lo
	s_delay_alu instid0(VALU_DEP_1)
	v_cmpx_eq_u32_e32 0, v2
; %bb.7464:                             ;   in Loop: Header=BB4_7212 Depth=2
	v_clz_i32_u32_e32 v2, v10
	s_delay_alu instid0(VALU_DEP_1) | instskip(NEXT) | instid1(VALU_DEP_1)
	v_min_u32_e32 v2, 32, v2
	v_subrev_nc_u32_e32 v10, 29, v2
	v_sub_nc_u32_e32 v2, 30, v2
	s_delay_alu instid0(VALU_DEP_2) | instskip(NEXT) | instid1(VALU_DEP_1)
	v_lshlrev_b64_e32 v[10:11], v10, v[12:13]
	v_and_b32_e32 v10, 3, v10
; %bb.7465:                             ;   in Loop: Header=BB4_7212 Depth=2
	s_or_b32 exec_lo, exec_lo, s42
	v_lshlrev_b32_e32 v11, 24, v12
	s_delay_alu instid0(VALU_DEP_1) | instskip(NEXT) | instid1(VALU_DEP_1)
	v_and_b32_e32 v11, 0x80000000, v11
	v_lshl_add_u32 v2, v2, 23, v11
                                        ; implicit-def: $vgpr11
	s_delay_alu instid0(VALU_DEP_1) | instskip(NEXT) | instid1(VALU_DEP_1)
	v_lshl_or_b32 v2, v10, 21, v2
                                        ; implicit-def: $vgpr10
	v_add_nc_u32_e32 v2, 0x38000000, v2
.LBB4_7466:                             ;   in Loop: Header=BB4_7212 Depth=2
	s_and_not1_saveexec_b32 s41, s41
; %bb.7467:                             ;   in Loop: Header=BB4_7212 Depth=2
	v_cmp_lt_i16_e32 vcc_lo, -1, v11
	v_cndmask_b32_e32 v2, 0xff800000, v109, vcc_lo
	v_cmp_eq_u32_e32 vcc_lo, 0, v10
	s_delay_alu instid0(VALU_DEP_2)
	v_cndmask_b32_e32 v2, 0x7f800001, v2, vcc_lo
; %bb.7468:                             ;   in Loop: Header=BB4_7212 Depth=2
	s_or_b32 exec_lo, exec_lo, s41
.LBB4_7469:                             ;   in Loop: Header=BB4_7212 Depth=2
	s_delay_alu instid0(SALU_CYCLE_1)
	s_or_b32 exec_lo, exec_lo, s40
.LBB4_7470:                             ;   in Loop: Header=BB4_7212 Depth=2
	s_delay_alu instid0(SALU_CYCLE_1) | instskip(NEXT) | instid1(VALU_DEP_1)
	s_or_b32 exec_lo, exec_lo, s10
	v_dual_mul_f32 v10, s29, v2 :: v_dual_mov_b32 v21, v37
                                        ; implicit-def: $vgpr101
	s_mov_b32 s10, exec_lo
	s_delay_alu instid0(VALU_DEP_1) | instskip(SKIP_2) | instid1(VALU_DEP_3)
	v_and_b32_e32 v20, 0x7f800000, v10
	v_and_b32_e32 v36, 0x7fffff, v10
	v_lshrrev_b32_e32 v2, 24, v10
	v_cmpx_ne_u64_e32 0x7f800000, v[20:21]
	s_xor_b32 s40, exec_lo, s10
	s_cbranch_execz .LBB4_7484
; %bb.7471:                             ;   in Loop: Header=BB4_7212 Depth=2
	v_and_b32_e32 v20, 0x7fffffff, v10
	v_mov_b32_e32 v21, v37
	v_and_b32_e32 v2, 0x80, v2
                                        ; implicit-def: $vgpr101
	s_mov_b32 s10, exec_lo
	s_delay_alu instid0(VALU_DEP_2)
	v_cmpx_gt_u64_e32 0x47600001, v[20:21]
	s_xor_b32 s41, exec_lo, s10
	s_cbranch_execz .LBB4_7481
; %bb.7472:                             ;   in Loop: Header=BB4_7212 Depth=2
	v_mov_b32_e32 v101, 0
	s_mov_b32 s42, exec_lo
	v_cmpx_ne_u32_e32 0, v10
	s_cbranch_execz .LBB4_7480
; %bb.7473:                             ;   in Loop: Header=BB4_7212 Depth=2
	v_bfe_u32 v20, v10, 23, 8
	v_or_b32_e32 v24, 0x800000, v36
	s_delay_alu instid0(VALU_DEP_2) | instskip(SKIP_1) | instid1(VALU_DEP_2)
	v_dual_mov_b32 v25, v37 :: v_dual_sub_nc_u32 v10, 0x71, v20
	v_cmp_gt_u32_e32 vcc_lo, 0x72, v20
	v_cndmask_b32_e32 v10, 0, v10, vcc_lo
	v_cmp_eq_u32_e32 vcc_lo, 0, v20
	s_delay_alu instid0(VALU_DEP_2) | instskip(NEXT) | instid1(VALU_DEP_1)
	v_cndmask_b32_e64 v21, v10, 0x70, vcc_lo
	v_dual_cndmask_b32 v24, v24, v36, vcc_lo :: v_dual_add_nc_u32 v10, 21, v21
	v_add_nc_u32_e32 v30, 20, v21
	s_delay_alu instid0(VALU_DEP_2) | instskip(NEXT) | instid1(VALU_DEP_2)
	v_lshlrev_b64_e64 v[10:11], v10, -1
	v_lshlrev_b64_e64 v[30:31], v30, 1
	s_delay_alu instid0(VALU_DEP_2) | instskip(NEXT) | instid1(VALU_DEP_3)
	v_bfi_b32 v83, v11, 0, 0
	v_bfi_b32 v82, v10, 0, v24
	v_lshrrev_b64 v[10:11], v21, v[24:25]
	s_delay_alu instid0(VALU_DEP_2) | instskip(NEXT) | instid1(VALU_DEP_2)
	v_cmp_eq_u64_e64 s10, v[82:83], v[30:31]
	v_mov_b64_e32 v[82:83], v[10:11]
	s_and_saveexec_b32 s43, s10
; %bb.7474:                             ;   in Loop: Header=BB4_7212 Depth=2
	v_bfe_u32 v24, v10, 21, 1
	v_mov_b32_e32 v25, v37
	s_delay_alu instid0(VALU_DEP_1) | instskip(NEXT) | instid1(VALU_DEP_1)
	v_add_nc_u64_e32 v[24:25], v[10:11], v[24:25]
	v_add_nc_u64_e32 v[82:83], -1, v[24:25]
; %bb.7475:                             ;   in Loop: Header=BB4_7212 Depth=2
	s_or_b32 exec_lo, exec_lo, s43
	v_add_nc_u32_e32 v11, 0xffffff81, v20
	v_lshrrev_b32_e32 v20, 23, v10
	s_mov_b32 s10, exec_lo
	s_delay_alu instid0(VALU_DEP_2) | instskip(NEXT) | instid1(VALU_DEP_1)
	v_cndmask_b32_e64 v11, v11, 0xffffff82, vcc_lo
	v_add3_u32 v21, v21, v11, v20
	v_and_b32_e32 v11, 0x1fffff, v82
                                        ; implicit-def: $vgpr20
	s_delay_alu instid0(VALU_DEP_1) | instskip(NEXT) | instid1(VALU_DEP_1)
	v_dual_add_nc_u32 v30, 14, v21 :: v_dual_add_nc_u32 v36, v11, v10
                                        ; implicit-def: $vgpr10_vgpr11
	v_cmpx_ne_u32_e32 0, v30
	s_xor_b32 s10, exec_lo, s10
; %bb.7476:                             ;   in Loop: Header=BB4_7212 Depth=2
	s_delay_alu instid0(VALU_DEP_2) | instskip(SKIP_1) | instid1(VALU_DEP_1)
	v_cmp_lt_u64_e32 vcc_lo, 0xffffff, v[36:37]
	v_add_nc_u32_e32 v10, 15, v21
	v_cndmask_b32_e32 v20, v30, v10, vcc_lo
	v_cndmask_b32_e64 v10, 0, 1, vcc_lo
	s_delay_alu instid0(VALU_DEP_1)
	v_lshrrev_b64 v[10:11], v10, v[36:37]
; %bb.7477:                             ;   in Loop: Header=BB4_7212 Depth=2
	s_and_not1_saveexec_b32 s10, s10
; %bb.7478:                             ;   in Loop: Header=BB4_7212 Depth=2
	v_mov_b64_e32 v[10:11], v[36:37]
	v_bfe_u32 v20, v36, 23, 1
; %bb.7479:                             ;   in Loop: Header=BB4_7212 Depth=2
	s_or_b32 exec_lo, exec_lo, s10
	s_delay_alu instid0(VALU_DEP_2) | instskip(NEXT) | instid1(VALU_DEP_2)
	v_lshrrev_b64 v[10:11], 21, v[10:11]
	v_cmp_gt_i32_e32 vcc_lo, 32, v20
	v_min_i32_e32 v21, 31, v20
	v_cmp_eq_u32_e64 s10, 0, v20
	s_delay_alu instid0(VALU_DEP_2) | instskip(SKIP_1) | instid1(VALU_DEP_2)
	v_dual_cndmask_b32 v11, 0, v11, vcc_lo :: v_dual_lshlrev_b32 v21, 2, v21
	v_cndmask_b32_e32 v10, 3, v10, vcc_lo
	v_and_b32_e32 v21, 0xfc, v21
	s_delay_alu instid0(VALU_DEP_2) | instskip(NEXT) | instid1(VALU_DEP_2)
	v_cmp_eq_u64_e32 vcc_lo, 0, v[10:11]
	v_and_or_b32 v10, v10, 3, v21
	s_and_b32 s10, s10, vcc_lo
	s_delay_alu instid0(VALU_DEP_1) | instid1(SALU_CYCLE_1)
	v_cndmask_b32_e64 v10, v10, 0, s10
	s_delay_alu instid0(VALU_DEP_1)
	v_or_b32_e32 v101, v10, v2
.LBB4_7480:                             ;   in Loop: Header=BB4_7212 Depth=2
	s_or_b32 exec_lo, exec_lo, s42
                                        ; implicit-def: $vgpr2
.LBB4_7481:                             ;   in Loop: Header=BB4_7212 Depth=2
	s_and_not1_saveexec_b32 s10, s41
; %bb.7482:                             ;   in Loop: Header=BB4_7212 Depth=2
	v_or_b32_e32 v101, 0x7b, v2
; %bb.7483:                             ;   in Loop: Header=BB4_7212 Depth=2
	s_or_b32 exec_lo, exec_lo, s10
                                        ; implicit-def: $vgpr10
                                        ; implicit-def: $vgpr2
.LBB4_7484:                             ;   in Loop: Header=BB4_7212 Depth=2
	s_and_not1_saveexec_b32 s10, s40
	s_cbranch_execz .LBB4_7490
; %bb.7485:                             ;   in Loop: Header=BB4_7212 Depth=2
	s_mov_b32 s40, exec_lo
                                        ; implicit-def: $vgpr101
	v_cmpx_ne_u64_e32 0, v[36:37]
	s_xor_b32 s40, exec_lo, s40
; %bb.7486:                             ;   in Loop: Header=BB4_7212 Depth=2
	v_or_b32_e32 v101, 0x7f, v2
                                        ; implicit-def: $vgpr10
; %bb.7487:                             ;   in Loop: Header=BB4_7212 Depth=2
	s_and_not1_saveexec_b32 s40, s40
; %bb.7488:                             ;   in Loop: Header=BB4_7212 Depth=2
	v_cmp_lt_i32_e32 vcc_lo, -1, v10
	v_cndmask_b32_e32 v101, 0xfc, v110, vcc_lo
; %bb.7489:                             ;   in Loop: Header=BB4_7212 Depth=2
	s_or_b32 exec_lo, exec_lo, s40
.LBB4_7490:                             ;   in Loop: Header=BB4_7212 Depth=2
	s_delay_alu instid0(SALU_CYCLE_1) | instskip(SKIP_3) | instid1(VALU_DEP_2)
	s_or_b32 exec_lo, exec_lo, s10
	v_lshrrev_b16 v10, 8, v12
	v_mov_b32_e32 v11, 0
	s_mov_b32 s10, exec_lo
	v_cmpx_ne_u16_e32 0, v10
	s_cbranch_execz .LBB4_7500
; %bb.7491:                             ;   in Loop: Header=BB4_7212 Depth=2
	v_bfrev_b32_e32 v11, 1
	s_mov_b32 s40, exec_lo
	v_cmpx_ne_u16_e32 0x80, v10
	s_cbranch_execz .LBB4_7499
; %bb.7492:                             ;   in Loop: Header=BB4_7212 Depth=2
	v_and_b32_e32 v20, 0xffff, v10
	s_delay_alu instid0(VALU_DEP_1) | instskip(SKIP_1) | instid1(VALU_DEP_2)
	v_and_b32_e32 v11, 0x7c, v20
	v_and_b32_e32 v2, 3, v20
	v_cmp_ne_u32_e32 vcc_lo, 0x7c, v11
                                        ; implicit-def: $vgpr11
	s_and_saveexec_b32 s41, vcc_lo
	s_delay_alu instid0(SALU_CYCLE_1)
	s_xor_b32 s41, exec_lo, s41
	s_cbranch_execz .LBB4_7496
; %bb.7493:                             ;   in Loop: Header=BB4_7212 Depth=2
	v_bfe_u32 v11, v20, 2, 5
	s_mov_b32 s42, exec_lo
	s_delay_alu instid0(VALU_DEP_1)
	v_cmpx_eq_u32_e32 0, v11
	s_cbranch_execz .LBB4_7495
; %bb.7494:                             ;   in Loop: Header=BB4_7212 Depth=2
	v_clz_i32_u32_e32 v2, v2
	v_mov_b32_e32 v11, v37
	s_delay_alu instid0(VALU_DEP_2) | instskip(NEXT) | instid1(VALU_DEP_1)
	v_min_u32_e32 v2, 32, v2
	v_subrev_nc_u32_e32 v20, 29, v2
	s_delay_alu instid0(VALU_DEP_1) | instskip(SKIP_1) | instid1(VALU_DEP_2)
	v_lshlrev_b64_e32 v[10:11], v20, v[10:11]
	v_sub_nc_u32_e32 v11, 30, v2
	v_and_b32_e32 v2, 3, v10
.LBB4_7495:                             ;   in Loop: Header=BB4_7212 Depth=2
	s_or_b32 exec_lo, exec_lo, s42
	v_lshlrev_b32_e32 v10, 16, v12
	s_delay_alu instid0(VALU_DEP_1) | instskip(NEXT) | instid1(VALU_DEP_1)
	v_and_b32_e32 v10, 0x80000000, v10
	v_lshl_add_u32 v10, v11, 23, v10
	s_delay_alu instid0(VALU_DEP_1) | instskip(NEXT) | instid1(VALU_DEP_1)
	v_lshl_or_b32 v2, v2, 21, v10
	v_add_nc_u32_e32 v11, 0x38000000, v2
                                        ; implicit-def: $vgpr2
.LBB4_7496:                             ;   in Loop: Header=BB4_7212 Depth=2
	s_and_not1_saveexec_b32 s41, s41
; %bb.7497:                             ;   in Loop: Header=BB4_7212 Depth=2
	v_cmp_lt_i16_e32 vcc_lo, -1, v12
	v_cndmask_b32_e32 v10, 0xff800000, v109, vcc_lo
	v_cmp_eq_u32_e32 vcc_lo, 0, v2
	s_delay_alu instid0(VALU_DEP_2)
	v_cndmask_b32_e32 v11, 0x7f800001, v10, vcc_lo
; %bb.7498:                             ;   in Loop: Header=BB4_7212 Depth=2
	s_or_b32 exec_lo, exec_lo, s41
.LBB4_7499:                             ;   in Loop: Header=BB4_7212 Depth=2
	s_delay_alu instid0(SALU_CYCLE_1)
	s_or_b32 exec_lo, exec_lo, s40
.LBB4_7500:                             ;   in Loop: Header=BB4_7212 Depth=2
	s_delay_alu instid0(SALU_CYCLE_1) | instskip(NEXT) | instid1(VALU_DEP_1)
	s_or_b32 exec_lo, exec_lo, s10
	v_dual_mul_f32 v10, s29, v11 :: v_dual_mov_b32 v21, v37
                                        ; implicit-def: $vgpr113
	s_mov_b32 s10, exec_lo
	s_delay_alu instid0(VALU_DEP_1) | instskip(SKIP_2) | instid1(VALU_DEP_3)
	v_and_b32_e32 v20, 0x7f800000, v10
	v_and_b32_e32 v36, 0x7fffff, v10
	v_lshrrev_b32_e32 v2, 24, v10
	v_cmpx_ne_u64_e32 0x7f800000, v[20:21]
	s_xor_b32 s40, exec_lo, s10
	s_cbranch_execz .LBB4_7514
; %bb.7501:                             ;   in Loop: Header=BB4_7212 Depth=2
	v_and_b32_e32 v20, 0x7fffffff, v10
	v_mov_b32_e32 v21, v37
	v_and_b32_e32 v2, 0x80, v2
                                        ; implicit-def: $vgpr113
	s_mov_b32 s10, exec_lo
	s_delay_alu instid0(VALU_DEP_2)
	v_cmpx_gt_u64_e32 0x47600001, v[20:21]
	s_xor_b32 s41, exec_lo, s10
	s_cbranch_execz .LBB4_7511
; %bb.7502:                             ;   in Loop: Header=BB4_7212 Depth=2
	v_mov_b32_e32 v113, 0
	s_mov_b32 s42, exec_lo
	v_cmpx_ne_u32_e32 0, v10
	s_cbranch_execz .LBB4_7510
; %bb.7503:                             ;   in Loop: Header=BB4_7212 Depth=2
	v_bfe_u32 v20, v10, 23, 8
	v_or_b32_e32 v24, 0x800000, v36
	s_delay_alu instid0(VALU_DEP_2) | instskip(SKIP_1) | instid1(VALU_DEP_2)
	v_dual_mov_b32 v25, v37 :: v_dual_sub_nc_u32 v10, 0x71, v20
	v_cmp_gt_u32_e32 vcc_lo, 0x72, v20
	v_cndmask_b32_e32 v10, 0, v10, vcc_lo
	v_cmp_eq_u32_e32 vcc_lo, 0, v20
	s_delay_alu instid0(VALU_DEP_2) | instskip(NEXT) | instid1(VALU_DEP_1)
	v_cndmask_b32_e64 v21, v10, 0x70, vcc_lo
	v_dual_cndmask_b32 v24, v24, v36, vcc_lo :: v_dual_add_nc_u32 v10, 21, v21
	v_add_nc_u32_e32 v30, 20, v21
	s_delay_alu instid0(VALU_DEP_2) | instskip(NEXT) | instid1(VALU_DEP_2)
	v_lshlrev_b64_e64 v[10:11], v10, -1
	v_lshlrev_b64_e64 v[30:31], v30, 1
	s_delay_alu instid0(VALU_DEP_2) | instskip(NEXT) | instid1(VALU_DEP_3)
	v_bfi_b32 v83, v11, 0, 0
	v_bfi_b32 v82, v10, 0, v24
	v_lshrrev_b64 v[10:11], v21, v[24:25]
	s_delay_alu instid0(VALU_DEP_2) | instskip(NEXT) | instid1(VALU_DEP_2)
	v_cmp_eq_u64_e64 s10, v[82:83], v[30:31]
	v_mov_b64_e32 v[82:83], v[10:11]
	s_and_saveexec_b32 s43, s10
; %bb.7504:                             ;   in Loop: Header=BB4_7212 Depth=2
	v_bfe_u32 v24, v10, 21, 1
	v_mov_b32_e32 v25, v37
	s_delay_alu instid0(VALU_DEP_1) | instskip(NEXT) | instid1(VALU_DEP_1)
	v_add_nc_u64_e32 v[24:25], v[10:11], v[24:25]
	v_add_nc_u64_e32 v[82:83], -1, v[24:25]
; %bb.7505:                             ;   in Loop: Header=BB4_7212 Depth=2
	s_or_b32 exec_lo, exec_lo, s43
	v_add_nc_u32_e32 v11, 0xffffff81, v20
	v_lshrrev_b32_e32 v20, 23, v10
	s_mov_b32 s10, exec_lo
	s_delay_alu instid0(VALU_DEP_2) | instskip(NEXT) | instid1(VALU_DEP_1)
	v_cndmask_b32_e64 v11, v11, 0xffffff82, vcc_lo
	v_add3_u32 v21, v21, v11, v20
	v_and_b32_e32 v11, 0x1fffff, v82
                                        ; implicit-def: $vgpr20
	s_delay_alu instid0(VALU_DEP_1) | instskip(NEXT) | instid1(VALU_DEP_1)
	v_dual_add_nc_u32 v30, 14, v21 :: v_dual_add_nc_u32 v36, v11, v10
                                        ; implicit-def: $vgpr10_vgpr11
	v_cmpx_ne_u32_e32 0, v30
	s_xor_b32 s10, exec_lo, s10
; %bb.7506:                             ;   in Loop: Header=BB4_7212 Depth=2
	s_delay_alu instid0(VALU_DEP_2) | instskip(SKIP_1) | instid1(VALU_DEP_1)
	v_cmp_lt_u64_e32 vcc_lo, 0xffffff, v[36:37]
	v_add_nc_u32_e32 v10, 15, v21
	v_cndmask_b32_e32 v20, v30, v10, vcc_lo
	v_cndmask_b32_e64 v10, 0, 1, vcc_lo
	s_delay_alu instid0(VALU_DEP_1)
	v_lshrrev_b64 v[10:11], v10, v[36:37]
; %bb.7507:                             ;   in Loop: Header=BB4_7212 Depth=2
	s_and_not1_saveexec_b32 s10, s10
; %bb.7508:                             ;   in Loop: Header=BB4_7212 Depth=2
	v_mov_b64_e32 v[10:11], v[36:37]
	v_bfe_u32 v20, v36, 23, 1
; %bb.7509:                             ;   in Loop: Header=BB4_7212 Depth=2
	s_or_b32 exec_lo, exec_lo, s10
	s_delay_alu instid0(VALU_DEP_2) | instskip(NEXT) | instid1(VALU_DEP_2)
	v_lshrrev_b64 v[10:11], 21, v[10:11]
	v_cmp_gt_i32_e32 vcc_lo, 32, v20
	v_min_i32_e32 v21, 31, v20
	v_cmp_eq_u32_e64 s10, 0, v20
	s_delay_alu instid0(VALU_DEP_2) | instskip(SKIP_1) | instid1(VALU_DEP_2)
	v_dual_cndmask_b32 v11, 0, v11, vcc_lo :: v_dual_lshlrev_b32 v21, 2, v21
	v_cndmask_b32_e32 v10, 3, v10, vcc_lo
	v_and_b32_e32 v21, 0xfc, v21
	s_delay_alu instid0(VALU_DEP_2) | instskip(NEXT) | instid1(VALU_DEP_2)
	v_cmp_eq_u64_e32 vcc_lo, 0, v[10:11]
	v_and_or_b32 v10, v10, 3, v21
	s_and_b32 s10, s10, vcc_lo
	s_delay_alu instid0(VALU_DEP_1) | instid1(SALU_CYCLE_1)
	v_cndmask_b32_e64 v10, v10, 0, s10
	s_delay_alu instid0(VALU_DEP_1)
	v_or_b32_e32 v113, v10, v2
.LBB4_7510:                             ;   in Loop: Header=BB4_7212 Depth=2
	s_or_b32 exec_lo, exec_lo, s42
                                        ; implicit-def: $vgpr2
.LBB4_7511:                             ;   in Loop: Header=BB4_7212 Depth=2
	s_and_not1_saveexec_b32 s10, s41
; %bb.7512:                             ;   in Loop: Header=BB4_7212 Depth=2
	v_or_b32_e32 v113, 0x7b, v2
; %bb.7513:                             ;   in Loop: Header=BB4_7212 Depth=2
	s_or_b32 exec_lo, exec_lo, s10
                                        ; implicit-def: $vgpr10
                                        ; implicit-def: $vgpr2
.LBB4_7514:                             ;   in Loop: Header=BB4_7212 Depth=2
	s_and_not1_saveexec_b32 s10, s40
	s_cbranch_execz .LBB4_7520
; %bb.7515:                             ;   in Loop: Header=BB4_7212 Depth=2
	s_mov_b32 s40, exec_lo
                                        ; implicit-def: $vgpr113
	v_cmpx_ne_u64_e32 0, v[36:37]
	s_xor_b32 s40, exec_lo, s40
; %bb.7516:                             ;   in Loop: Header=BB4_7212 Depth=2
	v_or_b32_e32 v113, 0x7f, v2
                                        ; implicit-def: $vgpr10
; %bb.7517:                             ;   in Loop: Header=BB4_7212 Depth=2
	s_and_not1_saveexec_b32 s40, s40
; %bb.7518:                             ;   in Loop: Header=BB4_7212 Depth=2
	v_cmp_lt_i32_e32 vcc_lo, -1, v10
	v_cndmask_b32_e32 v113, 0xfc, v110, vcc_lo
; %bb.7519:                             ;   in Loop: Header=BB4_7212 Depth=2
	s_or_b32 exec_lo, exec_lo, s40
.LBB4_7520:                             ;   in Loop: Header=BB4_7212 Depth=2
	s_delay_alu instid0(SALU_CYCLE_1) | instskip(SKIP_2) | instid1(VALU_DEP_1)
	s_or_b32 exec_lo, exec_lo, s10
	v_dual_lshrrev_b32 v10, 16, v12 :: v_dual_mov_b32 v2, 0
	s_mov_b32 s10, exec_lo
	v_and_b32_e32 v11, 0xff, v10
	s_delay_alu instid0(VALU_DEP_1)
	v_cmpx_ne_u16_e32 0, v11
	s_cbranch_execz .LBB4_7530
; %bb.7521:                             ;   in Loop: Header=BB4_7212 Depth=2
	v_bfrev_b32_e32 v2, 1
	s_mov_b32 s40, exec_lo
	v_cmpx_ne_u16_e32 0x80, v11
	s_cbranch_execz .LBB4_7529
; %bb.7522:                             ;   in Loop: Header=BB4_7212 Depth=2
	v_and_b32_e32 v2, 0x7c0000, v12
	v_bfe_u32 v11, v12, 16, 2
	s_delay_alu instid0(VALU_DEP_2) | instskip(SKIP_1) | instid1(SALU_CYCLE_1)
	v_cmp_ne_u32_e32 vcc_lo, 0x7c0000, v2
                                        ; implicit-def: $vgpr2
	s_and_saveexec_b32 s41, vcc_lo
	s_xor_b32 s41, exec_lo, s41
	s_cbranch_execz .LBB4_7526
; %bb.7523:                             ;   in Loop: Header=BB4_7212 Depth=2
	v_bfe_u32 v2, v12, 18, 5
	s_mov_b32 s42, exec_lo
	s_delay_alu instid0(VALU_DEP_1)
	v_cmpx_eq_u32_e32 0, v2
; %bb.7524:                             ;   in Loop: Header=BB4_7212 Depth=2
	v_clz_i32_u32_e32 v2, v11
	s_delay_alu instid0(VALU_DEP_1) | instskip(NEXT) | instid1(VALU_DEP_1)
	v_min_u32_e32 v2, 32, v2
	v_subrev_nc_u32_e32 v11, 29, v2
	s_delay_alu instid0(VALU_DEP_1) | instskip(NEXT) | instid1(VALU_DEP_1)
	v_lshlrev_b64_e32 v[20:21], v11, v[10:11]
	v_dual_sub_nc_u32 v2, 30, v2 :: v_dual_bitop2_b32 v11, 3, v20 bitop3:0x40
; %bb.7525:                             ;   in Loop: Header=BB4_7212 Depth=2
	s_or_b32 exec_lo, exec_lo, s42
	v_lshlrev_b32_e32 v10, 24, v10
	s_delay_alu instid0(VALU_DEP_1) | instskip(NEXT) | instid1(VALU_DEP_1)
	v_and_b32_e32 v10, 0x80000000, v10
	v_lshl_add_u32 v2, v2, 23, v10
                                        ; implicit-def: $vgpr10
	s_delay_alu instid0(VALU_DEP_1) | instskip(NEXT) | instid1(VALU_DEP_1)
	v_lshl_or_b32 v2, v11, 21, v2
                                        ; implicit-def: $vgpr11
	v_add_nc_u32_e32 v2, 0x38000000, v2
.LBB4_7526:                             ;   in Loop: Header=BB4_7212 Depth=2
	s_and_not1_saveexec_b32 s41, s41
; %bb.7527:                             ;   in Loop: Header=BB4_7212 Depth=2
	v_bfe_i32 v2, v10, 0, 8
	s_delay_alu instid0(VALU_DEP_1) | instskip(SKIP_2) | instid1(VALU_DEP_2)
	v_cmp_lt_i16_e32 vcc_lo, -1, v2
	v_cndmask_b32_e32 v2, 0xff800000, v109, vcc_lo
	v_cmp_eq_u32_e32 vcc_lo, 0, v11
	v_cndmask_b32_e32 v2, 0x7f800001, v2, vcc_lo
; %bb.7528:                             ;   in Loop: Header=BB4_7212 Depth=2
	s_or_b32 exec_lo, exec_lo, s41
.LBB4_7529:                             ;   in Loop: Header=BB4_7212 Depth=2
	s_delay_alu instid0(SALU_CYCLE_1)
	s_or_b32 exec_lo, exec_lo, s40
.LBB4_7530:                             ;   in Loop: Header=BB4_7212 Depth=2
	s_delay_alu instid0(SALU_CYCLE_1) | instskip(NEXT) | instid1(VALU_DEP_1)
	s_or_b32 exec_lo, exec_lo, s10
	v_dual_mul_f32 v10, s29, v2 :: v_dual_mov_b32 v21, v37
                                        ; implicit-def: $vgpr116
	s_mov_b32 s10, exec_lo
	s_delay_alu instid0(VALU_DEP_1) | instskip(SKIP_2) | instid1(VALU_DEP_3)
	v_and_b32_e32 v20, 0x7f800000, v10
	v_and_b32_e32 v36, 0x7fffff, v10
	v_lshrrev_b32_e32 v2, 24, v10
	v_cmpx_ne_u64_e32 0x7f800000, v[20:21]
	s_xor_b32 s40, exec_lo, s10
	s_cbranch_execz .LBB4_7544
; %bb.7531:                             ;   in Loop: Header=BB4_7212 Depth=2
	v_and_b32_e32 v20, 0x7fffffff, v10
	v_mov_b32_e32 v21, v37
	v_and_b32_e32 v2, 0x80, v2
                                        ; implicit-def: $vgpr116
	s_mov_b32 s10, exec_lo
	s_delay_alu instid0(VALU_DEP_2)
	v_cmpx_gt_u64_e32 0x47600001, v[20:21]
	s_xor_b32 s41, exec_lo, s10
	s_cbranch_execz .LBB4_7541
; %bb.7532:                             ;   in Loop: Header=BB4_7212 Depth=2
	v_mov_b32_e32 v116, 0
	s_mov_b32 s42, exec_lo
	v_cmpx_ne_u32_e32 0, v10
	s_cbranch_execz .LBB4_7540
; %bb.7533:                             ;   in Loop: Header=BB4_7212 Depth=2
	v_bfe_u32 v20, v10, 23, 8
	v_or_b32_e32 v24, 0x800000, v36
	s_delay_alu instid0(VALU_DEP_2) | instskip(SKIP_1) | instid1(VALU_DEP_2)
	v_dual_mov_b32 v25, v37 :: v_dual_sub_nc_u32 v10, 0x71, v20
	v_cmp_gt_u32_e32 vcc_lo, 0x72, v20
	v_cndmask_b32_e32 v10, 0, v10, vcc_lo
	v_cmp_eq_u32_e32 vcc_lo, 0, v20
	s_delay_alu instid0(VALU_DEP_2) | instskip(NEXT) | instid1(VALU_DEP_1)
	v_cndmask_b32_e64 v21, v10, 0x70, vcc_lo
	v_dual_cndmask_b32 v24, v24, v36, vcc_lo :: v_dual_add_nc_u32 v10, 21, v21
	v_add_nc_u32_e32 v30, 20, v21
	s_delay_alu instid0(VALU_DEP_2) | instskip(NEXT) | instid1(VALU_DEP_2)
	v_lshlrev_b64_e64 v[10:11], v10, -1
	v_lshlrev_b64_e64 v[30:31], v30, 1
	s_delay_alu instid0(VALU_DEP_2) | instskip(NEXT) | instid1(VALU_DEP_3)
	v_bfi_b32 v83, v11, 0, 0
	v_bfi_b32 v82, v10, 0, v24
	v_lshrrev_b64 v[10:11], v21, v[24:25]
	s_delay_alu instid0(VALU_DEP_2) | instskip(NEXT) | instid1(VALU_DEP_2)
	v_cmp_eq_u64_e64 s10, v[82:83], v[30:31]
	v_mov_b64_e32 v[82:83], v[10:11]
	s_and_saveexec_b32 s43, s10
; %bb.7534:                             ;   in Loop: Header=BB4_7212 Depth=2
	v_bfe_u32 v24, v10, 21, 1
	v_mov_b32_e32 v25, v37
	s_delay_alu instid0(VALU_DEP_1) | instskip(NEXT) | instid1(VALU_DEP_1)
	v_add_nc_u64_e32 v[24:25], v[10:11], v[24:25]
	v_add_nc_u64_e32 v[82:83], -1, v[24:25]
; %bb.7535:                             ;   in Loop: Header=BB4_7212 Depth=2
	s_or_b32 exec_lo, exec_lo, s43
	v_add_nc_u32_e32 v11, 0xffffff81, v20
	v_lshrrev_b32_e32 v20, 23, v10
	s_mov_b32 s10, exec_lo
	s_delay_alu instid0(VALU_DEP_2) | instskip(NEXT) | instid1(VALU_DEP_1)
	v_cndmask_b32_e64 v11, v11, 0xffffff82, vcc_lo
	v_add3_u32 v21, v21, v11, v20
	v_and_b32_e32 v11, 0x1fffff, v82
                                        ; implicit-def: $vgpr20
	s_delay_alu instid0(VALU_DEP_1) | instskip(NEXT) | instid1(VALU_DEP_1)
	v_dual_add_nc_u32 v30, 14, v21 :: v_dual_add_nc_u32 v36, v11, v10
                                        ; implicit-def: $vgpr10_vgpr11
	v_cmpx_ne_u32_e32 0, v30
	s_xor_b32 s10, exec_lo, s10
; %bb.7536:                             ;   in Loop: Header=BB4_7212 Depth=2
	s_delay_alu instid0(VALU_DEP_2) | instskip(SKIP_1) | instid1(VALU_DEP_1)
	v_cmp_lt_u64_e32 vcc_lo, 0xffffff, v[36:37]
	v_add_nc_u32_e32 v10, 15, v21
	v_cndmask_b32_e32 v20, v30, v10, vcc_lo
	v_cndmask_b32_e64 v10, 0, 1, vcc_lo
	s_delay_alu instid0(VALU_DEP_1)
	v_lshrrev_b64 v[10:11], v10, v[36:37]
; %bb.7537:                             ;   in Loop: Header=BB4_7212 Depth=2
	s_and_not1_saveexec_b32 s10, s10
; %bb.7538:                             ;   in Loop: Header=BB4_7212 Depth=2
	v_mov_b64_e32 v[10:11], v[36:37]
	v_bfe_u32 v20, v36, 23, 1
; %bb.7539:                             ;   in Loop: Header=BB4_7212 Depth=2
	s_or_b32 exec_lo, exec_lo, s10
	s_delay_alu instid0(VALU_DEP_2) | instskip(NEXT) | instid1(VALU_DEP_2)
	v_lshrrev_b64 v[10:11], 21, v[10:11]
	v_cmp_gt_i32_e32 vcc_lo, 32, v20
	v_min_i32_e32 v21, 31, v20
	v_cmp_eq_u32_e64 s10, 0, v20
	s_delay_alu instid0(VALU_DEP_2) | instskip(SKIP_1) | instid1(VALU_DEP_2)
	v_dual_cndmask_b32 v11, 0, v11, vcc_lo :: v_dual_lshlrev_b32 v21, 2, v21
	v_cndmask_b32_e32 v10, 3, v10, vcc_lo
	v_and_b32_e32 v21, 0xfc, v21
	s_delay_alu instid0(VALU_DEP_2) | instskip(NEXT) | instid1(VALU_DEP_2)
	v_cmp_eq_u64_e32 vcc_lo, 0, v[10:11]
	v_and_or_b32 v10, v10, 3, v21
	s_and_b32 s10, s10, vcc_lo
	s_delay_alu instid0(VALU_DEP_1) | instid1(SALU_CYCLE_1)
	v_cndmask_b32_e64 v10, v10, 0, s10
	s_delay_alu instid0(VALU_DEP_1)
	v_or_b32_e32 v116, v10, v2
.LBB4_7540:                             ;   in Loop: Header=BB4_7212 Depth=2
	s_or_b32 exec_lo, exec_lo, s42
                                        ; implicit-def: $vgpr2
.LBB4_7541:                             ;   in Loop: Header=BB4_7212 Depth=2
	s_and_not1_saveexec_b32 s10, s41
; %bb.7542:                             ;   in Loop: Header=BB4_7212 Depth=2
	v_or_b32_e32 v116, 0x7b, v2
; %bb.7543:                             ;   in Loop: Header=BB4_7212 Depth=2
	s_or_b32 exec_lo, exec_lo, s10
                                        ; implicit-def: $vgpr10
                                        ; implicit-def: $vgpr2
.LBB4_7544:                             ;   in Loop: Header=BB4_7212 Depth=2
	s_and_not1_saveexec_b32 s10, s40
	s_cbranch_execz .LBB4_7550
; %bb.7545:                             ;   in Loop: Header=BB4_7212 Depth=2
	s_mov_b32 s40, exec_lo
                                        ; implicit-def: $vgpr116
	v_cmpx_ne_u64_e32 0, v[36:37]
	s_xor_b32 s40, exec_lo, s40
; %bb.7546:                             ;   in Loop: Header=BB4_7212 Depth=2
	v_or_b32_e32 v116, 0x7f, v2
                                        ; implicit-def: $vgpr10
; %bb.7547:                             ;   in Loop: Header=BB4_7212 Depth=2
	s_and_not1_saveexec_b32 s40, s40
; %bb.7548:                             ;   in Loop: Header=BB4_7212 Depth=2
	v_cmp_lt_i32_e32 vcc_lo, -1, v10
	v_cndmask_b32_e32 v116, 0xfc, v110, vcc_lo
; %bb.7549:                             ;   in Loop: Header=BB4_7212 Depth=2
	s_or_b32 exec_lo, exec_lo, s40
.LBB4_7550:                             ;   in Loop: Header=BB4_7212 Depth=2
	s_delay_alu instid0(SALU_CYCLE_1)
	s_or_b32 exec_lo, exec_lo, s10
	v_mov_b32_e32 v2, 0
	s_mov_b32 s10, exec_lo
	v_cmpx_lt_u32_e32 0xffffff, v12
	s_cbranch_execz .LBB4_7560
; %bb.7551:                             ;   in Loop: Header=BB4_7212 Depth=2
	v_lshrrev_b32_e32 v10, 24, v12
	v_bfrev_b32_e32 v2, 1
	s_mov_b32 s40, exec_lo
	s_delay_alu instid0(VALU_DEP_2)
	v_cmpx_ne_u32_e32 0x80, v10
	s_cbranch_execz .LBB4_7559
; %bb.7552:                             ;   in Loop: Header=BB4_7212 Depth=2
	v_and_b32_e32 v2, 0x7c000000, v12
	v_bfe_u32 v11, v12, 24, 2
	s_delay_alu instid0(VALU_DEP_2) | instskip(SKIP_1) | instid1(SALU_CYCLE_1)
	v_cmp_ne_u32_e32 vcc_lo, 0x7c000000, v2
                                        ; implicit-def: $vgpr2
	s_and_saveexec_b32 s41, vcc_lo
	s_xor_b32 s41, exec_lo, s41
	s_cbranch_execz .LBB4_7556
; %bb.7553:                             ;   in Loop: Header=BB4_7212 Depth=2
	v_bfe_u32 v2, v12, 26, 5
	s_mov_b32 s42, exec_lo
	s_delay_alu instid0(VALU_DEP_1)
	v_cmpx_eq_u32_e32 0, v2
; %bb.7554:                             ;   in Loop: Header=BB4_7212 Depth=2
	v_clz_i32_u32_e32 v2, v11
	s_delay_alu instid0(VALU_DEP_1) | instskip(NEXT) | instid1(VALU_DEP_1)
	v_min_u32_e32 v2, 32, v2
	v_subrev_nc_u32_e32 v11, 29, v2
	v_sub_nc_u32_e32 v2, 30, v2
	s_delay_alu instid0(VALU_DEP_2) | instskip(NEXT) | instid1(VALU_DEP_1)
	v_lshlrev_b64_e32 v[10:11], v11, v[10:11]
	v_and_b32_e32 v11, 3, v10
; %bb.7555:                             ;   in Loop: Header=BB4_7212 Depth=2
	s_or_b32 exec_lo, exec_lo, s42
	v_and_b32_e32 v10, 0x80000000, v12
	s_delay_alu instid0(VALU_DEP_1) | instskip(NEXT) | instid1(VALU_DEP_1)
	v_lshl_add_u32 v2, v2, 23, v10
	v_lshl_or_b32 v2, v11, 21, v2
                                        ; implicit-def: $vgpr11
	s_delay_alu instid0(VALU_DEP_1)
	v_add_nc_u32_e32 v2, 0x38000000, v2
.LBB4_7556:                             ;   in Loop: Header=BB4_7212 Depth=2
	s_and_not1_saveexec_b32 s41, s41
; %bb.7557:                             ;   in Loop: Header=BB4_7212 Depth=2
	v_cmp_lt_i32_e32 vcc_lo, -1, v12
	v_cndmask_b32_e32 v2, 0xff800000, v109, vcc_lo
	v_cmp_eq_u32_e32 vcc_lo, 0, v11
	s_delay_alu instid0(VALU_DEP_2)
	v_cndmask_b32_e32 v2, 0x7f800001, v2, vcc_lo
; %bb.7558:                             ;   in Loop: Header=BB4_7212 Depth=2
	s_or_b32 exec_lo, exec_lo, s41
.LBB4_7559:                             ;   in Loop: Header=BB4_7212 Depth=2
	s_delay_alu instid0(SALU_CYCLE_1)
	s_or_b32 exec_lo, exec_lo, s40
.LBB4_7560:                             ;   in Loop: Header=BB4_7212 Depth=2
	s_delay_alu instid0(SALU_CYCLE_1) | instskip(NEXT) | instid1(VALU_DEP_1)
	s_or_b32 exec_lo, exec_lo, s10
	v_dual_mul_f32 v10, s29, v2 :: v_dual_mov_b32 v21, v37
                                        ; implicit-def: $vgpr118
	s_mov_b32 s10, exec_lo
	s_delay_alu instid0(VALU_DEP_1) | instskip(SKIP_2) | instid1(VALU_DEP_3)
	v_and_b32_e32 v20, 0x7f800000, v10
	v_and_b32_e32 v36, 0x7fffff, v10
	v_lshrrev_b32_e32 v2, 24, v10
	v_cmpx_ne_u64_e32 0x7f800000, v[20:21]
	s_xor_b32 s40, exec_lo, s10
	s_cbranch_execz .LBB4_7574
; %bb.7561:                             ;   in Loop: Header=BB4_7212 Depth=2
	v_and_b32_e32 v20, 0x7fffffff, v10
	v_mov_b32_e32 v21, v37
	v_and_b32_e32 v2, 0x80, v2
                                        ; implicit-def: $vgpr118
	s_mov_b32 s10, exec_lo
	s_delay_alu instid0(VALU_DEP_2)
	v_cmpx_gt_u64_e32 0x47600001, v[20:21]
	s_xor_b32 s41, exec_lo, s10
	s_cbranch_execz .LBB4_7571
; %bb.7562:                             ;   in Loop: Header=BB4_7212 Depth=2
	v_mov_b32_e32 v118, 0
	s_mov_b32 s42, exec_lo
	v_cmpx_ne_u32_e32 0, v10
	s_cbranch_execz .LBB4_7570
; %bb.7563:                             ;   in Loop: Header=BB4_7212 Depth=2
	v_bfe_u32 v20, v10, 23, 8
	v_or_b32_e32 v24, 0x800000, v36
	s_delay_alu instid0(VALU_DEP_2) | instskip(SKIP_1) | instid1(VALU_DEP_2)
	v_dual_mov_b32 v25, v37 :: v_dual_sub_nc_u32 v10, 0x71, v20
	v_cmp_gt_u32_e32 vcc_lo, 0x72, v20
	v_cndmask_b32_e32 v10, 0, v10, vcc_lo
	v_cmp_eq_u32_e32 vcc_lo, 0, v20
	s_delay_alu instid0(VALU_DEP_2) | instskip(NEXT) | instid1(VALU_DEP_1)
	v_cndmask_b32_e64 v21, v10, 0x70, vcc_lo
	v_dual_cndmask_b32 v24, v24, v36, vcc_lo :: v_dual_add_nc_u32 v10, 21, v21
	v_add_nc_u32_e32 v30, 20, v21
	s_delay_alu instid0(VALU_DEP_2) | instskip(NEXT) | instid1(VALU_DEP_2)
	v_lshlrev_b64_e64 v[10:11], v10, -1
	v_lshlrev_b64_e64 v[30:31], v30, 1
	s_delay_alu instid0(VALU_DEP_2) | instskip(NEXT) | instid1(VALU_DEP_3)
	v_bfi_b32 v83, v11, 0, 0
	v_bfi_b32 v82, v10, 0, v24
	v_lshrrev_b64 v[10:11], v21, v[24:25]
	s_delay_alu instid0(VALU_DEP_2) | instskip(NEXT) | instid1(VALU_DEP_2)
	v_cmp_eq_u64_e64 s10, v[82:83], v[30:31]
	v_mov_b64_e32 v[82:83], v[10:11]
	s_and_saveexec_b32 s43, s10
; %bb.7564:                             ;   in Loop: Header=BB4_7212 Depth=2
	v_bfe_u32 v24, v10, 21, 1
	v_mov_b32_e32 v25, v37
	s_delay_alu instid0(VALU_DEP_1) | instskip(NEXT) | instid1(VALU_DEP_1)
	v_add_nc_u64_e32 v[24:25], v[10:11], v[24:25]
	v_add_nc_u64_e32 v[82:83], -1, v[24:25]
; %bb.7565:                             ;   in Loop: Header=BB4_7212 Depth=2
	s_or_b32 exec_lo, exec_lo, s43
	v_add_nc_u32_e32 v11, 0xffffff81, v20
	v_lshrrev_b32_e32 v20, 23, v10
	s_mov_b32 s10, exec_lo
	s_delay_alu instid0(VALU_DEP_2) | instskip(NEXT) | instid1(VALU_DEP_1)
	v_cndmask_b32_e64 v11, v11, 0xffffff82, vcc_lo
	v_add3_u32 v21, v21, v11, v20
	v_and_b32_e32 v11, 0x1fffff, v82
                                        ; implicit-def: $vgpr20
	s_delay_alu instid0(VALU_DEP_1) | instskip(NEXT) | instid1(VALU_DEP_1)
	v_dual_add_nc_u32 v30, 14, v21 :: v_dual_add_nc_u32 v36, v11, v10
                                        ; implicit-def: $vgpr10_vgpr11
	v_cmpx_ne_u32_e32 0, v30
	s_xor_b32 s10, exec_lo, s10
; %bb.7566:                             ;   in Loop: Header=BB4_7212 Depth=2
	s_delay_alu instid0(VALU_DEP_2) | instskip(SKIP_1) | instid1(VALU_DEP_1)
	v_cmp_lt_u64_e32 vcc_lo, 0xffffff, v[36:37]
	v_add_nc_u32_e32 v10, 15, v21
	v_cndmask_b32_e32 v20, v30, v10, vcc_lo
	v_cndmask_b32_e64 v10, 0, 1, vcc_lo
	s_delay_alu instid0(VALU_DEP_1)
	v_lshrrev_b64 v[10:11], v10, v[36:37]
; %bb.7567:                             ;   in Loop: Header=BB4_7212 Depth=2
	s_and_not1_saveexec_b32 s10, s10
; %bb.7568:                             ;   in Loop: Header=BB4_7212 Depth=2
	v_mov_b64_e32 v[10:11], v[36:37]
	v_bfe_u32 v20, v36, 23, 1
; %bb.7569:                             ;   in Loop: Header=BB4_7212 Depth=2
	s_or_b32 exec_lo, exec_lo, s10
	s_delay_alu instid0(VALU_DEP_2) | instskip(NEXT) | instid1(VALU_DEP_2)
	v_lshrrev_b64 v[10:11], 21, v[10:11]
	v_cmp_gt_i32_e32 vcc_lo, 32, v20
	v_min_i32_e32 v21, 31, v20
	v_cmp_eq_u32_e64 s10, 0, v20
	s_delay_alu instid0(VALU_DEP_2) | instskip(SKIP_1) | instid1(VALU_DEP_2)
	v_dual_cndmask_b32 v11, 0, v11, vcc_lo :: v_dual_lshlrev_b32 v21, 2, v21
	v_cndmask_b32_e32 v10, 3, v10, vcc_lo
	v_and_b32_e32 v21, 0xfc, v21
	s_delay_alu instid0(VALU_DEP_2) | instskip(NEXT) | instid1(VALU_DEP_2)
	v_cmp_eq_u64_e32 vcc_lo, 0, v[10:11]
	v_and_or_b32 v10, v10, 3, v21
	s_and_b32 s10, s10, vcc_lo
	s_delay_alu instid0(VALU_DEP_1) | instid1(SALU_CYCLE_1)
	v_cndmask_b32_e64 v10, v10, 0, s10
	s_delay_alu instid0(VALU_DEP_1)
	v_or_b32_e32 v118, v10, v2
.LBB4_7570:                             ;   in Loop: Header=BB4_7212 Depth=2
	s_or_b32 exec_lo, exec_lo, s42
                                        ; implicit-def: $vgpr2
.LBB4_7571:                             ;   in Loop: Header=BB4_7212 Depth=2
	s_and_not1_saveexec_b32 s10, s41
; %bb.7572:                             ;   in Loop: Header=BB4_7212 Depth=2
	v_or_b32_e32 v118, 0x7b, v2
; %bb.7573:                             ;   in Loop: Header=BB4_7212 Depth=2
	s_or_b32 exec_lo, exec_lo, s10
                                        ; implicit-def: $vgpr10
                                        ; implicit-def: $vgpr2
.LBB4_7574:                             ;   in Loop: Header=BB4_7212 Depth=2
	s_and_not1_saveexec_b32 s10, s40
	s_cbranch_execz .LBB4_7580
; %bb.7575:                             ;   in Loop: Header=BB4_7212 Depth=2
	s_mov_b32 s40, exec_lo
                                        ; implicit-def: $vgpr118
	v_cmpx_ne_u64_e32 0, v[36:37]
	s_xor_b32 s40, exec_lo, s40
; %bb.7576:                             ;   in Loop: Header=BB4_7212 Depth=2
	v_or_b32_e32 v118, 0x7f, v2
                                        ; implicit-def: $vgpr10
; %bb.7577:                             ;   in Loop: Header=BB4_7212 Depth=2
	s_and_not1_saveexec_b32 s40, s40
; %bb.7578:                             ;   in Loop: Header=BB4_7212 Depth=2
	v_cmp_lt_i32_e32 vcc_lo, -1, v10
	v_cndmask_b32_e32 v118, 0xfc, v110, vcc_lo
; %bb.7579:                             ;   in Loop: Header=BB4_7212 Depth=2
	s_or_b32 exec_lo, exec_lo, s40
.LBB4_7580:                             ;   in Loop: Header=BB4_7212 Depth=2
	s_delay_alu instid0(SALU_CYCLE_1) | instskip(SKIP_3) | instid1(VALU_DEP_2)
	s_or_b32 exec_lo, exec_lo, s10
	v_and_b32_e32 v10, 0xff, v13
	v_dual_mov_b32 v36, v13 :: v_dual_mov_b32 v2, 0
	s_mov_b32 s10, exec_lo
	v_cmpx_ne_u16_e32 0, v10
	s_cbranch_execz .LBB4_7590
; %bb.7581:                             ;   in Loop: Header=BB4_7212 Depth=2
	v_bfrev_b32_e32 v2, 1
	s_mov_b32 s40, exec_lo
	v_cmpx_ne_u16_e32 0x80, v10
	s_cbranch_execz .LBB4_7589
; %bb.7582:                             ;   in Loop: Header=BB4_7212 Depth=2
	v_and_b32_e32 v2, 0x7c, v13
	v_and_b32_e32 v10, 3, v13
	s_delay_alu instid0(VALU_DEP_2) | instskip(SKIP_1) | instid1(SALU_CYCLE_1)
	v_cmp_ne_u32_e32 vcc_lo, 0x7c, v2
                                        ; implicit-def: $vgpr2
	s_and_saveexec_b32 s41, vcc_lo
	s_xor_b32 s41, exec_lo, s41
	s_cbranch_execz .LBB4_7586
; %bb.7583:                             ;   in Loop: Header=BB4_7212 Depth=2
	v_bfe_u32 v2, v13, 2, 5
	s_mov_b32 s42, exec_lo
	s_delay_alu instid0(VALU_DEP_1)
	v_cmpx_eq_u32_e32 0, v2
; %bb.7584:                             ;   in Loop: Header=BB4_7212 Depth=2
	v_clz_i32_u32_e32 v2, v10
	s_delay_alu instid0(VALU_DEP_1) | instskip(NEXT) | instid1(VALU_DEP_1)
	v_min_u32_e32 v2, 32, v2
	v_subrev_nc_u32_e32 v10, 29, v2
	v_sub_nc_u32_e32 v2, 30, v2
	s_delay_alu instid0(VALU_DEP_2) | instskip(NEXT) | instid1(VALU_DEP_1)
	v_lshlrev_b64_e32 v[10:11], v10, v[36:37]
	v_and_b32_e32 v10, 3, v10
; %bb.7585:                             ;   in Loop: Header=BB4_7212 Depth=2
	s_or_b32 exec_lo, exec_lo, s42
	v_lshlrev_b32_e32 v11, 24, v13
	s_delay_alu instid0(VALU_DEP_1) | instskip(NEXT) | instid1(VALU_DEP_1)
	v_and_b32_e32 v11, 0x80000000, v11
	v_lshl_add_u32 v2, v2, 23, v11
	s_delay_alu instid0(VALU_DEP_1) | instskip(NEXT) | instid1(VALU_DEP_1)
	v_lshl_or_b32 v2, v10, 21, v2
                                        ; implicit-def: $vgpr10
	v_add_nc_u32_e32 v2, 0x38000000, v2
.LBB4_7586:                             ;   in Loop: Header=BB4_7212 Depth=2
	s_and_not1_saveexec_b32 s41, s41
; %bb.7587:                             ;   in Loop: Header=BB4_7212 Depth=2
	v_bfe_i32 v2, v13, 0, 8
	s_delay_alu instid0(VALU_DEP_1) | instskip(SKIP_2) | instid1(VALU_DEP_2)
	v_cmp_lt_i16_e32 vcc_lo, -1, v2
	v_cndmask_b32_e32 v2, 0xff800000, v109, vcc_lo
	v_cmp_eq_u32_e32 vcc_lo, 0, v10
	v_cndmask_b32_e32 v2, 0x7f800001, v2, vcc_lo
; %bb.7588:                             ;   in Loop: Header=BB4_7212 Depth=2
	s_or_b32 exec_lo, exec_lo, s41
.LBB4_7589:                             ;   in Loop: Header=BB4_7212 Depth=2
	s_delay_alu instid0(SALU_CYCLE_1)
	s_or_b32 exec_lo, exec_lo, s40
.LBB4_7590:                             ;   in Loop: Header=BB4_7212 Depth=2
	s_delay_alu instid0(SALU_CYCLE_1) | instskip(NEXT) | instid1(VALU_DEP_1)
	s_or_b32 exec_lo, exec_lo, s10
	v_dual_mul_f32 v30, s29, v2 :: v_dual_mov_b32 v21, v37
	v_mov_b32_e32 v11, v37
                                        ; implicit-def: $vgpr99
	s_mov_b32 s10, exec_lo
	s_delay_alu instid0(VALU_DEP_2) | instskip(SKIP_2) | instid1(VALU_DEP_3)
	v_and_b32_e32 v20, 0x7f800000, v30
	v_and_b32_e32 v10, 0x7fffff, v30
	v_lshrrev_b32_e32 v2, 24, v30
	v_cmpx_ne_u64_e32 0x7f800000, v[20:21]
	s_xor_b32 s40, exec_lo, s10
	s_cbranch_execz .LBB4_7604
; %bb.7591:                             ;   in Loop: Header=BB4_7212 Depth=2
	v_and_b32_e32 v20, 0x7fffffff, v30
	v_mov_b32_e32 v21, v37
	v_and_b32_e32 v2, 0x80, v2
                                        ; implicit-def: $vgpr99
	s_mov_b32 s10, exec_lo
	s_delay_alu instid0(VALU_DEP_2)
	v_cmpx_gt_u64_e32 0x47600001, v[20:21]
	s_xor_b32 s41, exec_lo, s10
	s_cbranch_execz .LBB4_7601
; %bb.7592:                             ;   in Loop: Header=BB4_7212 Depth=2
	v_mov_b32_e32 v99, 0
	s_mov_b32 s42, exec_lo
	v_cmpx_ne_u32_e32 0, v30
	s_cbranch_execz .LBB4_7600
; %bb.7593:                             ;   in Loop: Header=BB4_7212 Depth=2
	v_bfe_u32 v20, v30, 23, 8
	v_or_b32_e32 v30, 0x800000, v10
	s_mov_b32 s43, exec_lo
	s_delay_alu instid0(VALU_DEP_2) | instskip(SKIP_1) | instid1(VALU_DEP_2)
	v_sub_nc_u32_e32 v21, 0x71, v20
	v_cmp_gt_u32_e32 vcc_lo, 0x72, v20
	v_cndmask_b32_e32 v21, 0, v21, vcc_lo
	v_cmp_eq_u32_e32 vcc_lo, 0, v20
	s_delay_alu instid0(VALU_DEP_2) | instskip(NEXT) | instid1(VALU_DEP_1)
	v_cndmask_b32_e64 v21, v21, 0x70, vcc_lo
	v_dual_cndmask_b32 v10, v30, v10, vcc_lo :: v_dual_add_nc_u32 v24, 21, v21
	v_add_nc_u32_e32 v31, 20, v21
	s_delay_alu instid0(VALU_DEP_2) | instskip(NEXT) | instid1(VALU_DEP_2)
	v_lshlrev_b64_e64 v[24:25], v24, -1
	v_lshlrev_b64_e64 v[30:31], v31, 1
	s_delay_alu instid0(VALU_DEP_2) | instskip(SKIP_1) | instid1(VALU_DEP_4)
	v_bfi_b32 v24, v24, 0, v10
	v_lshrrev_b64 v[10:11], v21, v[10:11]
	v_bfi_b32 v25, v25, 0, 0
	s_delay_alu instid0(VALU_DEP_2) | instskip(NEXT) | instid1(VALU_DEP_2)
	v_mov_b64_e32 v[82:83], v[10:11]
	v_cmpx_eq_u64_e64 v[24:25], v[30:31]
; %bb.7594:                             ;   in Loop: Header=BB4_7212 Depth=2
	v_bfe_u32 v24, v10, 21, 1
	v_mov_b32_e32 v25, v37
	s_delay_alu instid0(VALU_DEP_1) | instskip(NEXT) | instid1(VALU_DEP_1)
	v_add_nc_u64_e32 v[24:25], v[10:11], v[24:25]
	v_add_nc_u64_e32 v[82:83], -1, v[24:25]
; %bb.7595:                             ;   in Loop: Header=BB4_7212 Depth=2
	s_or_b32 exec_lo, exec_lo, s43
	v_add_nc_u32_e32 v11, 0xffffff81, v20
	v_lshrrev_b32_e32 v20, 23, v10
	s_mov_b32 s10, exec_lo
	s_delay_alu instid0(VALU_DEP_2) | instskip(NEXT) | instid1(VALU_DEP_1)
	v_cndmask_b32_e64 v11, v11, 0xffffff82, vcc_lo
	v_add3_u32 v21, v21, v11, v20
	v_and_b32_e32 v11, 0x1fffff, v82
                                        ; implicit-def: $vgpr20
	s_delay_alu instid0(VALU_DEP_1) | instskip(SKIP_1) | instid1(VALU_DEP_2)
	v_dual_add_nc_u32 v30, 14, v21 :: v_dual_add_nc_u32 v10, v11, v10
	v_mov_b32_e32 v11, v37
	v_cmpx_ne_u32_e32 0, v30
	s_xor_b32 s10, exec_lo, s10
; %bb.7596:                             ;   in Loop: Header=BB4_7212 Depth=2
	s_delay_alu instid0(VALU_DEP_2) | instskip(SKIP_2) | instid1(VALU_DEP_2)
	v_cmp_lt_u64_e32 vcc_lo, 0xffffff, v[10:11]
	v_add_nc_u32_e32 v20, 15, v21
	v_cndmask_b32_e64 v21, 0, 1, vcc_lo
	v_cndmask_b32_e32 v20, v30, v20, vcc_lo
	s_delay_alu instid0(VALU_DEP_2)
	v_lshrrev_b64 v[10:11], v21, v[10:11]
; %bb.7597:                             ;   in Loop: Header=BB4_7212 Depth=2
	s_and_not1_saveexec_b32 s10, s10
; %bb.7598:                             ;   in Loop: Header=BB4_7212 Depth=2
	s_delay_alu instid0(VALU_DEP_1)
	v_bfe_u32 v20, v10, 23, 1
; %bb.7599:                             ;   in Loop: Header=BB4_7212 Depth=2
	s_or_b32 exec_lo, exec_lo, s10
	s_delay_alu instid0(VALU_DEP_2) | instskip(NEXT) | instid1(VALU_DEP_2)
	v_lshrrev_b64 v[10:11], 21, v[10:11]
	v_cmp_gt_i32_e32 vcc_lo, 32, v20
	v_min_i32_e32 v21, 31, v20
	v_cmp_eq_u32_e64 s10, 0, v20
	s_delay_alu instid0(VALU_DEP_2) | instskip(SKIP_1) | instid1(VALU_DEP_2)
	v_dual_cndmask_b32 v11, 0, v11, vcc_lo :: v_dual_lshlrev_b32 v21, 2, v21
	v_cndmask_b32_e32 v10, 3, v10, vcc_lo
	v_and_b32_e32 v21, 0xfc, v21
	s_delay_alu instid0(VALU_DEP_2) | instskip(NEXT) | instid1(VALU_DEP_2)
	v_cmp_eq_u64_e32 vcc_lo, 0, v[10:11]
	v_and_or_b32 v10, v10, 3, v21
	s_and_b32 s10, s10, vcc_lo
	s_delay_alu instid0(VALU_DEP_1) | instid1(SALU_CYCLE_1)
	v_cndmask_b32_e64 v10, v10, 0, s10
	s_delay_alu instid0(VALU_DEP_1)
	v_or_b32_e32 v99, v10, v2
.LBB4_7600:                             ;   in Loop: Header=BB4_7212 Depth=2
	s_or_b32 exec_lo, exec_lo, s42
                                        ; implicit-def: $vgpr2
.LBB4_7601:                             ;   in Loop: Header=BB4_7212 Depth=2
	s_and_not1_saveexec_b32 s10, s41
; %bb.7602:                             ;   in Loop: Header=BB4_7212 Depth=2
	v_or_b32_e32 v99, 0x7b, v2
; %bb.7603:                             ;   in Loop: Header=BB4_7212 Depth=2
	s_or_b32 exec_lo, exec_lo, s10
                                        ; implicit-def: $vgpr30
                                        ; implicit-def: $vgpr10_vgpr11
                                        ; implicit-def: $vgpr2
.LBB4_7604:                             ;   in Loop: Header=BB4_7212 Depth=2
	s_and_not1_saveexec_b32 s10, s40
	s_cbranch_execz .LBB4_7610
; %bb.7605:                             ;   in Loop: Header=BB4_7212 Depth=2
	s_mov_b32 s40, exec_lo
                                        ; implicit-def: $vgpr99
	v_cmpx_ne_u64_e32 0, v[10:11]
	s_xor_b32 s40, exec_lo, s40
; %bb.7606:                             ;   in Loop: Header=BB4_7212 Depth=2
	v_or_b32_e32 v99, 0x7f, v2
                                        ; implicit-def: $vgpr30
; %bb.7607:                             ;   in Loop: Header=BB4_7212 Depth=2
	s_and_not1_saveexec_b32 s40, s40
; %bb.7608:                             ;   in Loop: Header=BB4_7212 Depth=2
	v_cmp_lt_i32_e32 vcc_lo, -1, v30
	v_cndmask_b32_e32 v99, 0xfc, v110, vcc_lo
; %bb.7609:                             ;   in Loop: Header=BB4_7212 Depth=2
	s_or_b32 exec_lo, exec_lo, s40
.LBB4_7610:                             ;   in Loop: Header=BB4_7212 Depth=2
	s_delay_alu instid0(SALU_CYCLE_1) | instskip(SKIP_3) | instid1(VALU_DEP_2)
	s_or_b32 exec_lo, exec_lo, s10
	v_lshrrev_b16 v10, 8, v36
	v_mov_b32_e32 v11, 0
	s_mov_b32 s10, exec_lo
	v_cmpx_ne_u16_e32 0, v10
	s_cbranch_execz .LBB4_7620
; %bb.7611:                             ;   in Loop: Header=BB4_7212 Depth=2
	v_bfrev_b32_e32 v11, 1
	s_mov_b32 s40, exec_lo
	v_cmpx_ne_u16_e32 0x80, v10
	s_cbranch_execz .LBB4_7619
; %bb.7612:                             ;   in Loop: Header=BB4_7212 Depth=2
	v_and_b32_e32 v20, 0xffff, v10
	s_delay_alu instid0(VALU_DEP_1) | instskip(SKIP_1) | instid1(VALU_DEP_2)
	v_and_b32_e32 v11, 0x7c, v20
	v_and_b32_e32 v2, 3, v20
	v_cmp_ne_u32_e32 vcc_lo, 0x7c, v11
                                        ; implicit-def: $vgpr11
	s_and_saveexec_b32 s41, vcc_lo
	s_delay_alu instid0(SALU_CYCLE_1)
	s_xor_b32 s41, exec_lo, s41
	s_cbranch_execz .LBB4_7616
; %bb.7613:                             ;   in Loop: Header=BB4_7212 Depth=2
	v_bfe_u32 v11, v20, 2, 5
	s_mov_b32 s42, exec_lo
	s_delay_alu instid0(VALU_DEP_1)
	v_cmpx_eq_u32_e32 0, v11
	s_cbranch_execz .LBB4_7615
; %bb.7614:                             ;   in Loop: Header=BB4_7212 Depth=2
	v_clz_i32_u32_e32 v2, v2
	v_mov_b32_e32 v11, v37
	s_delay_alu instid0(VALU_DEP_2) | instskip(NEXT) | instid1(VALU_DEP_1)
	v_min_u32_e32 v2, 32, v2
	v_subrev_nc_u32_e32 v20, 29, v2
	s_delay_alu instid0(VALU_DEP_1) | instskip(SKIP_1) | instid1(VALU_DEP_2)
	v_lshlrev_b64_e32 v[10:11], v20, v[10:11]
	v_sub_nc_u32_e32 v11, 30, v2
	v_and_b32_e32 v2, 3, v10
.LBB4_7615:                             ;   in Loop: Header=BB4_7212 Depth=2
	s_or_b32 exec_lo, exec_lo, s42
	v_lshlrev_b32_e32 v10, 16, v36
	s_delay_alu instid0(VALU_DEP_1) | instskip(NEXT) | instid1(VALU_DEP_1)
	v_and_b32_e32 v10, 0x80000000, v10
	v_lshl_add_u32 v10, v11, 23, v10
	s_delay_alu instid0(VALU_DEP_1) | instskip(NEXT) | instid1(VALU_DEP_1)
	v_lshl_or_b32 v2, v2, 21, v10
	v_add_nc_u32_e32 v11, 0x38000000, v2
                                        ; implicit-def: $vgpr2
.LBB4_7616:                             ;   in Loop: Header=BB4_7212 Depth=2
	s_and_not1_saveexec_b32 s41, s41
; %bb.7617:                             ;   in Loop: Header=BB4_7212 Depth=2
	v_cmp_lt_i16_e32 vcc_lo, -1, v36
	v_cndmask_b32_e32 v10, 0xff800000, v109, vcc_lo
	v_cmp_eq_u32_e32 vcc_lo, 0, v2
	s_delay_alu instid0(VALU_DEP_2)
	v_cndmask_b32_e32 v11, 0x7f800001, v10, vcc_lo
; %bb.7618:                             ;   in Loop: Header=BB4_7212 Depth=2
	s_or_b32 exec_lo, exec_lo, s41
.LBB4_7619:                             ;   in Loop: Header=BB4_7212 Depth=2
	s_delay_alu instid0(SALU_CYCLE_1)
	s_or_b32 exec_lo, exec_lo, s40
.LBB4_7620:                             ;   in Loop: Header=BB4_7212 Depth=2
	s_delay_alu instid0(SALU_CYCLE_1) | instskip(NEXT) | instid1(VALU_DEP_1)
	s_or_b32 exec_lo, exec_lo, s10
	v_dual_mul_f32 v10, s29, v11 :: v_dual_mov_b32 v21, v37
                                        ; implicit-def: $vgpr102
	s_mov_b32 s10, exec_lo
	s_delay_alu instid0(VALU_DEP_1) | instskip(SKIP_2) | instid1(VALU_DEP_3)
	v_and_b32_e32 v20, 0x7f800000, v10
	v_and_b32_e32 v36, 0x7fffff, v10
	v_lshrrev_b32_e32 v2, 24, v10
	v_cmpx_ne_u64_e32 0x7f800000, v[20:21]
	s_xor_b32 s40, exec_lo, s10
	s_cbranch_execz .LBB4_7634
; %bb.7621:                             ;   in Loop: Header=BB4_7212 Depth=2
	v_and_b32_e32 v20, 0x7fffffff, v10
	v_mov_b32_e32 v21, v37
	v_and_b32_e32 v2, 0x80, v2
                                        ; implicit-def: $vgpr102
	s_mov_b32 s10, exec_lo
	s_delay_alu instid0(VALU_DEP_2)
	v_cmpx_gt_u64_e32 0x47600001, v[20:21]
	s_xor_b32 s41, exec_lo, s10
	s_cbranch_execz .LBB4_7631
; %bb.7622:                             ;   in Loop: Header=BB4_7212 Depth=2
	v_mov_b32_e32 v102, 0
	s_mov_b32 s42, exec_lo
	v_cmpx_ne_u32_e32 0, v10
	s_cbranch_execz .LBB4_7630
; %bb.7623:                             ;   in Loop: Header=BB4_7212 Depth=2
	v_bfe_u32 v20, v10, 23, 8
	v_or_b32_e32 v24, 0x800000, v36
	s_delay_alu instid0(VALU_DEP_2) | instskip(SKIP_1) | instid1(VALU_DEP_2)
	v_dual_mov_b32 v25, v37 :: v_dual_sub_nc_u32 v10, 0x71, v20
	v_cmp_gt_u32_e32 vcc_lo, 0x72, v20
	v_cndmask_b32_e32 v10, 0, v10, vcc_lo
	v_cmp_eq_u32_e32 vcc_lo, 0, v20
	s_delay_alu instid0(VALU_DEP_2) | instskip(NEXT) | instid1(VALU_DEP_1)
	v_cndmask_b32_e64 v21, v10, 0x70, vcc_lo
	v_dual_cndmask_b32 v24, v24, v36, vcc_lo :: v_dual_add_nc_u32 v10, 21, v21
	v_add_nc_u32_e32 v30, 20, v21
	s_delay_alu instid0(VALU_DEP_2) | instskip(NEXT) | instid1(VALU_DEP_2)
	v_lshlrev_b64_e64 v[10:11], v10, -1
	v_lshlrev_b64_e64 v[30:31], v30, 1
	s_delay_alu instid0(VALU_DEP_2) | instskip(NEXT) | instid1(VALU_DEP_3)
	v_bfi_b32 v83, v11, 0, 0
	v_bfi_b32 v82, v10, 0, v24
	v_lshrrev_b64 v[10:11], v21, v[24:25]
	s_delay_alu instid0(VALU_DEP_2) | instskip(NEXT) | instid1(VALU_DEP_2)
	v_cmp_eq_u64_e64 s10, v[82:83], v[30:31]
	v_mov_b64_e32 v[82:83], v[10:11]
	s_and_saveexec_b32 s43, s10
; %bb.7624:                             ;   in Loop: Header=BB4_7212 Depth=2
	v_bfe_u32 v24, v10, 21, 1
	v_mov_b32_e32 v25, v37
	s_delay_alu instid0(VALU_DEP_1) | instskip(NEXT) | instid1(VALU_DEP_1)
	v_add_nc_u64_e32 v[24:25], v[10:11], v[24:25]
	v_add_nc_u64_e32 v[82:83], -1, v[24:25]
; %bb.7625:                             ;   in Loop: Header=BB4_7212 Depth=2
	s_or_b32 exec_lo, exec_lo, s43
	v_add_nc_u32_e32 v11, 0xffffff81, v20
	v_lshrrev_b32_e32 v20, 23, v10
	s_mov_b32 s10, exec_lo
	s_delay_alu instid0(VALU_DEP_2) | instskip(NEXT) | instid1(VALU_DEP_1)
	v_cndmask_b32_e64 v11, v11, 0xffffff82, vcc_lo
	v_add3_u32 v21, v21, v11, v20
	v_and_b32_e32 v11, 0x1fffff, v82
                                        ; implicit-def: $vgpr20
	s_delay_alu instid0(VALU_DEP_1) | instskip(NEXT) | instid1(VALU_DEP_1)
	v_dual_add_nc_u32 v30, 14, v21 :: v_dual_add_nc_u32 v36, v11, v10
                                        ; implicit-def: $vgpr10_vgpr11
	v_cmpx_ne_u32_e32 0, v30
	s_xor_b32 s10, exec_lo, s10
; %bb.7626:                             ;   in Loop: Header=BB4_7212 Depth=2
	s_delay_alu instid0(VALU_DEP_2) | instskip(SKIP_1) | instid1(VALU_DEP_1)
	v_cmp_lt_u64_e32 vcc_lo, 0xffffff, v[36:37]
	v_add_nc_u32_e32 v10, 15, v21
	v_cndmask_b32_e32 v20, v30, v10, vcc_lo
	v_cndmask_b32_e64 v10, 0, 1, vcc_lo
	s_delay_alu instid0(VALU_DEP_1)
	v_lshrrev_b64 v[10:11], v10, v[36:37]
; %bb.7627:                             ;   in Loop: Header=BB4_7212 Depth=2
	s_and_not1_saveexec_b32 s10, s10
; %bb.7628:                             ;   in Loop: Header=BB4_7212 Depth=2
	v_mov_b64_e32 v[10:11], v[36:37]
	v_bfe_u32 v20, v36, 23, 1
; %bb.7629:                             ;   in Loop: Header=BB4_7212 Depth=2
	s_or_b32 exec_lo, exec_lo, s10
	s_delay_alu instid0(VALU_DEP_2) | instskip(NEXT) | instid1(VALU_DEP_2)
	v_lshrrev_b64 v[10:11], 21, v[10:11]
	v_cmp_gt_i32_e32 vcc_lo, 32, v20
	v_min_i32_e32 v21, 31, v20
	v_cmp_eq_u32_e64 s10, 0, v20
	s_delay_alu instid0(VALU_DEP_2) | instskip(SKIP_1) | instid1(VALU_DEP_2)
	v_dual_cndmask_b32 v11, 0, v11, vcc_lo :: v_dual_lshlrev_b32 v21, 2, v21
	v_cndmask_b32_e32 v10, 3, v10, vcc_lo
	v_and_b32_e32 v21, 0xfc, v21
	s_delay_alu instid0(VALU_DEP_2) | instskip(NEXT) | instid1(VALU_DEP_2)
	v_cmp_eq_u64_e32 vcc_lo, 0, v[10:11]
	v_and_or_b32 v10, v10, 3, v21
	s_and_b32 s10, s10, vcc_lo
	s_delay_alu instid0(VALU_DEP_1) | instid1(SALU_CYCLE_1)
	v_cndmask_b32_e64 v10, v10, 0, s10
	s_delay_alu instid0(VALU_DEP_1)
	v_or_b32_e32 v102, v10, v2
.LBB4_7630:                             ;   in Loop: Header=BB4_7212 Depth=2
	s_or_b32 exec_lo, exec_lo, s42
                                        ; implicit-def: $vgpr2
.LBB4_7631:                             ;   in Loop: Header=BB4_7212 Depth=2
	s_and_not1_saveexec_b32 s10, s41
; %bb.7632:                             ;   in Loop: Header=BB4_7212 Depth=2
	v_or_b32_e32 v102, 0x7b, v2
; %bb.7633:                             ;   in Loop: Header=BB4_7212 Depth=2
	s_or_b32 exec_lo, exec_lo, s10
                                        ; implicit-def: $vgpr10
                                        ; implicit-def: $vgpr2
.LBB4_7634:                             ;   in Loop: Header=BB4_7212 Depth=2
	s_and_not1_saveexec_b32 s10, s40
	s_cbranch_execz .LBB4_7640
; %bb.7635:                             ;   in Loop: Header=BB4_7212 Depth=2
	s_mov_b32 s40, exec_lo
                                        ; implicit-def: $vgpr102
	v_cmpx_ne_u64_e32 0, v[36:37]
	s_xor_b32 s40, exec_lo, s40
; %bb.7636:                             ;   in Loop: Header=BB4_7212 Depth=2
	v_or_b32_e32 v102, 0x7f, v2
                                        ; implicit-def: $vgpr10
; %bb.7637:                             ;   in Loop: Header=BB4_7212 Depth=2
	s_and_not1_saveexec_b32 s40, s40
; %bb.7638:                             ;   in Loop: Header=BB4_7212 Depth=2
	v_cmp_lt_i32_e32 vcc_lo, -1, v10
	v_cndmask_b32_e32 v102, 0xfc, v110, vcc_lo
; %bb.7639:                             ;   in Loop: Header=BB4_7212 Depth=2
	s_or_b32 exec_lo, exec_lo, s40
.LBB4_7640:                             ;   in Loop: Header=BB4_7212 Depth=2
	s_delay_alu instid0(SALU_CYCLE_1) | instskip(SKIP_2) | instid1(VALU_DEP_1)
	s_or_b32 exec_lo, exec_lo, s10
	v_dual_lshrrev_b32 v10, 16, v13 :: v_dual_mov_b32 v2, 0
	s_mov_b32 s10, exec_lo
	v_and_b32_e32 v11, 0xff, v10
	s_delay_alu instid0(VALU_DEP_1)
	v_cmpx_ne_u16_e32 0, v11
	s_cbranch_execz .LBB4_7650
; %bb.7641:                             ;   in Loop: Header=BB4_7212 Depth=2
	v_bfrev_b32_e32 v2, 1
	s_mov_b32 s40, exec_lo
	v_cmpx_ne_u16_e32 0x80, v11
	s_cbranch_execz .LBB4_7649
; %bb.7642:                             ;   in Loop: Header=BB4_7212 Depth=2
	v_and_b32_e32 v2, 0x7c0000, v13
	v_bfe_u32 v11, v13, 16, 2
	s_delay_alu instid0(VALU_DEP_2) | instskip(SKIP_1) | instid1(SALU_CYCLE_1)
	v_cmp_ne_u32_e32 vcc_lo, 0x7c0000, v2
                                        ; implicit-def: $vgpr2
	s_and_saveexec_b32 s41, vcc_lo
	s_xor_b32 s41, exec_lo, s41
	s_cbranch_execz .LBB4_7646
; %bb.7643:                             ;   in Loop: Header=BB4_7212 Depth=2
	v_bfe_u32 v2, v13, 18, 5
	s_mov_b32 s42, exec_lo
	s_delay_alu instid0(VALU_DEP_1)
	v_cmpx_eq_u32_e32 0, v2
; %bb.7644:                             ;   in Loop: Header=BB4_7212 Depth=2
	v_clz_i32_u32_e32 v2, v11
	s_delay_alu instid0(VALU_DEP_1) | instskip(NEXT) | instid1(VALU_DEP_1)
	v_min_u32_e32 v2, 32, v2
	v_subrev_nc_u32_e32 v11, 29, v2
	s_delay_alu instid0(VALU_DEP_1) | instskip(NEXT) | instid1(VALU_DEP_1)
	v_lshlrev_b64_e32 v[20:21], v11, v[10:11]
	v_dual_sub_nc_u32 v2, 30, v2 :: v_dual_bitop2_b32 v11, 3, v20 bitop3:0x40
; %bb.7645:                             ;   in Loop: Header=BB4_7212 Depth=2
	s_or_b32 exec_lo, exec_lo, s42
	v_lshlrev_b32_e32 v10, 24, v10
	s_delay_alu instid0(VALU_DEP_1) | instskip(NEXT) | instid1(VALU_DEP_1)
	v_and_b32_e32 v10, 0x80000000, v10
	v_lshl_add_u32 v2, v2, 23, v10
                                        ; implicit-def: $vgpr10
	s_delay_alu instid0(VALU_DEP_1) | instskip(NEXT) | instid1(VALU_DEP_1)
	v_lshl_or_b32 v2, v11, 21, v2
                                        ; implicit-def: $vgpr11
	v_add_nc_u32_e32 v2, 0x38000000, v2
.LBB4_7646:                             ;   in Loop: Header=BB4_7212 Depth=2
	s_and_not1_saveexec_b32 s41, s41
; %bb.7647:                             ;   in Loop: Header=BB4_7212 Depth=2
	v_bfe_i32 v2, v10, 0, 8
	s_delay_alu instid0(VALU_DEP_1) | instskip(SKIP_2) | instid1(VALU_DEP_2)
	v_cmp_lt_i16_e32 vcc_lo, -1, v2
	v_cndmask_b32_e32 v2, 0xff800000, v109, vcc_lo
	v_cmp_eq_u32_e32 vcc_lo, 0, v11
	v_cndmask_b32_e32 v2, 0x7f800001, v2, vcc_lo
; %bb.7648:                             ;   in Loop: Header=BB4_7212 Depth=2
	s_or_b32 exec_lo, exec_lo, s41
.LBB4_7649:                             ;   in Loop: Header=BB4_7212 Depth=2
	s_delay_alu instid0(SALU_CYCLE_1)
	s_or_b32 exec_lo, exec_lo, s40
.LBB4_7650:                             ;   in Loop: Header=BB4_7212 Depth=2
	s_delay_alu instid0(SALU_CYCLE_1) | instskip(NEXT) | instid1(VALU_DEP_1)
	s_or_b32 exec_lo, exec_lo, s10
	v_dual_mul_f32 v10, s29, v2 :: v_dual_mov_b32 v21, v37
                                        ; implicit-def: $vgpr112
	s_mov_b32 s10, exec_lo
	s_delay_alu instid0(VALU_DEP_1) | instskip(SKIP_2) | instid1(VALU_DEP_3)
	v_and_b32_e32 v20, 0x7f800000, v10
	v_and_b32_e32 v36, 0x7fffff, v10
	v_lshrrev_b32_e32 v2, 24, v10
	v_cmpx_ne_u64_e32 0x7f800000, v[20:21]
	s_xor_b32 s40, exec_lo, s10
	s_cbranch_execz .LBB4_7664
; %bb.7651:                             ;   in Loop: Header=BB4_7212 Depth=2
	v_and_b32_e32 v20, 0x7fffffff, v10
	v_mov_b32_e32 v21, v37
	v_and_b32_e32 v2, 0x80, v2
                                        ; implicit-def: $vgpr112
	s_mov_b32 s10, exec_lo
	s_delay_alu instid0(VALU_DEP_2)
	v_cmpx_gt_u64_e32 0x47600001, v[20:21]
	s_xor_b32 s41, exec_lo, s10
	s_cbranch_execz .LBB4_7661
; %bb.7652:                             ;   in Loop: Header=BB4_7212 Depth=2
	v_mov_b32_e32 v112, 0
	s_mov_b32 s42, exec_lo
	v_cmpx_ne_u32_e32 0, v10
	s_cbranch_execz .LBB4_7660
; %bb.7653:                             ;   in Loop: Header=BB4_7212 Depth=2
	v_bfe_u32 v20, v10, 23, 8
	v_or_b32_e32 v24, 0x800000, v36
	s_delay_alu instid0(VALU_DEP_2) | instskip(SKIP_1) | instid1(VALU_DEP_2)
	v_dual_mov_b32 v25, v37 :: v_dual_sub_nc_u32 v10, 0x71, v20
	v_cmp_gt_u32_e32 vcc_lo, 0x72, v20
	v_cndmask_b32_e32 v10, 0, v10, vcc_lo
	v_cmp_eq_u32_e32 vcc_lo, 0, v20
	s_delay_alu instid0(VALU_DEP_2) | instskip(NEXT) | instid1(VALU_DEP_1)
	v_cndmask_b32_e64 v21, v10, 0x70, vcc_lo
	v_dual_cndmask_b32 v24, v24, v36, vcc_lo :: v_dual_add_nc_u32 v10, 21, v21
	v_add_nc_u32_e32 v30, 20, v21
	s_delay_alu instid0(VALU_DEP_2) | instskip(NEXT) | instid1(VALU_DEP_2)
	v_lshlrev_b64_e64 v[10:11], v10, -1
	v_lshlrev_b64_e64 v[30:31], v30, 1
	s_delay_alu instid0(VALU_DEP_2) | instskip(NEXT) | instid1(VALU_DEP_3)
	v_bfi_b32 v83, v11, 0, 0
	v_bfi_b32 v82, v10, 0, v24
	v_lshrrev_b64 v[10:11], v21, v[24:25]
	s_delay_alu instid0(VALU_DEP_2) | instskip(NEXT) | instid1(VALU_DEP_2)
	v_cmp_eq_u64_e64 s10, v[82:83], v[30:31]
	v_mov_b64_e32 v[82:83], v[10:11]
	s_and_saveexec_b32 s43, s10
; %bb.7654:                             ;   in Loop: Header=BB4_7212 Depth=2
	v_bfe_u32 v24, v10, 21, 1
	v_mov_b32_e32 v25, v37
	s_delay_alu instid0(VALU_DEP_1) | instskip(NEXT) | instid1(VALU_DEP_1)
	v_add_nc_u64_e32 v[24:25], v[10:11], v[24:25]
	v_add_nc_u64_e32 v[82:83], -1, v[24:25]
; %bb.7655:                             ;   in Loop: Header=BB4_7212 Depth=2
	s_or_b32 exec_lo, exec_lo, s43
	v_add_nc_u32_e32 v11, 0xffffff81, v20
	v_lshrrev_b32_e32 v20, 23, v10
	s_mov_b32 s10, exec_lo
	s_delay_alu instid0(VALU_DEP_2) | instskip(NEXT) | instid1(VALU_DEP_1)
	v_cndmask_b32_e64 v11, v11, 0xffffff82, vcc_lo
	v_add3_u32 v21, v21, v11, v20
	v_and_b32_e32 v11, 0x1fffff, v82
                                        ; implicit-def: $vgpr20
	s_delay_alu instid0(VALU_DEP_1) | instskip(NEXT) | instid1(VALU_DEP_1)
	v_dual_add_nc_u32 v30, 14, v21 :: v_dual_add_nc_u32 v36, v11, v10
                                        ; implicit-def: $vgpr10_vgpr11
	v_cmpx_ne_u32_e32 0, v30
	s_xor_b32 s10, exec_lo, s10
; %bb.7656:                             ;   in Loop: Header=BB4_7212 Depth=2
	s_delay_alu instid0(VALU_DEP_2) | instskip(SKIP_1) | instid1(VALU_DEP_1)
	v_cmp_lt_u64_e32 vcc_lo, 0xffffff, v[36:37]
	v_add_nc_u32_e32 v10, 15, v21
	v_cndmask_b32_e32 v20, v30, v10, vcc_lo
	v_cndmask_b32_e64 v10, 0, 1, vcc_lo
	s_delay_alu instid0(VALU_DEP_1)
	v_lshrrev_b64 v[10:11], v10, v[36:37]
; %bb.7657:                             ;   in Loop: Header=BB4_7212 Depth=2
	s_and_not1_saveexec_b32 s10, s10
; %bb.7658:                             ;   in Loop: Header=BB4_7212 Depth=2
	v_mov_b64_e32 v[10:11], v[36:37]
	v_bfe_u32 v20, v36, 23, 1
; %bb.7659:                             ;   in Loop: Header=BB4_7212 Depth=2
	s_or_b32 exec_lo, exec_lo, s10
	s_delay_alu instid0(VALU_DEP_2) | instskip(NEXT) | instid1(VALU_DEP_2)
	v_lshrrev_b64 v[10:11], 21, v[10:11]
	v_cmp_gt_i32_e32 vcc_lo, 32, v20
	v_min_i32_e32 v21, 31, v20
	v_cmp_eq_u32_e64 s10, 0, v20
	s_delay_alu instid0(VALU_DEP_2) | instskip(SKIP_1) | instid1(VALU_DEP_2)
	v_dual_cndmask_b32 v11, 0, v11, vcc_lo :: v_dual_lshlrev_b32 v21, 2, v21
	v_cndmask_b32_e32 v10, 3, v10, vcc_lo
	v_and_b32_e32 v21, 0xfc, v21
	s_delay_alu instid0(VALU_DEP_2) | instskip(NEXT) | instid1(VALU_DEP_2)
	v_cmp_eq_u64_e32 vcc_lo, 0, v[10:11]
	v_and_or_b32 v10, v10, 3, v21
	s_and_b32 s10, s10, vcc_lo
	s_delay_alu instid0(VALU_DEP_1) | instid1(SALU_CYCLE_1)
	v_cndmask_b32_e64 v10, v10, 0, s10
	s_delay_alu instid0(VALU_DEP_1)
	v_or_b32_e32 v112, v10, v2
.LBB4_7660:                             ;   in Loop: Header=BB4_7212 Depth=2
	s_or_b32 exec_lo, exec_lo, s42
                                        ; implicit-def: $vgpr2
.LBB4_7661:                             ;   in Loop: Header=BB4_7212 Depth=2
	s_and_not1_saveexec_b32 s10, s41
; %bb.7662:                             ;   in Loop: Header=BB4_7212 Depth=2
	v_or_b32_e32 v112, 0x7b, v2
; %bb.7663:                             ;   in Loop: Header=BB4_7212 Depth=2
	s_or_b32 exec_lo, exec_lo, s10
                                        ; implicit-def: $vgpr10
                                        ; implicit-def: $vgpr2
.LBB4_7664:                             ;   in Loop: Header=BB4_7212 Depth=2
	s_and_not1_saveexec_b32 s10, s40
	s_cbranch_execz .LBB4_7670
; %bb.7665:                             ;   in Loop: Header=BB4_7212 Depth=2
	s_mov_b32 s40, exec_lo
                                        ; implicit-def: $vgpr112
	v_cmpx_ne_u64_e32 0, v[36:37]
	s_xor_b32 s40, exec_lo, s40
; %bb.7666:                             ;   in Loop: Header=BB4_7212 Depth=2
	v_or_b32_e32 v112, 0x7f, v2
                                        ; implicit-def: $vgpr10
; %bb.7667:                             ;   in Loop: Header=BB4_7212 Depth=2
	s_and_not1_saveexec_b32 s40, s40
; %bb.7668:                             ;   in Loop: Header=BB4_7212 Depth=2
	v_cmp_lt_i32_e32 vcc_lo, -1, v10
	v_cndmask_b32_e32 v112, 0xfc, v110, vcc_lo
; %bb.7669:                             ;   in Loop: Header=BB4_7212 Depth=2
	s_or_b32 exec_lo, exec_lo, s40
.LBB4_7670:                             ;   in Loop: Header=BB4_7212 Depth=2
	s_delay_alu instid0(SALU_CYCLE_1)
	s_or_b32 exec_lo, exec_lo, s10
	v_mov_b32_e32 v2, 0
	s_mov_b32 s10, exec_lo
	v_cmpx_lt_u64_e64 s[12:13], v[12:13]
	s_cbranch_execz .LBB4_7680
; %bb.7671:                             ;   in Loop: Header=BB4_7212 Depth=2
	v_lshrrev_b32_e32 v10, 24, v13
	v_bfrev_b32_e32 v2, 1
	s_mov_b32 s40, exec_lo
	s_delay_alu instid0(VALU_DEP_2)
	v_cmpx_ne_u32_e32 0x80, v10
	s_cbranch_execz .LBB4_7679
; %bb.7672:                             ;   in Loop: Header=BB4_7212 Depth=2
	v_and_b32_e32 v2, 0x7c000000, v13
	v_bfe_u32 v11, v13, 24, 2
	s_delay_alu instid0(VALU_DEP_2) | instskip(SKIP_1) | instid1(SALU_CYCLE_1)
	v_cmp_ne_u32_e32 vcc_lo, 0x7c000000, v2
                                        ; implicit-def: $vgpr2
	s_and_saveexec_b32 s41, vcc_lo
	s_xor_b32 s41, exec_lo, s41
	s_cbranch_execz .LBB4_7676
; %bb.7673:                             ;   in Loop: Header=BB4_7212 Depth=2
	v_bfe_u32 v2, v13, 26, 5
	s_mov_b32 s42, exec_lo
	s_delay_alu instid0(VALU_DEP_1)
	v_cmpx_eq_u32_e32 0, v2
; %bb.7674:                             ;   in Loop: Header=BB4_7212 Depth=2
	v_clz_i32_u32_e32 v2, v11
	s_delay_alu instid0(VALU_DEP_1) | instskip(NEXT) | instid1(VALU_DEP_1)
	v_min_u32_e32 v2, 32, v2
	v_subrev_nc_u32_e32 v11, 29, v2
	v_sub_nc_u32_e32 v2, 30, v2
	s_delay_alu instid0(VALU_DEP_2) | instskip(NEXT) | instid1(VALU_DEP_1)
	v_lshlrev_b64_e32 v[10:11], v11, v[10:11]
	v_and_b32_e32 v11, 3, v10
; %bb.7675:                             ;   in Loop: Header=BB4_7212 Depth=2
	s_or_b32 exec_lo, exec_lo, s42
	v_and_b32_e32 v10, 0x80000000, v13
                                        ; implicit-def: $vgpr12_vgpr13
	s_delay_alu instid0(VALU_DEP_1) | instskip(NEXT) | instid1(VALU_DEP_1)
	v_lshl_add_u32 v2, v2, 23, v10
	v_lshl_or_b32 v2, v11, 21, v2
                                        ; implicit-def: $vgpr11
	s_delay_alu instid0(VALU_DEP_1)
	v_add_nc_u32_e32 v2, 0x38000000, v2
.LBB4_7676:                             ;   in Loop: Header=BB4_7212 Depth=2
	s_and_not1_saveexec_b32 s41, s41
; %bb.7677:                             ;   in Loop: Header=BB4_7212 Depth=2
	v_cmp_lt_i64_e32 vcc_lo, -1, v[12:13]
	v_cndmask_b32_e32 v2, 0xff800000, v109, vcc_lo
	v_cmp_eq_u32_e32 vcc_lo, 0, v11
	s_delay_alu instid0(VALU_DEP_2)
	v_cndmask_b32_e32 v2, 0x7f800001, v2, vcc_lo
; %bb.7678:                             ;   in Loop: Header=BB4_7212 Depth=2
	s_or_b32 exec_lo, exec_lo, s41
.LBB4_7679:                             ;   in Loop: Header=BB4_7212 Depth=2
	s_delay_alu instid0(SALU_CYCLE_1)
	s_or_b32 exec_lo, exec_lo, s40
.LBB4_7680:                             ;   in Loop: Header=BB4_7212 Depth=2
	s_delay_alu instid0(SALU_CYCLE_1) | instskip(NEXT) | instid1(VALU_DEP_1)
	s_or_b32 exec_lo, exec_lo, s10
	v_dual_mul_f32 v10, s29, v2 :: v_dual_mov_b32 v13, v37
                                        ; implicit-def: $vgpr115
	s_mov_b32 s10, exec_lo
	s_delay_alu instid0(VALU_DEP_1) | instskip(SKIP_2) | instid1(VALU_DEP_3)
	v_and_b32_e32 v12, 0x7f800000, v10
	v_and_b32_e32 v36, 0x7fffff, v10
	v_lshrrev_b32_e32 v2, 24, v10
	v_cmpx_ne_u64_e32 0x7f800000, v[12:13]
	s_xor_b32 s29, exec_lo, s10
	s_cbranch_execz .LBB4_7694
; %bb.7681:                             ;   in Loop: Header=BB4_7212 Depth=2
	v_and_b32_e32 v12, 0x7fffffff, v10
	v_mov_b32_e32 v13, v37
	v_and_b32_e32 v2, 0x80, v2
                                        ; implicit-def: $vgpr115
	s_mov_b32 s10, exec_lo
	s_delay_alu instid0(VALU_DEP_2)
	v_cmpx_gt_u64_e32 0x47600001, v[12:13]
	s_xor_b32 s40, exec_lo, s10
	s_cbranch_execz .LBB4_7691
; %bb.7682:                             ;   in Loop: Header=BB4_7212 Depth=2
	v_mov_b32_e32 v115, 0
	s_mov_b32 s41, exec_lo
	v_cmpx_ne_u32_e32 0, v10
	s_cbranch_execz .LBB4_7690
; %bb.7683:                             ;   in Loop: Header=BB4_7212 Depth=2
	v_bfe_u32 v20, v10, 23, 8
	v_or_b32_e32 v12, 0x800000, v36
	s_mov_b32 s42, exec_lo
	s_delay_alu instid0(VALU_DEP_2) | instskip(SKIP_1) | instid1(VALU_DEP_2)
	v_dual_mov_b32 v13, v37 :: v_dual_sub_nc_u32 v10, 0x71, v20
	v_cmp_gt_u32_e32 vcc_lo, 0x72, v20
	v_cndmask_b32_e32 v10, 0, v10, vcc_lo
	v_cmp_eq_u32_e32 vcc_lo, 0, v20
	s_delay_alu instid0(VALU_DEP_2) | instskip(NEXT) | instid1(VALU_DEP_1)
	v_cndmask_b32_e64 v21, v10, 0x70, vcc_lo
	v_dual_cndmask_b32 v12, v12, v36, vcc_lo :: v_dual_add_nc_u32 v10, 21, v21
	v_add_nc_u32_e32 v24, 20, v21
	s_delay_alu instid0(VALU_DEP_2) | instskip(NEXT) | instid1(VALU_DEP_2)
	v_lshlrev_b64_e64 v[10:11], v10, -1
	v_lshlrev_b64_e64 v[24:25], v24, 1
	s_delay_alu instid0(VALU_DEP_2) | instskip(NEXT) | instid1(VALU_DEP_3)
	v_bfi_b32 v31, v11, 0, 0
	v_bfi_b32 v30, v10, 0, v12
	v_lshrrev_b64 v[10:11], v21, v[12:13]
	s_delay_alu instid0(VALU_DEP_1) | instskip(NEXT) | instid1(VALU_DEP_3)
	v_mov_b64_e32 v[12:13], v[10:11]
	v_cmpx_eq_u64_e64 v[30:31], v[24:25]
; %bb.7684:                             ;   in Loop: Header=BB4_7212 Depth=2
	v_bfe_u32 v12, v10, 21, 1
	v_mov_b32_e32 v13, v37
	s_delay_alu instid0(VALU_DEP_1) | instskip(NEXT) | instid1(VALU_DEP_1)
	v_add_nc_u64_e32 v[12:13], v[10:11], v[12:13]
	v_add_nc_u64_e32 v[12:13], -1, v[12:13]
; %bb.7685:                             ;   in Loop: Header=BB4_7212 Depth=2
	s_or_b32 exec_lo, exec_lo, s42
	v_add_nc_u32_e32 v11, 0xffffff81, v20
	v_lshrrev_b32_e32 v13, 23, v10
	s_mov_b32 s10, exec_lo
	s_delay_alu instid0(VALU_DEP_2) | instskip(NEXT) | instid1(VALU_DEP_1)
	v_cndmask_b32_e64 v11, v11, 0xffffff82, vcc_lo
	v_add3_u32 v13, v21, v11, v13
	v_and_b32_e32 v11, 0x1fffff, v12
                                        ; implicit-def: $vgpr12
	s_delay_alu instid0(VALU_DEP_1) | instskip(NEXT) | instid1(VALU_DEP_1)
	v_dual_add_nc_u32 v20, 14, v13 :: v_dual_add_nc_u32 v36, v11, v10
                                        ; implicit-def: $vgpr10_vgpr11
	v_cmpx_ne_u32_e32 0, v20
	s_xor_b32 s10, exec_lo, s10
; %bb.7686:                             ;   in Loop: Header=BB4_7212 Depth=2
	s_delay_alu instid0(VALU_DEP_2) | instskip(SKIP_1) | instid1(VALU_DEP_1)
	v_cmp_lt_u64_e32 vcc_lo, 0xffffff, v[36:37]
	v_add_nc_u32_e32 v10, 15, v13
	v_cndmask_b32_e32 v12, v20, v10, vcc_lo
	v_cndmask_b32_e64 v10, 0, 1, vcc_lo
	s_delay_alu instid0(VALU_DEP_1)
	v_lshrrev_b64 v[10:11], v10, v[36:37]
; %bb.7687:                             ;   in Loop: Header=BB4_7212 Depth=2
	s_and_not1_saveexec_b32 s10, s10
; %bb.7688:                             ;   in Loop: Header=BB4_7212 Depth=2
	v_mov_b64_e32 v[10:11], v[36:37]
	v_bfe_u32 v12, v36, 23, 1
; %bb.7689:                             ;   in Loop: Header=BB4_7212 Depth=2
	s_or_b32 exec_lo, exec_lo, s10
	s_delay_alu instid0(VALU_DEP_2) | instskip(NEXT) | instid1(VALU_DEP_2)
	v_lshrrev_b64 v[10:11], 21, v[10:11]
	v_cmp_gt_i32_e32 vcc_lo, 32, v12
	v_min_i32_e32 v13, 31, v12
	v_cmp_eq_u32_e64 s10, 0, v12
	s_delay_alu instid0(VALU_DEP_2) | instskip(SKIP_1) | instid1(VALU_DEP_2)
	v_dual_cndmask_b32 v11, 0, v11, vcc_lo :: v_dual_lshlrev_b32 v13, 2, v13
	v_cndmask_b32_e32 v10, 3, v10, vcc_lo
	v_and_b32_e32 v13, 0xfc, v13
	s_delay_alu instid0(VALU_DEP_2) | instskip(NEXT) | instid1(VALU_DEP_2)
	v_cmp_eq_u64_e32 vcc_lo, 0, v[10:11]
	v_and_or_b32 v10, v10, 3, v13
	s_and_b32 s10, s10, vcc_lo
	s_delay_alu instid0(VALU_DEP_1) | instid1(SALU_CYCLE_1)
	v_cndmask_b32_e64 v10, v10, 0, s10
	s_delay_alu instid0(VALU_DEP_1)
	v_or_b32_e32 v115, v10, v2
.LBB4_7690:                             ;   in Loop: Header=BB4_7212 Depth=2
	s_or_b32 exec_lo, exec_lo, s41
                                        ; implicit-def: $vgpr2
.LBB4_7691:                             ;   in Loop: Header=BB4_7212 Depth=2
	s_and_not1_saveexec_b32 s10, s40
; %bb.7692:                             ;   in Loop: Header=BB4_7212 Depth=2
	v_or_b32_e32 v115, 0x7b, v2
; %bb.7693:                             ;   in Loop: Header=BB4_7212 Depth=2
	s_or_b32 exec_lo, exec_lo, s10
                                        ; implicit-def: $vgpr10
                                        ; implicit-def: $vgpr2
.LBB4_7694:                             ;   in Loop: Header=BB4_7212 Depth=2
	s_and_not1_saveexec_b32 s10, s29
	s_cbranch_execz .LBB4_7700
; %bb.7695:                             ;   in Loop: Header=BB4_7212 Depth=2
	s_mov_b32 s29, exec_lo
                                        ; implicit-def: $vgpr115
	v_cmpx_ne_u64_e32 0, v[36:37]
	s_xor_b32 s29, exec_lo, s29
; %bb.7696:                             ;   in Loop: Header=BB4_7212 Depth=2
	v_or_b32_e32 v115, 0x7f, v2
                                        ; implicit-def: $vgpr10
; %bb.7697:                             ;   in Loop: Header=BB4_7212 Depth=2
	s_and_not1_saveexec_b32 s29, s29
; %bb.7698:                             ;   in Loop: Header=BB4_7212 Depth=2
	v_cmp_lt_i32_e32 vcc_lo, -1, v10
	v_cndmask_b32_e32 v115, 0xfc, v110, vcc_lo
; %bb.7699:                             ;   in Loop: Header=BB4_7212 Depth=2
	s_or_b32 exec_lo, exec_lo, s29
.LBB4_7700:                             ;   in Loop: Header=BB4_7212 Depth=2
	s_delay_alu instid0(SALU_CYCLE_1)
	s_or_b32 exec_lo, exec_lo, s10
	global_load_b128 v[10:13], v[80:81], off th:TH_LOAD_NT
	v_lshl_or_b32 v2, v98, 8, v87
	v_dual_lshlrev_b32 v20, 16, v100 :: v_dual_lshlrev_b32 v21, 24, v103
	v_mov_b32_e32 v30, 0
	s_mov_b32 s10, exec_lo
	s_delay_alu instid0(VALU_DEP_2)
	v_or3_b32 v36, v20, v21, v2
	s_wait_xcnt 0x0
	v_cmpx_ne_u32_e32 0, v87
	s_cbranch_execz .LBB4_7710
; %bb.7701:                             ;   in Loop: Header=BB4_7212 Depth=2
	v_bfrev_b32_e32 v30, 1
	s_mov_b32 s29, exec_lo
	v_cmpx_ne_u32_e32 0x80, v87
	s_cbranch_execz .LBB4_7709
; %bb.7702:                             ;   in Loop: Header=BB4_7212 Depth=2
	v_and_b32_e32 v21, 0x7c, v87
	v_and_b32_e32 v20, 3, v87
	s_mov_b32 s40, exec_lo
                                        ; implicit-def: $vgpr30
	s_delay_alu instid0(VALU_DEP_2)
	v_cmpx_ne_u32_e32 0x7c, v21
	s_xor_b32 s40, exec_lo, s40
	s_cbranch_execz .LBB4_7706
; %bb.7703:                             ;   in Loop: Header=BB4_7212 Depth=2
	v_bfe_u32 v21, v87, 2, 5
	s_mov_b32 s41, exec_lo
	s_delay_alu instid0(VALU_DEP_1)
	v_cmpx_eq_u32_e32 0, v21
; %bb.7704:                             ;   in Loop: Header=BB4_7212 Depth=2
	v_clz_i32_u32_e32 v20, v20
	s_delay_alu instid0(VALU_DEP_1) | instskip(NEXT) | instid1(VALU_DEP_1)
	v_min_u32_e32 v24, 32, v20
	v_subrev_nc_u32_e32 v20, 29, v24
	s_delay_alu instid0(VALU_DEP_1) | instskip(SKIP_1) | instid1(VALU_DEP_2)
	v_lshlrev_b64_e32 v[20:21], v20, v[36:37]
	v_sub_nc_u32_e32 v21, 30, v24
	v_and_b32_e32 v20, 3, v20
; %bb.7705:                             ;   in Loop: Header=BB4_7212 Depth=2
	s_or_b32 exec_lo, exec_lo, s41
	v_lshlrev_b32_e32 v24, 24, v87
                                        ; implicit-def: $vgpr87
	s_delay_alu instid0(VALU_DEP_1) | instskip(NEXT) | instid1(VALU_DEP_1)
	v_and_b32_e32 v24, 0x80000000, v24
	v_lshl_add_u32 v21, v21, 23, v24
	s_delay_alu instid0(VALU_DEP_1) | instskip(NEXT) | instid1(VALU_DEP_1)
	v_lshl_or_b32 v20, v20, 21, v21
	v_add_nc_u32_e32 v30, 0x38000000, v20
                                        ; implicit-def: $vgpr20
.LBB4_7706:                             ;   in Loop: Header=BB4_7212 Depth=2
	s_and_not1_saveexec_b32 s40, s40
; %bb.7707:                             ;   in Loop: Header=BB4_7212 Depth=2
	v_and_b32_e32 v21, 0x80, v87
	s_delay_alu instid0(VALU_DEP_1) | instskip(SKIP_2) | instid1(VALU_DEP_2)
	v_cmp_eq_u32_e32 vcc_lo, 0, v21
	v_cndmask_b32_e32 v21, 0xff800000, v109, vcc_lo
	v_cmp_eq_u32_e32 vcc_lo, 0, v20
	v_cndmask_b32_e32 v30, 0x7f800001, v21, vcc_lo
; %bb.7708:                             ;   in Loop: Header=BB4_7212 Depth=2
	s_or_b32 exec_lo, exec_lo, s40
.LBB4_7709:                             ;   in Loop: Header=BB4_7212 Depth=2
	s_delay_alu instid0(SALU_CYCLE_1)
	s_or_b32 exec_lo, exec_lo, s29
.LBB4_7710:                             ;   in Loop: Header=BB4_7212 Depth=2
	s_delay_alu instid0(SALU_CYCLE_1) | instskip(SKIP_4) | instid1(VALU_DEP_1)
	s_or_b32 exec_lo, exec_lo, s10
	s_wait_loadcnt 0x0
	v_and_b32_e32 v21, 0xff, v10
	s_mov_b32 s29, 0
	s_mov_b32 s10, exec_lo
	v_cmpx_lt_i16_e32 0x7f, v21
	s_xor_b32 s10, exec_lo, s10
	s_cbranch_execnz .LBB4_8227
; %bb.7711:                             ;   in Loop: Header=BB4_7212 Depth=2
	s_or_saveexec_b32 s10, s10
	v_bfrev_b32_e32 v20, 1
	s_xor_b32 exec_lo, exec_lo, s10
	s_cbranch_execnz .LBB4_8230
.LBB4_7712:                             ;   in Loop: Header=BB4_7212 Depth=2
	s_or_b32 exec_lo, exec_lo, s10
	s_and_saveexec_b32 s10, s29
	s_cbranch_execz .LBB4_7714
.LBB4_7713:                             ;   in Loop: Header=BB4_7212 Depth=2
	v_and_b32_e32 v24, 3, v10
	v_bfe_u32 v31, v10, 2, 5
	s_delay_alu instid0(VALU_DEP_2) | instskip(NEXT) | instid1(VALU_DEP_2)
	v_clz_i32_u32_e32 v20, v24
	v_cmp_eq_u32_e32 vcc_lo, 0, v31
	s_delay_alu instid0(VALU_DEP_2) | instskip(NEXT) | instid1(VALU_DEP_1)
	v_min_u32_e32 v25, 32, v20
	v_subrev_nc_u32_e32 v20, 29, v25
	s_delay_alu instid0(VALU_DEP_1) | instskip(SKIP_1) | instid1(VALU_DEP_1)
	v_lshlrev_b64_e32 v[20:21], v20, v[10:11]
	v_dual_lshlrev_b32 v21, 24, v10 :: v_dual_sub_nc_u32 v25, 30, v25
	v_and_b32_e32 v21, 0x80000000, v21
	s_delay_alu instid0(VALU_DEP_2) | instskip(SKIP_1) | instid1(VALU_DEP_2)
	v_dual_cndmask_b32 v25, v31, v25, vcc_lo :: v_dual_bitop2_b32 v20, 3, v20 bitop3:0x40
	v_bfe_i32 v31, v10, 0, 8
	v_cndmask_b32_e32 v20, v24, v20, vcc_lo
	s_delay_alu instid0(VALU_DEP_3) | instskip(NEXT) | instid1(VALU_DEP_3)
	v_lshl_add_u32 v21, v25, 23, v21
	v_cmp_lt_i16_e32 vcc_lo, -1, v31
	s_delay_alu instid0(VALU_DEP_2) | instskip(SKIP_3) | instid1(VALU_DEP_4)
	v_lshl_or_b32 v20, v20, 21, v21
	v_cndmask_b32_e32 v25, 0xff800000, v109, vcc_lo
	v_and_b32_e32 v21, 0x7c, v10
	v_cmp_eq_u32_e32 vcc_lo, 0, v24
	v_add_nc_u32_e32 v20, 0x38000000, v20
	s_delay_alu instid0(VALU_DEP_4) | instskip(NEXT) | instid1(VALU_DEP_4)
	v_cndmask_b32_e32 v24, 0x7f800001, v25, vcc_lo
	v_cmp_eq_u32_e32 vcc_lo, 0x7c, v21
	s_delay_alu instid0(VALU_DEP_2)
	v_cndmask_b32_e32 v20, v20, v24, vcc_lo
.LBB4_7714:                             ;   in Loop: Header=BB4_7212 Depth=2
	s_or_b32 exec_lo, exec_lo, s10
	s_delay_alu instid0(VALU_DEP_1) | instskip(SKIP_1) | instid1(VALU_DEP_2)
	v_dual_add_f32 v84, v30, v20 :: v_dual_mov_b32 v21, v37
	v_mov_b32_e32 v83, v37
                                        ; implicit-def: $vgpr98
	v_and_b32_e32 v20, 0x7f800000, v84
	v_and_b32_e32 v82, 0x7fffff, v84
	s_delay_alu instid0(VALU_DEP_2) | instskip(SKIP_2) | instid1(SALU_CYCLE_1)
	v_cmp_ne_u64_e32 vcc_lo, 0x7f800000, v[20:21]
	v_lshrrev_b32_e32 v20, 24, v84
	s_and_saveexec_b32 s10, vcc_lo
	s_xor_b32 s29, exec_lo, s10
	s_cbranch_execz .LBB4_7728
; %bb.7715:                             ;   in Loop: Header=BB4_7212 Depth=2
	v_and_b32_e32 v24, 0x7fffffff, v84
	v_mov_b32_e32 v25, v37
	v_and_b32_e32 v30, 0x80, v20
                                        ; implicit-def: $vgpr98
	s_mov_b32 s10, exec_lo
	s_delay_alu instid0(VALU_DEP_2)
	v_cmpx_gt_u64_e32 0x47600001, v[24:25]
	s_xor_b32 s40, exec_lo, s10
	s_cbranch_execz .LBB4_7725
; %bb.7716:                             ;   in Loop: Header=BB4_7212 Depth=2
	v_mov_b32_e32 v98, 0
	s_mov_b32 s41, exec_lo
	v_cmpx_ne_u32_e32 0, v84
	s_cbranch_execz .LBB4_7724
; %bb.7717:                             ;   in Loop: Header=BB4_7212 Depth=2
	v_bfe_u32 v20, v84, 23, 8
	v_or_b32_e32 v31, 0x800000, v82
	s_delay_alu instid0(VALU_DEP_2) | instskip(SKIP_1) | instid1(VALU_DEP_2)
	v_sub_nc_u32_e32 v21, 0x71, v20
	v_cmp_gt_u32_e32 vcc_lo, 0x72, v20
	v_cndmask_b32_e32 v21, 0, v21, vcc_lo
	v_cmp_eq_u32_e32 vcc_lo, 0, v20
	s_delay_alu instid0(VALU_DEP_2) | instskip(NEXT) | instid1(VALU_DEP_1)
	v_cndmask_b32_e64 v21, v21, 0x70, vcc_lo
	v_dual_cndmask_b32 v82, v31, v82, vcc_lo :: v_dual_add_nc_u32 v24, 21, v21
	v_add_nc_u32_e32 v84, 20, v21
	s_delay_alu instid0(VALU_DEP_2) | instskip(NEXT) | instid1(VALU_DEP_2)
	v_lshlrev_b64_e64 v[24:25], v24, -1
	v_lshlrev_b64_e64 v[84:85], v84, 1
	s_delay_alu instid0(VALU_DEP_2) | instskip(SKIP_1) | instid1(VALU_DEP_4)
	v_bfi_b32 v24, v24, 0, v82
	v_lshrrev_b64 v[82:83], v21, v[82:83]
	v_bfi_b32 v25, v25, 0, 0
	s_delay_alu instid0(VALU_DEP_1) | instskip(NEXT) | instid1(VALU_DEP_3)
	v_cmp_eq_u64_e64 s10, v[24:25], v[84:85]
	v_mov_b64_e32 v[84:85], v[82:83]
	s_and_saveexec_b32 s42, s10
; %bb.7718:                             ;   in Loop: Header=BB4_7212 Depth=2
	v_bfe_u32 v24, v82, 21, 1
	v_mov_b32_e32 v25, v37
	s_delay_alu instid0(VALU_DEP_1) | instskip(NEXT) | instid1(VALU_DEP_1)
	v_add_nc_u64_e32 v[24:25], v[82:83], v[24:25]
	v_add_nc_u64_e32 v[84:85], -1, v[24:25]
; %bb.7719:                             ;   in Loop: Header=BB4_7212 Depth=2
	s_or_b32 exec_lo, exec_lo, s42
	v_dual_mov_b32 v83, v37 :: v_dual_add_nc_u32 v20, 0xffffff81, v20
	v_lshrrev_b32_e32 v24, 23, v82
	s_mov_b32 s10, exec_lo
	s_delay_alu instid0(VALU_DEP_2) | instskip(NEXT) | instid1(VALU_DEP_1)
	v_cndmask_b32_e64 v20, v20, 0xffffff82, vcc_lo
	v_add3_u32 v21, v21, v20, v24
	v_and_b32_e32 v20, 0x1fffff, v84
	s_delay_alu instid0(VALU_DEP_1) | instskip(NEXT) | instid1(VALU_DEP_1)
	v_dual_add_nc_u32 v84, 14, v21 :: v_dual_add_nc_u32 v82, v20, v82
                                        ; implicit-def: $vgpr20
	v_cmpx_ne_u32_e32 0, v84
	s_xor_b32 s10, exec_lo, s10
; %bb.7720:                             ;   in Loop: Header=BB4_7212 Depth=2
	s_delay_alu instid0(VALU_DEP_2) | instskip(SKIP_2) | instid1(VALU_DEP_2)
	v_cmp_lt_u64_e32 vcc_lo, 0xffffff, v[82:83]
	v_add_nc_u32_e32 v20, 15, v21
	v_cndmask_b32_e64 v21, 0, 1, vcc_lo
	v_cndmask_b32_e32 v20, v84, v20, vcc_lo
	s_delay_alu instid0(VALU_DEP_2)
	v_lshrrev_b64 v[82:83], v21, v[82:83]
; %bb.7721:                             ;   in Loop: Header=BB4_7212 Depth=2
	s_and_not1_saveexec_b32 s10, s10
; %bb.7722:                             ;   in Loop: Header=BB4_7212 Depth=2
	s_delay_alu instid0(VALU_DEP_1)
	v_bfe_u32 v20, v82, 23, 1
; %bb.7723:                             ;   in Loop: Header=BB4_7212 Depth=2
	s_or_b32 exec_lo, exec_lo, s10
	s_delay_alu instid0(VALU_DEP_2) | instskip(NEXT) | instid1(VALU_DEP_2)
	v_lshrrev_b64 v[24:25], 21, v[82:83]
	v_cmp_gt_i32_e32 vcc_lo, 32, v20
	v_min_i32_e32 v21, 31, v20
	v_cmp_eq_u32_e64 s10, 0, v20
	s_delay_alu instid0(VALU_DEP_4) | instskip(NEXT) | instid1(VALU_DEP_3)
	v_cndmask_b32_e32 v25, 0, v25, vcc_lo
	v_dual_cndmask_b32 v24, 3, v24 :: v_dual_lshlrev_b32 v21, 2, v21
	s_delay_alu instid0(VALU_DEP_1) | instskip(NEXT) | instid1(VALU_DEP_2)
	v_and_b32_e32 v21, 0xfc, v21
	v_cmp_eq_u64_e32 vcc_lo, 0, v[24:25]
	s_delay_alu instid0(VALU_DEP_2)
	v_and_or_b32 v20, v24, 3, v21
	s_and_b32 s10, s10, vcc_lo
	s_delay_alu instid0(VALU_DEP_1) | instid1(SALU_CYCLE_1)
	v_cndmask_b32_e64 v20, v20, 0, s10
	s_delay_alu instid0(VALU_DEP_1)
	v_or_b32_e32 v98, v20, v30
.LBB4_7724:                             ;   in Loop: Header=BB4_7212 Depth=2
	s_or_b32 exec_lo, exec_lo, s41
                                        ; implicit-def: $vgpr30
.LBB4_7725:                             ;   in Loop: Header=BB4_7212 Depth=2
	s_and_not1_saveexec_b32 s10, s40
; %bb.7726:                             ;   in Loop: Header=BB4_7212 Depth=2
	v_or_b32_e32 v98, 0x7b, v30
; %bb.7727:                             ;   in Loop: Header=BB4_7212 Depth=2
	s_or_b32 exec_lo, exec_lo, s10
                                        ; implicit-def: $vgpr84
                                        ; implicit-def: $vgpr82_vgpr83
                                        ; implicit-def: $vgpr20
.LBB4_7728:                             ;   in Loop: Header=BB4_7212 Depth=2
	s_and_not1_saveexec_b32 s10, s29
	s_cbranch_execz .LBB4_7734
; %bb.7729:                             ;   in Loop: Header=BB4_7212 Depth=2
	s_mov_b32 s29, exec_lo
                                        ; implicit-def: $vgpr98
	v_cmpx_ne_u64_e32 0, v[82:83]
	s_xor_b32 s29, exec_lo, s29
; %bb.7730:                             ;   in Loop: Header=BB4_7212 Depth=2
	v_or_b32_e32 v98, 0x7f, v20
                                        ; implicit-def: $vgpr84
; %bb.7731:                             ;   in Loop: Header=BB4_7212 Depth=2
	s_and_not1_saveexec_b32 s29, s29
; %bb.7732:                             ;   in Loop: Header=BB4_7212 Depth=2
	v_cmp_lt_i32_e32 vcc_lo, -1, v84
	v_cndmask_b32_e32 v98, 0xfc, v110, vcc_lo
; %bb.7733:                             ;   in Loop: Header=BB4_7212 Depth=2
	s_or_b32 exec_lo, exec_lo, s29
.LBB4_7734:                             ;   in Loop: Header=BB4_7212 Depth=2
	s_delay_alu instid0(SALU_CYCLE_1) | instskip(SKIP_3) | instid1(VALU_DEP_2)
	s_or_b32 exec_lo, exec_lo, s10
	v_lshrrev_b16 v82, 8, v2
	v_mov_b32_e32 v30, 0
	s_mov_b32 s10, exec_lo
	v_cmpx_ne_u16_e32 0, v82
	s_cbranch_execz .LBB4_7744
; %bb.7735:                             ;   in Loop: Header=BB4_7212 Depth=2
	v_bfrev_b32_e32 v30, 1
	s_mov_b32 s29, exec_lo
	v_cmpx_ne_u16_e32 0x80, v82
	s_cbranch_execz .LBB4_7743
; %bb.7736:                             ;   in Loop: Header=BB4_7212 Depth=2
	v_and_b32_e32 v21, 0xffff, v82
	s_mov_b32 s40, exec_lo
                                        ; implicit-def: $vgpr30
	s_delay_alu instid0(VALU_DEP_1) | instskip(SKIP_1) | instid1(VALU_DEP_2)
	v_and_b32_e32 v24, 0x7c, v21
	v_and_b32_e32 v20, 3, v21
	v_cmpx_ne_u32_e32 0x7c, v24
	s_xor_b32 s40, exec_lo, s40
	s_cbranch_execz .LBB4_7740
; %bb.7737:                             ;   in Loop: Header=BB4_7212 Depth=2
	v_bfe_u32 v21, v21, 2, 5
	s_mov_b32 s41, exec_lo
	s_delay_alu instid0(VALU_DEP_1)
	v_cmpx_eq_u32_e32 0, v21
	s_cbranch_execz .LBB4_7739
; %bb.7738:                             ;   in Loop: Header=BB4_7212 Depth=2
	v_clz_i32_u32_e32 v20, v20
	s_delay_alu instid0(VALU_DEP_1) | instskip(SKIP_1) | instid1(VALU_DEP_2)
	v_min_u32_e32 v24, 32, v20
	v_mov_b32_e32 v83, v37
	v_subrev_nc_u32_e32 v20, 29, v24
	s_delay_alu instid0(VALU_DEP_1) | instskip(SKIP_1) | instid1(VALU_DEP_2)
	v_lshlrev_b64_e32 v[20:21], v20, v[82:83]
	v_sub_nc_u32_e32 v21, 30, v24
	v_and_b32_e32 v20, 3, v20
.LBB4_7739:                             ;   in Loop: Header=BB4_7212 Depth=2
	s_or_b32 exec_lo, exec_lo, s41
	v_lshlrev_b32_e32 v2, 16, v2
	s_delay_alu instid0(VALU_DEP_1) | instskip(NEXT) | instid1(VALU_DEP_1)
	v_and_b32_e32 v2, 0x80000000, v2
	v_lshl_add_u32 v2, v21, 23, v2
	s_delay_alu instid0(VALU_DEP_1) | instskip(NEXT) | instid1(VALU_DEP_1)
	v_lshl_or_b32 v2, v20, 21, v2
                                        ; implicit-def: $vgpr20
	v_add_nc_u32_e32 v30, 0x38000000, v2
                                        ; implicit-def: $vgpr2
.LBB4_7740:                             ;   in Loop: Header=BB4_7212 Depth=2
	s_and_not1_saveexec_b32 s40, s40
; %bb.7741:                             ;   in Loop: Header=BB4_7212 Depth=2
	v_cmp_lt_i16_e32 vcc_lo, -1, v2
	v_cndmask_b32_e32 v2, 0xff800000, v109, vcc_lo
	v_cmp_eq_u32_e32 vcc_lo, 0, v20
	s_delay_alu instid0(VALU_DEP_2)
	v_cndmask_b32_e32 v30, 0x7f800001, v2, vcc_lo
; %bb.7742:                             ;   in Loop: Header=BB4_7212 Depth=2
	s_or_b32 exec_lo, exec_lo, s40
.LBB4_7743:                             ;   in Loop: Header=BB4_7212 Depth=2
	s_delay_alu instid0(SALU_CYCLE_1)
	s_or_b32 exec_lo, exec_lo, s29
.LBB4_7744:                             ;   in Loop: Header=BB4_7212 Depth=2
	s_delay_alu instid0(SALU_CYCLE_1) | instskip(SKIP_3) | instid1(VALU_DEP_1)
	s_or_b32 exec_lo, exec_lo, s10
	v_lshrrev_b16 v82, 8, v10
	s_mov_b32 s29, 0
	s_mov_b32 s10, exec_lo
	v_cmpx_lt_i16_e32 0x7f, v82
	s_xor_b32 s10, exec_lo, s10
	s_cbranch_execnz .LBB4_8231
; %bb.7745:                             ;   in Loop: Header=BB4_7212 Depth=2
	s_or_saveexec_b32 s10, s10
	v_bfrev_b32_e32 v2, 1
	s_xor_b32 exec_lo, exec_lo, s10
	s_cbranch_execnz .LBB4_8234
.LBB4_7746:                             ;   in Loop: Header=BB4_7212 Depth=2
	s_or_b32 exec_lo, exec_lo, s10
	s_and_saveexec_b32 s10, s29
	s_cbranch_execz .LBB4_7748
.LBB4_7747:                             ;   in Loop: Header=BB4_7212 Depth=2
	v_and_b32_e32 v2, 0xffff, v82
	s_delay_alu instid0(VALU_DEP_1) | instskip(SKIP_2) | instid1(VALU_DEP_3)
	v_dual_mov_b32 v83, v37 :: v_dual_bitop2_b32 v24, 3, v2 bitop3:0x40
	v_bfe_u32 v31, v2, 2, 5
	v_and_b32_e32 v2, 0x7c, v2
	v_clz_i32_u32_e32 v20, v24
	s_delay_alu instid0(VALU_DEP_3) | instskip(NEXT) | instid1(VALU_DEP_2)
	v_cmp_eq_u32_e32 vcc_lo, 0, v31
	v_min_u32_e32 v25, 32, v20
	s_delay_alu instid0(VALU_DEP_1) | instskip(SKIP_1) | instid1(VALU_DEP_2)
	v_subrev_nc_u32_e32 v20, 29, v25
	v_sub_nc_u32_e32 v25, 30, v25
	v_lshlrev_b64_e32 v[20:21], v20, v[82:83]
	s_delay_alu instid0(VALU_DEP_2) | instskip(NEXT) | instid1(VALU_DEP_1)
	v_dual_lshlrev_b32 v21, 24, v82 :: v_dual_cndmask_b32 v25, v31, v25, vcc_lo
	v_and_b32_e32 v21, 0x80000000, v21
	s_delay_alu instid0(VALU_DEP_3) | instskip(NEXT) | instid1(VALU_DEP_2)
	v_and_b32_e32 v20, 3, v20
	v_lshl_add_u32 v21, v25, 23, v21
	s_delay_alu instid0(VALU_DEP_2) | instskip(SKIP_1) | instid1(VALU_DEP_2)
	v_cndmask_b32_e32 v20, v24, v20, vcc_lo
	v_cmp_lt_i16_e32 vcc_lo, -1, v10
	v_lshl_or_b32 v20, v20, 21, v21
	v_cndmask_b32_e32 v25, 0xff800000, v109, vcc_lo
	v_cmp_eq_u32_e32 vcc_lo, 0, v24
	s_delay_alu instid0(VALU_DEP_3) | instskip(NEXT) | instid1(VALU_DEP_3)
	v_add_nc_u32_e32 v20, 0x38000000, v20
	v_cndmask_b32_e32 v21, 0x7f800001, v25, vcc_lo
	v_cmp_eq_u32_e32 vcc_lo, 0x7c, v2
	s_delay_alu instid0(VALU_DEP_2)
	v_cndmask_b32_e32 v2, v20, v21, vcc_lo
.LBB4_7748:                             ;   in Loop: Header=BB4_7212 Depth=2
	s_or_b32 exec_lo, exec_lo, s10
	s_delay_alu instid0(VALU_DEP_1) | instskip(SKIP_2) | instid1(VALU_DEP_2)
	v_dual_add_f32 v30, v30, v2 :: v_dual_mov_b32 v21, v37
	v_mov_b32_e32 v83, v37
                                        ; implicit-def: $vgpr100
	s_mov_b32 s10, exec_lo
	v_and_b32_e32 v20, 0x7f800000, v30
	v_and_b32_e32 v82, 0x7fffff, v30
	v_lshrrev_b32_e32 v2, 24, v30
	s_delay_alu instid0(VALU_DEP_3)
	v_cmpx_ne_u64_e32 0x7f800000, v[20:21]
	s_xor_b32 s29, exec_lo, s10
	s_cbranch_execz .LBB4_7762
; %bb.7749:                             ;   in Loop: Header=BB4_7212 Depth=2
	v_and_b32_e32 v20, 0x7fffffff, v30
	v_mov_b32_e32 v21, v37
	v_and_b32_e32 v2, 0x80, v2
                                        ; implicit-def: $vgpr100
	s_mov_b32 s10, exec_lo
	s_delay_alu instid0(VALU_DEP_2)
	v_cmpx_gt_u64_e32 0x47600001, v[20:21]
	s_xor_b32 s40, exec_lo, s10
	s_cbranch_execz .LBB4_7759
; %bb.7750:                             ;   in Loop: Header=BB4_7212 Depth=2
	v_mov_b32_e32 v100, 0
	s_mov_b32 s41, exec_lo
	v_cmpx_ne_u32_e32 0, v30
	s_cbranch_execz .LBB4_7758
; %bb.7751:                             ;   in Loop: Header=BB4_7212 Depth=2
	v_bfe_u32 v20, v30, 23, 8
	v_or_b32_e32 v30, 0x800000, v82
	s_mov_b32 s42, exec_lo
	s_delay_alu instid0(VALU_DEP_2) | instskip(SKIP_1) | instid1(VALU_DEP_2)
	v_sub_nc_u32_e32 v21, 0x71, v20
	v_cmp_gt_u32_e32 vcc_lo, 0x72, v20
	v_cndmask_b32_e32 v21, 0, v21, vcc_lo
	v_cmp_eq_u32_e32 vcc_lo, 0, v20
	s_delay_alu instid0(VALU_DEP_2) | instskip(NEXT) | instid1(VALU_DEP_1)
	v_cndmask_b32_e64 v21, v21, 0x70, vcc_lo
	v_dual_cndmask_b32 v82, v30, v82, vcc_lo :: v_dual_add_nc_u32 v24, 21, v21
	v_add_nc_u32_e32 v31, 20, v21
	s_delay_alu instid0(VALU_DEP_2) | instskip(NEXT) | instid1(VALU_DEP_2)
	v_lshlrev_b64_e64 v[24:25], v24, -1
	v_lshlrev_b64_e64 v[30:31], v31, 1
	s_delay_alu instid0(VALU_DEP_2) | instskip(SKIP_1) | instid1(VALU_DEP_4)
	v_bfi_b32 v24, v24, 0, v82
	v_lshrrev_b64 v[82:83], v21, v[82:83]
	v_bfi_b32 v25, v25, 0, 0
	s_delay_alu instid0(VALU_DEP_2) | instskip(NEXT) | instid1(VALU_DEP_2)
	v_mov_b64_e32 v[84:85], v[82:83]
	v_cmpx_eq_u64_e64 v[24:25], v[30:31]
; %bb.7752:                             ;   in Loop: Header=BB4_7212 Depth=2
	v_bfe_u32 v24, v82, 21, 1
	v_mov_b32_e32 v25, v37
	s_delay_alu instid0(VALU_DEP_1) | instskip(NEXT) | instid1(VALU_DEP_1)
	v_add_nc_u64_e32 v[24:25], v[82:83], v[24:25]
	v_add_nc_u64_e32 v[84:85], -1, v[24:25]
; %bb.7753:                             ;   in Loop: Header=BB4_7212 Depth=2
	s_or_b32 exec_lo, exec_lo, s42
	v_dual_mov_b32 v83, v37 :: v_dual_add_nc_u32 v20, 0xffffff81, v20
	v_lshrrev_b32_e32 v24, 23, v82
	s_mov_b32 s10, exec_lo
	s_delay_alu instid0(VALU_DEP_2) | instskip(NEXT) | instid1(VALU_DEP_1)
	v_cndmask_b32_e64 v20, v20, 0xffffff82, vcc_lo
	v_add3_u32 v21, v21, v20, v24
	v_and_b32_e32 v20, 0x1fffff, v84
	s_delay_alu instid0(VALU_DEP_1) | instskip(NEXT) | instid1(VALU_DEP_1)
	v_dual_add_nc_u32 v30, 14, v21 :: v_dual_add_nc_u32 v82, v20, v82
                                        ; implicit-def: $vgpr20
	v_cmpx_ne_u32_e32 0, v30
	s_xor_b32 s10, exec_lo, s10
; %bb.7754:                             ;   in Loop: Header=BB4_7212 Depth=2
	s_delay_alu instid0(VALU_DEP_2) | instskip(SKIP_2) | instid1(VALU_DEP_2)
	v_cmp_lt_u64_e32 vcc_lo, 0xffffff, v[82:83]
	v_add_nc_u32_e32 v20, 15, v21
	v_cndmask_b32_e64 v21, 0, 1, vcc_lo
	v_cndmask_b32_e32 v20, v30, v20, vcc_lo
	s_delay_alu instid0(VALU_DEP_2)
	v_lshrrev_b64 v[82:83], v21, v[82:83]
; %bb.7755:                             ;   in Loop: Header=BB4_7212 Depth=2
	s_and_not1_saveexec_b32 s10, s10
; %bb.7756:                             ;   in Loop: Header=BB4_7212 Depth=2
	s_delay_alu instid0(VALU_DEP_1)
	v_bfe_u32 v20, v82, 23, 1
; %bb.7757:                             ;   in Loop: Header=BB4_7212 Depth=2
	s_or_b32 exec_lo, exec_lo, s10
	s_delay_alu instid0(VALU_DEP_2) | instskip(NEXT) | instid1(VALU_DEP_2)
	v_lshrrev_b64 v[24:25], 21, v[82:83]
	v_cmp_gt_i32_e32 vcc_lo, 32, v20
	v_min_i32_e32 v21, 31, v20
	v_cmp_eq_u32_e64 s10, 0, v20
	s_delay_alu instid0(VALU_DEP_4) | instskip(NEXT) | instid1(VALU_DEP_3)
	v_cndmask_b32_e32 v25, 0, v25, vcc_lo
	v_dual_cndmask_b32 v24, 3, v24 :: v_dual_lshlrev_b32 v21, 2, v21
	s_delay_alu instid0(VALU_DEP_1) | instskip(NEXT) | instid1(VALU_DEP_2)
	v_and_b32_e32 v21, 0xfc, v21
	v_cmp_eq_u64_e32 vcc_lo, 0, v[24:25]
	s_delay_alu instid0(VALU_DEP_2)
	v_and_or_b32 v20, v24, 3, v21
	s_and_b32 s10, s10, vcc_lo
	s_delay_alu instid0(VALU_DEP_1) | instid1(SALU_CYCLE_1)
	v_cndmask_b32_e64 v20, v20, 0, s10
	s_delay_alu instid0(VALU_DEP_1)
	v_or_b32_e32 v100, v20, v2
.LBB4_7758:                             ;   in Loop: Header=BB4_7212 Depth=2
	s_or_b32 exec_lo, exec_lo, s41
                                        ; implicit-def: $vgpr2
.LBB4_7759:                             ;   in Loop: Header=BB4_7212 Depth=2
	s_and_not1_saveexec_b32 s10, s40
; %bb.7760:                             ;   in Loop: Header=BB4_7212 Depth=2
	v_or_b32_e32 v100, 0x7b, v2
; %bb.7761:                             ;   in Loop: Header=BB4_7212 Depth=2
	s_or_b32 exec_lo, exec_lo, s10
                                        ; implicit-def: $vgpr30
                                        ; implicit-def: $vgpr82_vgpr83
                                        ; implicit-def: $vgpr2
.LBB4_7762:                             ;   in Loop: Header=BB4_7212 Depth=2
	s_and_not1_saveexec_b32 s10, s29
	s_cbranch_execz .LBB4_7768
; %bb.7763:                             ;   in Loop: Header=BB4_7212 Depth=2
	s_mov_b32 s29, exec_lo
                                        ; implicit-def: $vgpr100
	v_cmpx_ne_u64_e32 0, v[82:83]
	s_xor_b32 s29, exec_lo, s29
; %bb.7764:                             ;   in Loop: Header=BB4_7212 Depth=2
	v_or_b32_e32 v100, 0x7f, v2
                                        ; implicit-def: $vgpr30
; %bb.7765:                             ;   in Loop: Header=BB4_7212 Depth=2
	s_and_not1_saveexec_b32 s29, s29
; %bb.7766:                             ;   in Loop: Header=BB4_7212 Depth=2
	v_cmp_lt_i32_e32 vcc_lo, -1, v30
	v_cndmask_b32_e32 v100, 0xfc, v110, vcc_lo
; %bb.7767:                             ;   in Loop: Header=BB4_7212 Depth=2
	s_or_b32 exec_lo, exec_lo, s29
.LBB4_7768:                             ;   in Loop: Header=BB4_7212 Depth=2
	s_delay_alu instid0(SALU_CYCLE_1) | instskip(SKIP_2) | instid1(VALU_DEP_1)
	s_or_b32 exec_lo, exec_lo, s10
	v_dual_mov_b32 v2, 0 :: v_dual_lshrrev_b32 v21, 16, v36
	s_mov_b32 s10, exec_lo
	v_and_b32_e32 v20, 0xff, v21
	s_delay_alu instid0(VALU_DEP_1)
	v_cmpx_ne_u16_e32 0, v20
	s_cbranch_execz .LBB4_7778
; %bb.7769:                             ;   in Loop: Header=BB4_7212 Depth=2
	v_bfrev_b32_e32 v2, 1
	s_mov_b32 s29, exec_lo
	v_cmpx_ne_u16_e32 0x80, v20
	s_cbranch_execz .LBB4_7777
; %bb.7770:                             ;   in Loop: Header=BB4_7212 Depth=2
	v_and_b32_e32 v2, 0x7c0000, v36
	v_bfe_u32 v20, v36, 16, 2
	s_delay_alu instid0(VALU_DEP_2) | instskip(SKIP_1) | instid1(SALU_CYCLE_1)
	v_cmp_ne_u32_e32 vcc_lo, 0x7c0000, v2
                                        ; implicit-def: $vgpr2
	s_and_saveexec_b32 s40, vcc_lo
	s_xor_b32 s40, exec_lo, s40
	s_cbranch_execz .LBB4_7774
; %bb.7771:                             ;   in Loop: Header=BB4_7212 Depth=2
	v_bfe_u32 v2, v36, 18, 5
	v_lshrrev_b32_e32 v30, 16, v36
	s_mov_b32 s41, exec_lo
	s_delay_alu instid0(VALU_DEP_2)
	v_cmpx_eq_u32_e32 0, v2
; %bb.7772:                             ;   in Loop: Header=BB4_7212 Depth=2
	v_clz_i32_u32_e32 v2, v20
	s_delay_alu instid0(VALU_DEP_1) | instskip(NEXT) | instid1(VALU_DEP_1)
	v_min_u32_e32 v2, 32, v2
	v_subrev_nc_u32_e32 v20, 29, v2
	s_delay_alu instid0(VALU_DEP_1) | instskip(NEXT) | instid1(VALU_DEP_1)
	v_lshlrev_b64_e32 v[20:21], v20, v[30:31]
	v_dual_sub_nc_u32 v2, 30, v2 :: v_dual_bitop2_b32 v20, 3, v20 bitop3:0x40
; %bb.7773:                             ;   in Loop: Header=BB4_7212 Depth=2
	s_or_b32 exec_lo, exec_lo, s41
	v_lshlrev_b32_e32 v21, 24, v30
	s_delay_alu instid0(VALU_DEP_1) | instskip(NEXT) | instid1(VALU_DEP_1)
	v_and_b32_e32 v21, 0x80000000, v21
	v_lshl_add_u32 v2, v2, 23, v21
                                        ; implicit-def: $vgpr21
	s_delay_alu instid0(VALU_DEP_1) | instskip(NEXT) | instid1(VALU_DEP_1)
	v_lshl_or_b32 v2, v20, 21, v2
                                        ; implicit-def: $vgpr20
	v_add_nc_u32_e32 v2, 0x38000000, v2
.LBB4_7774:                             ;   in Loop: Header=BB4_7212 Depth=2
	s_and_not1_saveexec_b32 s40, s40
; %bb.7775:                             ;   in Loop: Header=BB4_7212 Depth=2
	v_bfe_i32 v2, v21, 0, 8
	s_delay_alu instid0(VALU_DEP_1) | instskip(SKIP_2) | instid1(VALU_DEP_2)
	v_cmp_lt_i16_e32 vcc_lo, -1, v2
	v_cndmask_b32_e32 v2, 0xff800000, v109, vcc_lo
	v_cmp_eq_u32_e32 vcc_lo, 0, v20
	v_cndmask_b32_e32 v2, 0x7f800001, v2, vcc_lo
; %bb.7776:                             ;   in Loop: Header=BB4_7212 Depth=2
	s_or_b32 exec_lo, exec_lo, s40
.LBB4_7777:                             ;   in Loop: Header=BB4_7212 Depth=2
	s_delay_alu instid0(SALU_CYCLE_1)
	s_or_b32 exec_lo, exec_lo, s29
.LBB4_7778:                             ;   in Loop: Header=BB4_7212 Depth=2
	s_delay_alu instid0(SALU_CYCLE_1) | instskip(SKIP_3) | instid1(VALU_DEP_1)
	s_or_b32 exec_lo, exec_lo, s10
	v_lshrrev_b32_e32 v30, 16, v10
	s_mov_b32 s29, 0
	s_mov_b32 s10, exec_lo
	v_and_b32_e32 v21, 0xff, v30
	s_delay_alu instid0(VALU_DEP_1)
	v_cmpx_lt_i16_e32 0x7f, v21
	s_xor_b32 s10, exec_lo, s10
	s_cbranch_execnz .LBB4_8235
; %bb.7779:                             ;   in Loop: Header=BB4_7212 Depth=2
	s_or_saveexec_b32 s10, s10
	v_bfrev_b32_e32 v20, 1
	s_xor_b32 exec_lo, exec_lo, s10
	s_cbranch_execnz .LBB4_8238
.LBB4_7780:                             ;   in Loop: Header=BB4_7212 Depth=2
	s_or_b32 exec_lo, exec_lo, s10
	s_and_saveexec_b32 s10, s29
	s_cbranch_execz .LBB4_7782
.LBB4_7781:                             ;   in Loop: Header=BB4_7212 Depth=2
	v_and_b32_e32 v24, 3, v30
	s_delay_alu instid0(VALU_DEP_1) | instskip(NEXT) | instid1(VALU_DEP_1)
	v_clz_i32_u32_e32 v20, v24
	v_min_u32_e32 v25, 32, v20
	s_delay_alu instid0(VALU_DEP_1) | instskip(NEXT) | instid1(VALU_DEP_1)
	v_subrev_nc_u32_e32 v20, 29, v25
	v_lshlrev_b64_e32 v[20:21], v20, v[30:31]
	v_bfe_u32 v31, v10, 18, 5
	v_dual_lshlrev_b32 v21, 24, v30 :: v_dual_sub_nc_u32 v25, 30, v25
	v_bfe_i32 v30, v30, 0, 8
	s_delay_alu instid0(VALU_DEP_3) | instskip(NEXT) | instid1(VALU_DEP_3)
	v_cmp_eq_u32_e32 vcc_lo, 0, v31
	v_and_b32_e32 v21, 0x80000000, v21
	s_delay_alu instid0(VALU_DEP_4) | instskip(NEXT) | instid1(VALU_DEP_1)
	v_dual_cndmask_b32 v25, v31, v25, vcc_lo :: v_dual_bitop2_b32 v20, 3, v20 bitop3:0x40
	v_cndmask_b32_e32 v20, v24, v20, vcc_lo
	v_cmp_lt_i16_e32 vcc_lo, -1, v30
	s_delay_alu instid0(VALU_DEP_3) | instskip(SKIP_2) | instid1(VALU_DEP_3)
	v_lshl_add_u32 v21, v25, 23, v21
	v_cndmask_b32_e32 v25, 0xff800000, v109, vcc_lo
	v_cmp_eq_u32_e32 vcc_lo, 0, v24
	v_lshl_or_b32 v20, v20, 21, v21
	v_and_b32_e32 v21, 0x7c0000, v10
	s_delay_alu instid0(VALU_DEP_4) | instskip(NEXT) | instid1(VALU_DEP_3)
	v_cndmask_b32_e32 v24, 0x7f800001, v25, vcc_lo
	v_add_nc_u32_e32 v20, 0x38000000, v20
	s_delay_alu instid0(VALU_DEP_3) | instskip(NEXT) | instid1(VALU_DEP_2)
	v_cmp_eq_u32_e32 vcc_lo, 0x7c0000, v21
	v_cndmask_b32_e32 v20, v20, v24, vcc_lo
.LBB4_7782:                             ;   in Loop: Header=BB4_7212 Depth=2
	s_or_b32 exec_lo, exec_lo, s10
	s_delay_alu instid0(VALU_DEP_1) | instskip(SKIP_2) | instid1(VALU_DEP_2)
	v_dual_add_f32 v30, v2, v20 :: v_dual_mov_b32 v21, v37
	v_mov_b32_e32 v83, v37
                                        ; implicit-def: $vgpr103
	s_mov_b32 s10, exec_lo
	v_and_b32_e32 v20, 0x7f800000, v30
	v_and_b32_e32 v82, 0x7fffff, v30
	v_lshrrev_b32_e32 v2, 24, v30
	s_delay_alu instid0(VALU_DEP_3)
	v_cmpx_ne_u64_e32 0x7f800000, v[20:21]
	s_xor_b32 s29, exec_lo, s10
	s_cbranch_execz .LBB4_7796
; %bb.7783:                             ;   in Loop: Header=BB4_7212 Depth=2
	v_and_b32_e32 v20, 0x7fffffff, v30
	v_mov_b32_e32 v21, v37
	v_and_b32_e32 v2, 0x80, v2
                                        ; implicit-def: $vgpr103
	s_mov_b32 s10, exec_lo
	s_delay_alu instid0(VALU_DEP_2)
	v_cmpx_gt_u64_e32 0x47600001, v[20:21]
	s_xor_b32 s40, exec_lo, s10
	s_cbranch_execz .LBB4_7793
; %bb.7784:                             ;   in Loop: Header=BB4_7212 Depth=2
	v_mov_b32_e32 v103, 0
	s_mov_b32 s41, exec_lo
	v_cmpx_ne_u32_e32 0, v30
	s_cbranch_execz .LBB4_7792
; %bb.7785:                             ;   in Loop: Header=BB4_7212 Depth=2
	v_bfe_u32 v20, v30, 23, 8
	v_or_b32_e32 v30, 0x800000, v82
	s_mov_b32 s42, exec_lo
	s_delay_alu instid0(VALU_DEP_2) | instskip(SKIP_1) | instid1(VALU_DEP_2)
	v_sub_nc_u32_e32 v21, 0x71, v20
	v_cmp_gt_u32_e32 vcc_lo, 0x72, v20
	v_cndmask_b32_e32 v21, 0, v21, vcc_lo
	v_cmp_eq_u32_e32 vcc_lo, 0, v20
	s_delay_alu instid0(VALU_DEP_2) | instskip(NEXT) | instid1(VALU_DEP_1)
	v_cndmask_b32_e64 v21, v21, 0x70, vcc_lo
	v_dual_cndmask_b32 v82, v30, v82, vcc_lo :: v_dual_add_nc_u32 v24, 21, v21
	v_add_nc_u32_e32 v31, 20, v21
	s_delay_alu instid0(VALU_DEP_2) | instskip(NEXT) | instid1(VALU_DEP_2)
	v_lshlrev_b64_e64 v[24:25], v24, -1
	v_lshlrev_b64_e64 v[30:31], v31, 1
	s_delay_alu instid0(VALU_DEP_2) | instskip(SKIP_1) | instid1(VALU_DEP_4)
	v_bfi_b32 v24, v24, 0, v82
	v_lshrrev_b64 v[82:83], v21, v[82:83]
	v_bfi_b32 v25, v25, 0, 0
	s_delay_alu instid0(VALU_DEP_2) | instskip(NEXT) | instid1(VALU_DEP_2)
	v_mov_b64_e32 v[84:85], v[82:83]
	v_cmpx_eq_u64_e64 v[24:25], v[30:31]
; %bb.7786:                             ;   in Loop: Header=BB4_7212 Depth=2
	v_bfe_u32 v24, v82, 21, 1
	v_mov_b32_e32 v25, v37
	s_delay_alu instid0(VALU_DEP_1) | instskip(NEXT) | instid1(VALU_DEP_1)
	v_add_nc_u64_e32 v[24:25], v[82:83], v[24:25]
	v_add_nc_u64_e32 v[84:85], -1, v[24:25]
; %bb.7787:                             ;   in Loop: Header=BB4_7212 Depth=2
	s_or_b32 exec_lo, exec_lo, s42
	v_dual_mov_b32 v83, v37 :: v_dual_add_nc_u32 v20, 0xffffff81, v20
	v_lshrrev_b32_e32 v24, 23, v82
	s_mov_b32 s10, exec_lo
	s_delay_alu instid0(VALU_DEP_2) | instskip(NEXT) | instid1(VALU_DEP_1)
	v_cndmask_b32_e64 v20, v20, 0xffffff82, vcc_lo
	v_add3_u32 v21, v21, v20, v24
	v_and_b32_e32 v20, 0x1fffff, v84
	s_delay_alu instid0(VALU_DEP_1) | instskip(NEXT) | instid1(VALU_DEP_1)
	v_dual_add_nc_u32 v30, 14, v21 :: v_dual_add_nc_u32 v82, v20, v82
                                        ; implicit-def: $vgpr20
	v_cmpx_ne_u32_e32 0, v30
	s_xor_b32 s10, exec_lo, s10
; %bb.7788:                             ;   in Loop: Header=BB4_7212 Depth=2
	s_delay_alu instid0(VALU_DEP_2) | instskip(SKIP_2) | instid1(VALU_DEP_2)
	v_cmp_lt_u64_e32 vcc_lo, 0xffffff, v[82:83]
	v_add_nc_u32_e32 v20, 15, v21
	v_cndmask_b32_e64 v21, 0, 1, vcc_lo
	v_cndmask_b32_e32 v20, v30, v20, vcc_lo
	s_delay_alu instid0(VALU_DEP_2)
	v_lshrrev_b64 v[82:83], v21, v[82:83]
; %bb.7789:                             ;   in Loop: Header=BB4_7212 Depth=2
	s_and_not1_saveexec_b32 s10, s10
; %bb.7790:                             ;   in Loop: Header=BB4_7212 Depth=2
	s_delay_alu instid0(VALU_DEP_1)
	v_bfe_u32 v20, v82, 23, 1
; %bb.7791:                             ;   in Loop: Header=BB4_7212 Depth=2
	s_or_b32 exec_lo, exec_lo, s10
	s_delay_alu instid0(VALU_DEP_2) | instskip(NEXT) | instid1(VALU_DEP_2)
	v_lshrrev_b64 v[24:25], 21, v[82:83]
	v_cmp_gt_i32_e32 vcc_lo, 32, v20
	v_min_i32_e32 v21, 31, v20
	v_cmp_eq_u32_e64 s10, 0, v20
	s_delay_alu instid0(VALU_DEP_4) | instskip(NEXT) | instid1(VALU_DEP_3)
	v_cndmask_b32_e32 v25, 0, v25, vcc_lo
	v_dual_cndmask_b32 v24, 3, v24 :: v_dual_lshlrev_b32 v21, 2, v21
	s_delay_alu instid0(VALU_DEP_1) | instskip(NEXT) | instid1(VALU_DEP_2)
	v_and_b32_e32 v21, 0xfc, v21
	v_cmp_eq_u64_e32 vcc_lo, 0, v[24:25]
	s_delay_alu instid0(VALU_DEP_2)
	v_and_or_b32 v20, v24, 3, v21
	s_and_b32 s10, s10, vcc_lo
	s_delay_alu instid0(VALU_DEP_1) | instid1(SALU_CYCLE_1)
	v_cndmask_b32_e64 v20, v20, 0, s10
	s_delay_alu instid0(VALU_DEP_1)
	v_or_b32_e32 v103, v20, v2
.LBB4_7792:                             ;   in Loop: Header=BB4_7212 Depth=2
	s_or_b32 exec_lo, exec_lo, s41
                                        ; implicit-def: $vgpr2
.LBB4_7793:                             ;   in Loop: Header=BB4_7212 Depth=2
	s_and_not1_saveexec_b32 s10, s40
; %bb.7794:                             ;   in Loop: Header=BB4_7212 Depth=2
	v_or_b32_e32 v103, 0x7b, v2
; %bb.7795:                             ;   in Loop: Header=BB4_7212 Depth=2
	s_or_b32 exec_lo, exec_lo, s10
                                        ; implicit-def: $vgpr30
                                        ; implicit-def: $vgpr82_vgpr83
                                        ; implicit-def: $vgpr2
.LBB4_7796:                             ;   in Loop: Header=BB4_7212 Depth=2
	s_and_not1_saveexec_b32 s10, s29
	s_cbranch_execz .LBB4_7802
; %bb.7797:                             ;   in Loop: Header=BB4_7212 Depth=2
	s_mov_b32 s29, exec_lo
                                        ; implicit-def: $vgpr103
	v_cmpx_ne_u64_e32 0, v[82:83]
	s_xor_b32 s29, exec_lo, s29
; %bb.7798:                             ;   in Loop: Header=BB4_7212 Depth=2
	v_or_b32_e32 v103, 0x7f, v2
                                        ; implicit-def: $vgpr30
; %bb.7799:                             ;   in Loop: Header=BB4_7212 Depth=2
	s_and_not1_saveexec_b32 s29, s29
; %bb.7800:                             ;   in Loop: Header=BB4_7212 Depth=2
	v_cmp_lt_i32_e32 vcc_lo, -1, v30
	v_cndmask_b32_e32 v103, 0xfc, v110, vcc_lo
; %bb.7801:                             ;   in Loop: Header=BB4_7212 Depth=2
	s_or_b32 exec_lo, exec_lo, s29
.LBB4_7802:                             ;   in Loop: Header=BB4_7212 Depth=2
	s_delay_alu instid0(SALU_CYCLE_1)
	s_or_b32 exec_lo, exec_lo, s10
	v_mov_b32_e32 v2, 0
	s_mov_b32 s10, exec_lo
	v_cmpx_lt_u32_e32 0xffffff, v36
	s_cbranch_execz .LBB4_7812
; %bb.7803:                             ;   in Loop: Header=BB4_7212 Depth=2
	v_lshrrev_b32_e32 v30, 24, v36
	v_bfrev_b32_e32 v2, 1
	s_mov_b32 s29, exec_lo
	s_delay_alu instid0(VALU_DEP_2)
	v_cmpx_ne_u32_e32 0x80, v30
	s_cbranch_execz .LBB4_7811
; %bb.7804:                             ;   in Loop: Header=BB4_7212 Depth=2
	v_and_b32_e32 v2, 0x7c000000, v36
	v_bfe_u32 v20, v36, 24, 2
	s_delay_alu instid0(VALU_DEP_2) | instskip(SKIP_1) | instid1(SALU_CYCLE_1)
	v_cmp_ne_u32_e32 vcc_lo, 0x7c000000, v2
                                        ; implicit-def: $vgpr2
	s_and_saveexec_b32 s40, vcc_lo
	s_xor_b32 s40, exec_lo, s40
	s_cbranch_execz .LBB4_7808
; %bb.7805:                             ;   in Loop: Header=BB4_7212 Depth=2
	v_bfe_u32 v2, v36, 26, 5
	s_mov_b32 s41, exec_lo
	s_delay_alu instid0(VALU_DEP_1)
	v_cmpx_eq_u32_e32 0, v2
; %bb.7806:                             ;   in Loop: Header=BB4_7212 Depth=2
	v_clz_i32_u32_e32 v2, v20
	s_delay_alu instid0(VALU_DEP_1) | instskip(NEXT) | instid1(VALU_DEP_1)
	v_min_u32_e32 v2, 32, v2
	v_subrev_nc_u32_e32 v20, 29, v2
	s_delay_alu instid0(VALU_DEP_1) | instskip(NEXT) | instid1(VALU_DEP_1)
	v_lshlrev_b64_e32 v[20:21], v20, v[30:31]
	v_dual_sub_nc_u32 v2, 30, v2 :: v_dual_bitop2_b32 v20, 3, v20 bitop3:0x40
; %bb.7807:                             ;   in Loop: Header=BB4_7212 Depth=2
	s_or_b32 exec_lo, exec_lo, s41
	v_and_b32_e32 v21, 0x80000000, v36
	s_delay_alu instid0(VALU_DEP_1) | instskip(NEXT) | instid1(VALU_DEP_1)
	v_lshl_add_u32 v2, v2, 23, v21
	v_lshl_or_b32 v2, v20, 21, v2
                                        ; implicit-def: $vgpr20
	s_delay_alu instid0(VALU_DEP_1)
	v_add_nc_u32_e32 v2, 0x38000000, v2
.LBB4_7808:                             ;   in Loop: Header=BB4_7212 Depth=2
	s_and_not1_saveexec_b32 s40, s40
; %bb.7809:                             ;   in Loop: Header=BB4_7212 Depth=2
	v_cmp_lt_i32_e32 vcc_lo, -1, v36
	v_cndmask_b32_e32 v2, 0xff800000, v109, vcc_lo
	v_cmp_eq_u32_e32 vcc_lo, 0, v20
	s_delay_alu instid0(VALU_DEP_2)
	v_cndmask_b32_e32 v2, 0x7f800001, v2, vcc_lo
; %bb.7810:                             ;   in Loop: Header=BB4_7212 Depth=2
	s_or_b32 exec_lo, exec_lo, s40
.LBB4_7811:                             ;   in Loop: Header=BB4_7212 Depth=2
	s_delay_alu instid0(SALU_CYCLE_1)
	s_or_b32 exec_lo, exec_lo, s29
.LBB4_7812:                             ;   in Loop: Header=BB4_7212 Depth=2
	s_delay_alu instid0(SALU_CYCLE_1) | instskip(SKIP_3) | instid1(VALU_DEP_2)
	s_or_b32 exec_lo, exec_lo, s10
	v_bfe_u32 v21, v10, 24, 2
	v_bfe_u32 v31, v10, 26, 5
                                        ; implicit-def: $vgpr114
	s_mov_b32 s10, exec_lo
	v_clz_i32_u32_e32 v20, v21
	s_delay_alu instid0(VALU_DEP_2) | instskip(NEXT) | instid1(VALU_DEP_2)
	v_cmp_eq_u32_e32 vcc_lo, 0, v31
	v_min_u32_e32 v30, 32, v20
	v_lshrrev_b32_e32 v20, 24, v10
	s_delay_alu instid0(VALU_DEP_2) | instskip(NEXT) | instid1(VALU_DEP_1)
	v_subrev_nc_u32_e32 v24, 29, v30
	v_lshlrev_b64_e32 v[24:25], v24, v[20:21]
	v_sub_nc_u32_e32 v25, 30, v30
	v_and_b32_e32 v30, 0x80000000, v10
	s_delay_alu instid0(VALU_DEP_2) | instskip(NEXT) | instid1(VALU_DEP_1)
	v_dual_cndmask_b32 v25, v31, v25, vcc_lo :: v_dual_bitop2_b32 v24, 3, v24 bitop3:0x40
	v_cndmask_b32_e32 v24, v21, v24, vcc_lo
	s_delay_alu instid0(VALU_DEP_2) | instskip(SKIP_1) | instid1(VALU_DEP_2)
	v_lshl_add_u32 v25, v25, 23, v30
	v_cmp_lt_i32_e32 vcc_lo, -1, v10
	v_lshl_or_b32 v24, v24, 21, v25
	v_cndmask_b32_e32 v30, 0xff800000, v109, vcc_lo
	v_and_b32_e32 v25, 0x7c000000, v10
	v_cmp_eq_u32_e32 vcc_lo, 0, v21
	s_delay_alu instid0(VALU_DEP_4) | instskip(NEXT) | instid1(VALU_DEP_4)
	v_add_nc_u32_e32 v24, 0x38000000, v24
	v_cndmask_b32_e32 v21, 0x7f800001, v30, vcc_lo
	s_delay_alu instid0(VALU_DEP_4) | instskip(NEXT) | instid1(VALU_DEP_2)
	v_cmp_eq_u32_e32 vcc_lo, 0x7c000000, v25
	v_cndmask_b32_e32 v21, v24, v21, vcc_lo
	v_cmp_ne_u32_e32 vcc_lo, 0x80, v20
	s_delay_alu instid0(VALU_DEP_2) | instskip(SKIP_1) | instid1(VALU_DEP_2)
	v_cndmask_b32_e32 v20, 0x80000000, v21, vcc_lo
	v_cmp_lt_u32_e32 vcc_lo, 0xffffff, v10
	v_dual_mov_b32 v21, v37 :: v_dual_cndmask_b32 v20, 0, v20
	s_delay_alu instid0(VALU_DEP_1) | instskip(NEXT) | instid1(VALU_DEP_1)
	v_add_f32_e32 v30, v20, v2
	v_and_b32_e32 v20, 0x7f800000, v30
	v_and_b32_e32 v36, 0x7fffff, v30
	v_lshrrev_b32_e32 v2, 24, v30
	s_delay_alu instid0(VALU_DEP_3)
	v_cmpx_ne_u64_e32 0x7f800000, v[20:21]
	s_xor_b32 s29, exec_lo, s10
	s_cbranch_execz .LBB4_7826
; %bb.7813:                             ;   in Loop: Header=BB4_7212 Depth=2
	v_and_b32_e32 v20, 0x7fffffff, v30
	v_mov_b32_e32 v21, v37
	v_and_b32_e32 v2, 0x80, v2
                                        ; implicit-def: $vgpr114
	s_mov_b32 s10, exec_lo
	s_delay_alu instid0(VALU_DEP_2)
	v_cmpx_gt_u64_e32 0x47600001, v[20:21]
	s_xor_b32 s40, exec_lo, s10
	s_cbranch_execz .LBB4_7823
; %bb.7814:                             ;   in Loop: Header=BB4_7212 Depth=2
	v_mov_b32_e32 v114, 0
	s_mov_b32 s41, exec_lo
	v_cmpx_ne_u32_e32 0, v30
	s_cbranch_execz .LBB4_7822
; %bb.7815:                             ;   in Loop: Header=BB4_7212 Depth=2
	v_bfe_u32 v20, v30, 23, 8
	v_or_b32_e32 v30, 0x800000, v36
	v_mov_b32_e32 v31, v37
	s_delay_alu instid0(VALU_DEP_3) | instskip(SKIP_1) | instid1(VALU_DEP_2)
	v_sub_nc_u32_e32 v21, 0x71, v20
	v_cmp_gt_u32_e32 vcc_lo, 0x72, v20
	v_cndmask_b32_e32 v21, 0, v21, vcc_lo
	v_cmp_eq_u32_e32 vcc_lo, 0, v20
	v_cndmask_b32_e32 v30, v30, v36, vcc_lo
	s_delay_alu instid0(VALU_DEP_3) | instskip(NEXT) | instid1(VALU_DEP_1)
	v_cndmask_b32_e64 v21, v21, 0x70, vcc_lo
	v_dual_add_nc_u32 v24, 21, v21 :: v_dual_add_nc_u32 v82, 20, v21
	s_delay_alu instid0(VALU_DEP_1) | instskip(NEXT) | instid1(VALU_DEP_2)
	v_lshlrev_b64_e64 v[24:25], v24, -1
	v_lshlrev_b64_e64 v[84:85], v82, 1
	v_lshrrev_b64 v[82:83], v21, v[30:31]
	s_delay_alu instid0(VALU_DEP_3) | instskip(NEXT) | instid1(VALU_DEP_4)
	v_bfi_b32 v25, v25, 0, 0
	v_bfi_b32 v24, v24, 0, v30
	s_delay_alu instid0(VALU_DEP_1) | instskip(NEXT) | instid1(VALU_DEP_4)
	v_cmp_eq_u64_e64 s10, v[24:25], v[84:85]
	v_mov_b64_e32 v[84:85], v[82:83]
	s_and_saveexec_b32 s42, s10
; %bb.7816:                             ;   in Loop: Header=BB4_7212 Depth=2
	v_bfe_u32 v24, v82, 21, 1
	v_mov_b32_e32 v25, v37
	s_delay_alu instid0(VALU_DEP_1) | instskip(NEXT) | instid1(VALU_DEP_1)
	v_add_nc_u64_e32 v[24:25], v[82:83], v[24:25]
	v_add_nc_u64_e32 v[84:85], -1, v[24:25]
; %bb.7817:                             ;   in Loop: Header=BB4_7212 Depth=2
	s_or_b32 exec_lo, exec_lo, s42
	v_add_nc_u32_e32 v20, 0xffffff81, v20
	v_lshrrev_b32_e32 v24, 23, v82
	s_mov_b32 s10, exec_lo
	s_delay_alu instid0(VALU_DEP_2) | instskip(NEXT) | instid1(VALU_DEP_1)
	v_cndmask_b32_e64 v20, v20, 0xffffff82, vcc_lo
	v_add3_u32 v21, v21, v20, v24
	v_and_b32_e32 v20, 0x1fffff, v84
	s_delay_alu instid0(VALU_DEP_1) | instskip(NEXT) | instid1(VALU_DEP_1)
	v_dual_add_nc_u32 v30, 14, v21 :: v_dual_add_nc_u32 v36, v20, v82
                                        ; implicit-def: $vgpr82_vgpr83
                                        ; implicit-def: $vgpr20
	v_cmpx_ne_u32_e32 0, v30
	s_xor_b32 s10, exec_lo, s10
; %bb.7818:                             ;   in Loop: Header=BB4_7212 Depth=2
	s_delay_alu instid0(VALU_DEP_2) | instskip(SKIP_2) | instid1(VALU_DEP_2)
	v_cmp_lt_u64_e32 vcc_lo, 0xffffff, v[36:37]
	v_add_nc_u32_e32 v20, 15, v21
	v_cndmask_b32_e64 v21, 0, 1, vcc_lo
	v_cndmask_b32_e32 v20, v30, v20, vcc_lo
	s_delay_alu instid0(VALU_DEP_2)
	v_lshrrev_b64 v[82:83], v21, v[36:37]
; %bb.7819:                             ;   in Loop: Header=BB4_7212 Depth=2
	s_and_not1_saveexec_b32 s10, s10
; %bb.7820:                             ;   in Loop: Header=BB4_7212 Depth=2
	v_mov_b64_e32 v[82:83], v[36:37]
	v_bfe_u32 v20, v36, 23, 1
; %bb.7821:                             ;   in Loop: Header=BB4_7212 Depth=2
	s_or_b32 exec_lo, exec_lo, s10
	s_delay_alu instid0(VALU_DEP_2) | instskip(NEXT) | instid1(VALU_DEP_2)
	v_lshrrev_b64 v[24:25], 21, v[82:83]
	v_cmp_gt_i32_e32 vcc_lo, 32, v20
	v_min_i32_e32 v21, 31, v20
	v_cmp_eq_u32_e64 s10, 0, v20
	s_delay_alu instid0(VALU_DEP_4) | instskip(NEXT) | instid1(VALU_DEP_3)
	v_cndmask_b32_e32 v25, 0, v25, vcc_lo
	v_dual_cndmask_b32 v24, 3, v24 :: v_dual_lshlrev_b32 v21, 2, v21
	s_delay_alu instid0(VALU_DEP_1) | instskip(NEXT) | instid1(VALU_DEP_2)
	v_and_b32_e32 v21, 0xfc, v21
	v_cmp_eq_u64_e32 vcc_lo, 0, v[24:25]
	s_delay_alu instid0(VALU_DEP_2)
	v_and_or_b32 v20, v24, 3, v21
	s_and_b32 s10, s10, vcc_lo
	s_delay_alu instid0(VALU_DEP_1) | instid1(SALU_CYCLE_1)
	v_cndmask_b32_e64 v20, v20, 0, s10
	s_delay_alu instid0(VALU_DEP_1)
	v_or_b32_e32 v114, v20, v2
.LBB4_7822:                             ;   in Loop: Header=BB4_7212 Depth=2
	s_or_b32 exec_lo, exec_lo, s41
                                        ; implicit-def: $vgpr2
.LBB4_7823:                             ;   in Loop: Header=BB4_7212 Depth=2
	s_and_not1_saveexec_b32 s10, s40
; %bb.7824:                             ;   in Loop: Header=BB4_7212 Depth=2
	v_or_b32_e32 v114, 0x7b, v2
; %bb.7825:                             ;   in Loop: Header=BB4_7212 Depth=2
	s_or_b32 exec_lo, exec_lo, s10
                                        ; implicit-def: $vgpr30
                                        ; implicit-def: $vgpr2
.LBB4_7826:                             ;   in Loop: Header=BB4_7212 Depth=2
	s_and_not1_saveexec_b32 s10, s29
	s_cbranch_execz .LBB4_7832
; %bb.7827:                             ;   in Loop: Header=BB4_7212 Depth=2
	s_mov_b32 s29, exec_lo
                                        ; implicit-def: $vgpr114
	v_cmpx_ne_u64_e32 0, v[36:37]
	s_xor_b32 s29, exec_lo, s29
; %bb.7828:                             ;   in Loop: Header=BB4_7212 Depth=2
	v_or_b32_e32 v114, 0x7f, v2
                                        ; implicit-def: $vgpr30
; %bb.7829:                             ;   in Loop: Header=BB4_7212 Depth=2
	s_and_not1_saveexec_b32 s29, s29
; %bb.7830:                             ;   in Loop: Header=BB4_7212 Depth=2
	v_cmp_lt_i32_e32 vcc_lo, -1, v30
	v_cndmask_b32_e32 v114, 0xfc, v110, vcc_lo
; %bb.7831:                             ;   in Loop: Header=BB4_7212 Depth=2
	s_or_b32 exec_lo, exec_lo, s29
.LBB4_7832:                             ;   in Loop: Header=BB4_7212 Depth=2
	s_delay_alu instid0(SALU_CYCLE_1) | instskip(SKIP_4) | instid1(VALU_DEP_2)
	s_or_b32 exec_lo, exec_lo, s10
	v_lshl_or_b32 v2, v117, 8, v86
	v_dual_lshlrev_b32 v20, 16, v119 :: v_dual_lshlrev_b32 v21, 24, v40
	v_mov_b32_e32 v30, 0
	s_mov_b32 s10, exec_lo
	v_or3_b32 v36, v20, v21, v2
	v_cmpx_ne_u32_e32 0, v86
	s_cbranch_execz .LBB4_7842
; %bb.7833:                             ;   in Loop: Header=BB4_7212 Depth=2
	v_bfrev_b32_e32 v30, 1
	s_mov_b32 s29, exec_lo
	v_cmpx_ne_u32_e32 0x80, v86
	s_cbranch_execz .LBB4_7841
; %bb.7834:                             ;   in Loop: Header=BB4_7212 Depth=2
	v_and_b32_e32 v21, 0x7c, v86
	v_and_b32_e32 v20, 3, v86
	s_mov_b32 s40, exec_lo
                                        ; implicit-def: $vgpr30
	s_delay_alu instid0(VALU_DEP_2)
	v_cmpx_ne_u32_e32 0x7c, v21
	s_xor_b32 s40, exec_lo, s40
	s_cbranch_execz .LBB4_7838
; %bb.7835:                             ;   in Loop: Header=BB4_7212 Depth=2
	v_bfe_u32 v21, v86, 2, 5
	s_mov_b32 s41, exec_lo
	s_delay_alu instid0(VALU_DEP_1)
	v_cmpx_eq_u32_e32 0, v21
; %bb.7836:                             ;   in Loop: Header=BB4_7212 Depth=2
	v_clz_i32_u32_e32 v20, v20
	s_delay_alu instid0(VALU_DEP_1) | instskip(NEXT) | instid1(VALU_DEP_1)
	v_min_u32_e32 v24, 32, v20
	v_subrev_nc_u32_e32 v20, 29, v24
	s_delay_alu instid0(VALU_DEP_1) | instskip(SKIP_1) | instid1(VALU_DEP_2)
	v_lshlrev_b64_e32 v[20:21], v20, v[36:37]
	v_sub_nc_u32_e32 v21, 30, v24
	v_and_b32_e32 v20, 3, v20
; %bb.7837:                             ;   in Loop: Header=BB4_7212 Depth=2
	s_or_b32 exec_lo, exec_lo, s41
	v_lshlrev_b32_e32 v24, 24, v86
                                        ; implicit-def: $vgpr86
	s_delay_alu instid0(VALU_DEP_1) | instskip(NEXT) | instid1(VALU_DEP_1)
	v_and_b32_e32 v24, 0x80000000, v24
	v_lshl_add_u32 v21, v21, 23, v24
	s_delay_alu instid0(VALU_DEP_1) | instskip(NEXT) | instid1(VALU_DEP_1)
	v_lshl_or_b32 v20, v20, 21, v21
	v_add_nc_u32_e32 v30, 0x38000000, v20
                                        ; implicit-def: $vgpr20
.LBB4_7838:                             ;   in Loop: Header=BB4_7212 Depth=2
	s_and_not1_saveexec_b32 s40, s40
; %bb.7839:                             ;   in Loop: Header=BB4_7212 Depth=2
	v_and_b32_e32 v21, 0x80, v86
	s_delay_alu instid0(VALU_DEP_1) | instskip(SKIP_2) | instid1(VALU_DEP_2)
	v_cmp_eq_u32_e32 vcc_lo, 0, v21
	v_cndmask_b32_e32 v21, 0xff800000, v109, vcc_lo
	v_cmp_eq_u32_e32 vcc_lo, 0, v20
	v_cndmask_b32_e32 v30, 0x7f800001, v21, vcc_lo
; %bb.7840:                             ;   in Loop: Header=BB4_7212 Depth=2
	s_or_b32 exec_lo, exec_lo, s40
.LBB4_7841:                             ;   in Loop: Header=BB4_7212 Depth=2
	s_delay_alu instid0(SALU_CYCLE_1)
	s_or_b32 exec_lo, exec_lo, s29
.LBB4_7842:                             ;   in Loop: Header=BB4_7212 Depth=2
	s_delay_alu instid0(SALU_CYCLE_1) | instskip(SKIP_4) | instid1(VALU_DEP_2)
	s_or_b32 exec_lo, exec_lo, s10
	v_and_b32_e32 v21, 0xff, v11
	v_mov_b32_e32 v82, v11
	s_mov_b32 s29, 0
	s_mov_b32 s10, exec_lo
	v_cmpx_lt_i16_e32 0x7f, v21
	s_xor_b32 s10, exec_lo, s10
	s_cbranch_execnz .LBB4_8239
; %bb.7843:                             ;   in Loop: Header=BB4_7212 Depth=2
	s_or_saveexec_b32 s10, s10
	v_bfrev_b32_e32 v20, 1
	s_xor_b32 exec_lo, exec_lo, s10
	s_cbranch_execnz .LBB4_8242
.LBB4_7844:                             ;   in Loop: Header=BB4_7212 Depth=2
	s_or_b32 exec_lo, exec_lo, s10
	v_mov_b32_e32 v83, v37
	s_and_saveexec_b32 s10, s29
	s_cbranch_execz .LBB4_7846
.LBB4_7845:                             ;   in Loop: Header=BB4_7212 Depth=2
	v_and_b32_e32 v24, 3, v11
	v_bfe_u32 v31, v11, 2, 5
	s_delay_alu instid0(VALU_DEP_2) | instskip(NEXT) | instid1(VALU_DEP_2)
	v_clz_i32_u32_e32 v20, v24
	v_cmp_eq_u32_e32 vcc_lo, 0, v31
	s_delay_alu instid0(VALU_DEP_2) | instskip(NEXT) | instid1(VALU_DEP_1)
	v_min_u32_e32 v25, 32, v20
	v_subrev_nc_u32_e32 v20, 29, v25
	s_delay_alu instid0(VALU_DEP_1) | instskip(SKIP_1) | instid1(VALU_DEP_1)
	v_lshlrev_b64_e32 v[20:21], v20, v[82:83]
	v_dual_lshlrev_b32 v21, 24, v11 :: v_dual_sub_nc_u32 v25, 30, v25
	v_and_b32_e32 v21, 0x80000000, v21
	s_delay_alu instid0(VALU_DEP_2) | instskip(SKIP_1) | instid1(VALU_DEP_2)
	v_dual_cndmask_b32 v25, v31, v25, vcc_lo :: v_dual_bitop2_b32 v20, 3, v20 bitop3:0x40
	v_bfe_i32 v31, v11, 0, 8
	v_cndmask_b32_e32 v20, v24, v20, vcc_lo
	s_delay_alu instid0(VALU_DEP_3) | instskip(NEXT) | instid1(VALU_DEP_3)
	v_lshl_add_u32 v21, v25, 23, v21
	v_cmp_lt_i16_e32 vcc_lo, -1, v31
	s_delay_alu instid0(VALU_DEP_2) | instskip(SKIP_3) | instid1(VALU_DEP_4)
	v_lshl_or_b32 v20, v20, 21, v21
	v_cndmask_b32_e32 v25, 0xff800000, v109, vcc_lo
	v_and_b32_e32 v21, 0x7c, v11
	v_cmp_eq_u32_e32 vcc_lo, 0, v24
	v_add_nc_u32_e32 v20, 0x38000000, v20
	s_delay_alu instid0(VALU_DEP_4) | instskip(NEXT) | instid1(VALU_DEP_4)
	v_cndmask_b32_e32 v24, 0x7f800001, v25, vcc_lo
	v_cmp_eq_u32_e32 vcc_lo, 0x7c, v21
	s_delay_alu instid0(VALU_DEP_2)
	v_cndmask_b32_e32 v20, v20, v24, vcc_lo
.LBB4_7846:                             ;   in Loop: Header=BB4_7212 Depth=2
	s_or_b32 exec_lo, exec_lo, s10
	s_delay_alu instid0(VALU_DEP_1) | instskip(SKIP_1) | instid1(VALU_DEP_2)
	v_dual_add_f32 v83, v30, v20 :: v_dual_mov_b32 v21, v37
	v_mov_b32_e32 v85, v37
                                        ; implicit-def: $vgpr86
	v_and_b32_e32 v20, 0x7f800000, v83
	v_and_b32_e32 v84, 0x7fffff, v83
	s_delay_alu instid0(VALU_DEP_2) | instskip(SKIP_2) | instid1(SALU_CYCLE_1)
	v_cmp_ne_u64_e32 vcc_lo, 0x7f800000, v[20:21]
	v_lshrrev_b32_e32 v20, 24, v83
	s_and_saveexec_b32 s10, vcc_lo
	s_xor_b32 s29, exec_lo, s10
	s_cbranch_execz .LBB4_7860
; %bb.7847:                             ;   in Loop: Header=BB4_7212 Depth=2
	v_and_b32_e32 v24, 0x7fffffff, v83
	v_mov_b32_e32 v25, v37
	v_and_b32_e32 v30, 0x80, v20
                                        ; implicit-def: $vgpr86
	s_mov_b32 s10, exec_lo
	s_delay_alu instid0(VALU_DEP_2)
	v_cmpx_gt_u64_e32 0x47600001, v[24:25]
	s_xor_b32 s40, exec_lo, s10
	s_cbranch_execz .LBB4_7857
; %bb.7848:                             ;   in Loop: Header=BB4_7212 Depth=2
	v_mov_b32_e32 v86, 0
	s_mov_b32 s41, exec_lo
	v_cmpx_ne_u32_e32 0, v83
	s_cbranch_execz .LBB4_7856
; %bb.7849:                             ;   in Loop: Header=BB4_7212 Depth=2
	v_bfe_u32 v20, v83, 23, 8
	v_or_b32_e32 v31, 0x800000, v84
	s_delay_alu instid0(VALU_DEP_2) | instskip(SKIP_1) | instid1(VALU_DEP_2)
	v_sub_nc_u32_e32 v21, 0x71, v20
	v_cmp_gt_u32_e32 vcc_lo, 0x72, v20
	v_cndmask_b32_e32 v21, 0, v21, vcc_lo
	v_cmp_eq_u32_e32 vcc_lo, 0, v20
	v_cndmask_b32_e32 v84, v31, v84, vcc_lo
	s_delay_alu instid0(VALU_DEP_3) | instskip(NEXT) | instid1(VALU_DEP_1)
	v_cndmask_b32_e64 v21, v21, 0x70, vcc_lo
	v_dual_add_nc_u32 v24, 21, v21 :: v_dual_add_nc_u32 v83, 20, v21
	s_delay_alu instid0(VALU_DEP_1) | instskip(NEXT) | instid1(VALU_DEP_2)
	v_lshlrev_b64_e64 v[24:25], v24, -1
	v_lshlrev_b64_e64 v[86:87], v83, 1
	s_delay_alu instid0(VALU_DEP_2) | instskip(SKIP_1) | instid1(VALU_DEP_4)
	v_bfi_b32 v24, v24, 0, v84
	v_lshrrev_b64 v[84:85], v21, v[84:85]
	v_bfi_b32 v25, v25, 0, 0
	s_delay_alu instid0(VALU_DEP_1) | instskip(NEXT) | instid1(VALU_DEP_3)
	v_cmp_eq_u64_e64 s10, v[24:25], v[86:87]
	v_mov_b64_e32 v[86:87], v[84:85]
	s_and_saveexec_b32 s42, s10
; %bb.7850:                             ;   in Loop: Header=BB4_7212 Depth=2
	v_bfe_u32 v24, v84, 21, 1
	v_mov_b32_e32 v25, v37
	s_delay_alu instid0(VALU_DEP_1) | instskip(NEXT) | instid1(VALU_DEP_1)
	v_add_nc_u64_e32 v[24:25], v[84:85], v[24:25]
	v_add_nc_u64_e32 v[86:87], -1, v[24:25]
; %bb.7851:                             ;   in Loop: Header=BB4_7212 Depth=2
	s_or_b32 exec_lo, exec_lo, s42
	v_dual_mov_b32 v85, v37 :: v_dual_add_nc_u32 v20, 0xffffff81, v20
	v_lshrrev_b32_e32 v24, 23, v84
	s_mov_b32 s10, exec_lo
	s_delay_alu instid0(VALU_DEP_2) | instskip(NEXT) | instid1(VALU_DEP_1)
	v_cndmask_b32_e64 v20, v20, 0xffffff82, vcc_lo
	v_add3_u32 v21, v21, v20, v24
	v_and_b32_e32 v20, 0x1fffff, v86
	s_delay_alu instid0(VALU_DEP_1) | instskip(NEXT) | instid1(VALU_DEP_1)
	v_dual_add_nc_u32 v83, 14, v21 :: v_dual_add_nc_u32 v84, v20, v84
                                        ; implicit-def: $vgpr20
	v_cmpx_ne_u32_e32 0, v83
	s_xor_b32 s10, exec_lo, s10
; %bb.7852:                             ;   in Loop: Header=BB4_7212 Depth=2
	s_delay_alu instid0(VALU_DEP_2) | instskip(SKIP_2) | instid1(VALU_DEP_2)
	v_cmp_lt_u64_e32 vcc_lo, 0xffffff, v[84:85]
	v_add_nc_u32_e32 v20, 15, v21
	v_cndmask_b32_e64 v21, 0, 1, vcc_lo
	v_cndmask_b32_e32 v20, v83, v20, vcc_lo
	s_delay_alu instid0(VALU_DEP_2)
	v_lshrrev_b64 v[84:85], v21, v[84:85]
; %bb.7853:                             ;   in Loop: Header=BB4_7212 Depth=2
	s_and_not1_saveexec_b32 s10, s10
; %bb.7854:                             ;   in Loop: Header=BB4_7212 Depth=2
	s_delay_alu instid0(VALU_DEP_1)
	v_bfe_u32 v20, v84, 23, 1
; %bb.7855:                             ;   in Loop: Header=BB4_7212 Depth=2
	s_or_b32 exec_lo, exec_lo, s10
	s_delay_alu instid0(VALU_DEP_2) | instskip(NEXT) | instid1(VALU_DEP_2)
	v_lshrrev_b64 v[24:25], 21, v[84:85]
	v_cmp_gt_i32_e32 vcc_lo, 32, v20
	v_min_i32_e32 v21, 31, v20
	v_cmp_eq_u32_e64 s10, 0, v20
	s_delay_alu instid0(VALU_DEP_4) | instskip(NEXT) | instid1(VALU_DEP_3)
	v_cndmask_b32_e32 v25, 0, v25, vcc_lo
	v_dual_cndmask_b32 v24, 3, v24 :: v_dual_lshlrev_b32 v21, 2, v21
	s_delay_alu instid0(VALU_DEP_1) | instskip(NEXT) | instid1(VALU_DEP_2)
	v_and_b32_e32 v21, 0xfc, v21
	v_cmp_eq_u64_e32 vcc_lo, 0, v[24:25]
	s_delay_alu instid0(VALU_DEP_2)
	v_and_or_b32 v20, v24, 3, v21
	s_and_b32 s10, s10, vcc_lo
	s_delay_alu instid0(VALU_DEP_1) | instid1(SALU_CYCLE_1)
	v_cndmask_b32_e64 v20, v20, 0, s10
	s_delay_alu instid0(VALU_DEP_1)
	v_or_b32_e32 v86, v20, v30
.LBB4_7856:                             ;   in Loop: Header=BB4_7212 Depth=2
	s_or_b32 exec_lo, exec_lo, s41
                                        ; implicit-def: $vgpr30
.LBB4_7857:                             ;   in Loop: Header=BB4_7212 Depth=2
	s_and_not1_saveexec_b32 s10, s40
; %bb.7858:                             ;   in Loop: Header=BB4_7212 Depth=2
	v_or_b32_e32 v86, 0x7b, v30
; %bb.7859:                             ;   in Loop: Header=BB4_7212 Depth=2
	s_or_b32 exec_lo, exec_lo, s10
                                        ; implicit-def: $vgpr83
                                        ; implicit-def: $vgpr84_vgpr85
                                        ; implicit-def: $vgpr20
.LBB4_7860:                             ;   in Loop: Header=BB4_7212 Depth=2
	s_and_not1_saveexec_b32 s10, s29
	s_cbranch_execz .LBB4_7866
; %bb.7861:                             ;   in Loop: Header=BB4_7212 Depth=2
	s_mov_b32 s29, exec_lo
                                        ; implicit-def: $vgpr86
	v_cmpx_ne_u64_e32 0, v[84:85]
	s_xor_b32 s29, exec_lo, s29
; %bb.7862:                             ;   in Loop: Header=BB4_7212 Depth=2
	v_or_b32_e32 v86, 0x7f, v20
                                        ; implicit-def: $vgpr83
; %bb.7863:                             ;   in Loop: Header=BB4_7212 Depth=2
	s_and_not1_saveexec_b32 s29, s29
; %bb.7864:                             ;   in Loop: Header=BB4_7212 Depth=2
	v_cmp_lt_i32_e32 vcc_lo, -1, v83
	v_cndmask_b32_e32 v86, 0xfc, v110, vcc_lo
; %bb.7865:                             ;   in Loop: Header=BB4_7212 Depth=2
	s_or_b32 exec_lo, exec_lo, s29
.LBB4_7866:                             ;   in Loop: Header=BB4_7212 Depth=2
	s_delay_alu instid0(SALU_CYCLE_1) | instskip(SKIP_3) | instid1(VALU_DEP_2)
	s_or_b32 exec_lo, exec_lo, s10
	v_lshrrev_b16 v84, 8, v2
	v_mov_b32_e32 v30, 0
	s_mov_b32 s10, exec_lo
	v_cmpx_ne_u16_e32 0, v84
	s_cbranch_execz .LBB4_7876
; %bb.7867:                             ;   in Loop: Header=BB4_7212 Depth=2
	v_bfrev_b32_e32 v30, 1
	s_mov_b32 s29, exec_lo
	v_cmpx_ne_u16_e32 0x80, v84
	s_cbranch_execz .LBB4_7875
; %bb.7868:                             ;   in Loop: Header=BB4_7212 Depth=2
	v_and_b32_e32 v21, 0xffff, v84
	s_mov_b32 s40, exec_lo
                                        ; implicit-def: $vgpr30
	s_delay_alu instid0(VALU_DEP_1) | instskip(SKIP_1) | instid1(VALU_DEP_2)
	v_and_b32_e32 v24, 0x7c, v21
	v_and_b32_e32 v20, 3, v21
	v_cmpx_ne_u32_e32 0x7c, v24
	s_xor_b32 s40, exec_lo, s40
	s_cbranch_execz .LBB4_7872
; %bb.7869:                             ;   in Loop: Header=BB4_7212 Depth=2
	v_bfe_u32 v21, v21, 2, 5
	s_mov_b32 s41, exec_lo
	s_delay_alu instid0(VALU_DEP_1)
	v_cmpx_eq_u32_e32 0, v21
	s_cbranch_execz .LBB4_7871
; %bb.7870:                             ;   in Loop: Header=BB4_7212 Depth=2
	v_clz_i32_u32_e32 v20, v20
	s_delay_alu instid0(VALU_DEP_1) | instskip(SKIP_1) | instid1(VALU_DEP_2)
	v_min_u32_e32 v24, 32, v20
	v_mov_b32_e32 v85, v37
	v_subrev_nc_u32_e32 v20, 29, v24
	s_delay_alu instid0(VALU_DEP_1) | instskip(SKIP_1) | instid1(VALU_DEP_2)
	v_lshlrev_b64_e32 v[20:21], v20, v[84:85]
	v_sub_nc_u32_e32 v21, 30, v24
	v_and_b32_e32 v20, 3, v20
.LBB4_7871:                             ;   in Loop: Header=BB4_7212 Depth=2
	s_or_b32 exec_lo, exec_lo, s41
	v_lshlrev_b32_e32 v2, 16, v2
	s_delay_alu instid0(VALU_DEP_1) | instskip(NEXT) | instid1(VALU_DEP_1)
	v_and_b32_e32 v2, 0x80000000, v2
	v_lshl_add_u32 v2, v21, 23, v2
	s_delay_alu instid0(VALU_DEP_1) | instskip(NEXT) | instid1(VALU_DEP_1)
	v_lshl_or_b32 v2, v20, 21, v2
                                        ; implicit-def: $vgpr20
	v_add_nc_u32_e32 v30, 0x38000000, v2
                                        ; implicit-def: $vgpr2
.LBB4_7872:                             ;   in Loop: Header=BB4_7212 Depth=2
	s_and_not1_saveexec_b32 s40, s40
; %bb.7873:                             ;   in Loop: Header=BB4_7212 Depth=2
	v_cmp_lt_i16_e32 vcc_lo, -1, v2
	v_cndmask_b32_e32 v2, 0xff800000, v109, vcc_lo
	v_cmp_eq_u32_e32 vcc_lo, 0, v20
	s_delay_alu instid0(VALU_DEP_2)
	v_cndmask_b32_e32 v30, 0x7f800001, v2, vcc_lo
; %bb.7874:                             ;   in Loop: Header=BB4_7212 Depth=2
	s_or_b32 exec_lo, exec_lo, s40
.LBB4_7875:                             ;   in Loop: Header=BB4_7212 Depth=2
	s_delay_alu instid0(SALU_CYCLE_1)
	s_or_b32 exec_lo, exec_lo, s29
.LBB4_7876:                             ;   in Loop: Header=BB4_7212 Depth=2
	s_delay_alu instid0(SALU_CYCLE_1) | instskip(SKIP_3) | instid1(VALU_DEP_1)
	s_or_b32 exec_lo, exec_lo, s10
	v_lshrrev_b16 v84, 8, v82
	s_mov_b32 s29, 0
	s_mov_b32 s10, exec_lo
	v_cmpx_lt_i16_e32 0x7f, v84
	s_xor_b32 s10, exec_lo, s10
	s_cbranch_execnz .LBB4_8243
; %bb.7877:                             ;   in Loop: Header=BB4_7212 Depth=2
	s_or_saveexec_b32 s10, s10
	v_bfrev_b32_e32 v2, 1
	s_xor_b32 exec_lo, exec_lo, s10
	s_cbranch_execnz .LBB4_8246
.LBB4_7878:                             ;   in Loop: Header=BB4_7212 Depth=2
	s_or_b32 exec_lo, exec_lo, s10
	s_and_saveexec_b32 s10, s29
	s_cbranch_execz .LBB4_7880
.LBB4_7879:                             ;   in Loop: Header=BB4_7212 Depth=2
	v_and_b32_e32 v2, 0xffff, v84
	s_delay_alu instid0(VALU_DEP_1) | instskip(SKIP_2) | instid1(VALU_DEP_3)
	v_dual_mov_b32 v85, v37 :: v_dual_bitop2_b32 v24, 3, v2 bitop3:0x40
	v_bfe_u32 v31, v2, 2, 5
	v_and_b32_e32 v2, 0x7c, v2
	v_clz_i32_u32_e32 v20, v24
	s_delay_alu instid0(VALU_DEP_3) | instskip(NEXT) | instid1(VALU_DEP_2)
	v_cmp_eq_u32_e32 vcc_lo, 0, v31
	v_min_u32_e32 v25, 32, v20
	s_delay_alu instid0(VALU_DEP_1) | instskip(SKIP_1) | instid1(VALU_DEP_2)
	v_subrev_nc_u32_e32 v20, 29, v25
	v_sub_nc_u32_e32 v25, 30, v25
	v_lshlrev_b64_e32 v[20:21], v20, v[84:85]
	s_delay_alu instid0(VALU_DEP_2) | instskip(NEXT) | instid1(VALU_DEP_1)
	v_dual_lshlrev_b32 v21, 24, v84 :: v_dual_cndmask_b32 v25, v31, v25, vcc_lo
	v_and_b32_e32 v21, 0x80000000, v21
	s_delay_alu instid0(VALU_DEP_3) | instskip(NEXT) | instid1(VALU_DEP_2)
	v_and_b32_e32 v20, 3, v20
	v_lshl_add_u32 v21, v25, 23, v21
	s_delay_alu instid0(VALU_DEP_2) | instskip(SKIP_1) | instid1(VALU_DEP_2)
	v_cndmask_b32_e32 v20, v24, v20, vcc_lo
	v_cmp_lt_i16_e32 vcc_lo, -1, v82
	v_lshl_or_b32 v20, v20, 21, v21
	v_cndmask_b32_e32 v25, 0xff800000, v109, vcc_lo
	v_cmp_eq_u32_e32 vcc_lo, 0, v24
	s_delay_alu instid0(VALU_DEP_3) | instskip(NEXT) | instid1(VALU_DEP_3)
	v_add_nc_u32_e32 v20, 0x38000000, v20
	v_cndmask_b32_e32 v21, 0x7f800001, v25, vcc_lo
	v_cmp_eq_u32_e32 vcc_lo, 0x7c, v2
	s_delay_alu instid0(VALU_DEP_2)
	v_cndmask_b32_e32 v2, v20, v21, vcc_lo
.LBB4_7880:                             ;   in Loop: Header=BB4_7212 Depth=2
	s_or_b32 exec_lo, exec_lo, s10
	s_delay_alu instid0(VALU_DEP_1) | instskip(SKIP_2) | instid1(VALU_DEP_2)
	v_dual_add_f32 v30, v30, v2 :: v_dual_mov_b32 v21, v37
	v_mov_b32_e32 v83, v37
                                        ; implicit-def: $vgpr87
	s_mov_b32 s10, exec_lo
	v_and_b32_e32 v20, 0x7f800000, v30
	v_and_b32_e32 v82, 0x7fffff, v30
	v_lshrrev_b32_e32 v2, 24, v30
	s_delay_alu instid0(VALU_DEP_3)
	v_cmpx_ne_u64_e32 0x7f800000, v[20:21]
	s_xor_b32 s29, exec_lo, s10
	s_cbranch_execz .LBB4_7894
; %bb.7881:                             ;   in Loop: Header=BB4_7212 Depth=2
	v_and_b32_e32 v20, 0x7fffffff, v30
	v_mov_b32_e32 v21, v37
	v_and_b32_e32 v2, 0x80, v2
                                        ; implicit-def: $vgpr87
	s_mov_b32 s10, exec_lo
	s_delay_alu instid0(VALU_DEP_2)
	v_cmpx_gt_u64_e32 0x47600001, v[20:21]
	s_xor_b32 s40, exec_lo, s10
	s_cbranch_execz .LBB4_7891
; %bb.7882:                             ;   in Loop: Header=BB4_7212 Depth=2
	v_mov_b32_e32 v87, 0
	s_mov_b32 s41, exec_lo
	v_cmpx_ne_u32_e32 0, v30
	s_cbranch_execz .LBB4_7890
; %bb.7883:                             ;   in Loop: Header=BB4_7212 Depth=2
	v_bfe_u32 v20, v30, 23, 8
	v_or_b32_e32 v30, 0x800000, v82
	s_mov_b32 s42, exec_lo
	s_delay_alu instid0(VALU_DEP_2) | instskip(SKIP_1) | instid1(VALU_DEP_2)
	v_sub_nc_u32_e32 v21, 0x71, v20
	v_cmp_gt_u32_e32 vcc_lo, 0x72, v20
	v_cndmask_b32_e32 v21, 0, v21, vcc_lo
	v_cmp_eq_u32_e32 vcc_lo, 0, v20
	s_delay_alu instid0(VALU_DEP_2) | instskip(NEXT) | instid1(VALU_DEP_1)
	v_cndmask_b32_e64 v21, v21, 0x70, vcc_lo
	v_dual_cndmask_b32 v82, v30, v82, vcc_lo :: v_dual_add_nc_u32 v24, 21, v21
	v_add_nc_u32_e32 v31, 20, v21
	s_delay_alu instid0(VALU_DEP_2) | instskip(NEXT) | instid1(VALU_DEP_2)
	v_lshlrev_b64_e64 v[24:25], v24, -1
	v_lshlrev_b64_e64 v[30:31], v31, 1
	s_delay_alu instid0(VALU_DEP_2) | instskip(SKIP_1) | instid1(VALU_DEP_4)
	v_bfi_b32 v24, v24, 0, v82
	v_lshrrev_b64 v[82:83], v21, v[82:83]
	v_bfi_b32 v25, v25, 0, 0
	s_delay_alu instid0(VALU_DEP_2) | instskip(NEXT) | instid1(VALU_DEP_2)
	v_mov_b64_e32 v[84:85], v[82:83]
	v_cmpx_eq_u64_e64 v[24:25], v[30:31]
; %bb.7884:                             ;   in Loop: Header=BB4_7212 Depth=2
	v_bfe_u32 v24, v82, 21, 1
	v_mov_b32_e32 v25, v37
	s_delay_alu instid0(VALU_DEP_1) | instskip(NEXT) | instid1(VALU_DEP_1)
	v_add_nc_u64_e32 v[24:25], v[82:83], v[24:25]
	v_add_nc_u64_e32 v[84:85], -1, v[24:25]
; %bb.7885:                             ;   in Loop: Header=BB4_7212 Depth=2
	s_or_b32 exec_lo, exec_lo, s42
	v_dual_mov_b32 v83, v37 :: v_dual_add_nc_u32 v20, 0xffffff81, v20
	v_lshrrev_b32_e32 v24, 23, v82
	s_mov_b32 s10, exec_lo
	s_delay_alu instid0(VALU_DEP_2) | instskip(NEXT) | instid1(VALU_DEP_1)
	v_cndmask_b32_e64 v20, v20, 0xffffff82, vcc_lo
	v_add3_u32 v21, v21, v20, v24
	v_and_b32_e32 v20, 0x1fffff, v84
	s_delay_alu instid0(VALU_DEP_1) | instskip(NEXT) | instid1(VALU_DEP_1)
	v_dual_add_nc_u32 v30, 14, v21 :: v_dual_add_nc_u32 v82, v20, v82
                                        ; implicit-def: $vgpr20
	v_cmpx_ne_u32_e32 0, v30
	s_xor_b32 s10, exec_lo, s10
; %bb.7886:                             ;   in Loop: Header=BB4_7212 Depth=2
	s_delay_alu instid0(VALU_DEP_2) | instskip(SKIP_2) | instid1(VALU_DEP_2)
	v_cmp_lt_u64_e32 vcc_lo, 0xffffff, v[82:83]
	v_add_nc_u32_e32 v20, 15, v21
	v_cndmask_b32_e64 v21, 0, 1, vcc_lo
	v_cndmask_b32_e32 v20, v30, v20, vcc_lo
	s_delay_alu instid0(VALU_DEP_2)
	v_lshrrev_b64 v[82:83], v21, v[82:83]
; %bb.7887:                             ;   in Loop: Header=BB4_7212 Depth=2
	s_and_not1_saveexec_b32 s10, s10
; %bb.7888:                             ;   in Loop: Header=BB4_7212 Depth=2
	s_delay_alu instid0(VALU_DEP_1)
	v_bfe_u32 v20, v82, 23, 1
; %bb.7889:                             ;   in Loop: Header=BB4_7212 Depth=2
	s_or_b32 exec_lo, exec_lo, s10
	s_delay_alu instid0(VALU_DEP_2) | instskip(NEXT) | instid1(VALU_DEP_2)
	v_lshrrev_b64 v[24:25], 21, v[82:83]
	v_cmp_gt_i32_e32 vcc_lo, 32, v20
	v_min_i32_e32 v21, 31, v20
	v_cmp_eq_u32_e64 s10, 0, v20
	s_delay_alu instid0(VALU_DEP_4) | instskip(NEXT) | instid1(VALU_DEP_3)
	v_cndmask_b32_e32 v25, 0, v25, vcc_lo
	v_dual_cndmask_b32 v24, 3, v24 :: v_dual_lshlrev_b32 v21, 2, v21
	s_delay_alu instid0(VALU_DEP_1) | instskip(NEXT) | instid1(VALU_DEP_2)
	v_and_b32_e32 v21, 0xfc, v21
	v_cmp_eq_u64_e32 vcc_lo, 0, v[24:25]
	s_delay_alu instid0(VALU_DEP_2)
	v_and_or_b32 v20, v24, 3, v21
	s_and_b32 s10, s10, vcc_lo
	s_delay_alu instid0(VALU_DEP_1) | instid1(SALU_CYCLE_1)
	v_cndmask_b32_e64 v20, v20, 0, s10
	s_delay_alu instid0(VALU_DEP_1)
	v_or_b32_e32 v87, v20, v2
.LBB4_7890:                             ;   in Loop: Header=BB4_7212 Depth=2
	s_or_b32 exec_lo, exec_lo, s41
                                        ; implicit-def: $vgpr2
.LBB4_7891:                             ;   in Loop: Header=BB4_7212 Depth=2
	s_and_not1_saveexec_b32 s10, s40
; %bb.7892:                             ;   in Loop: Header=BB4_7212 Depth=2
	v_or_b32_e32 v87, 0x7b, v2
; %bb.7893:                             ;   in Loop: Header=BB4_7212 Depth=2
	s_or_b32 exec_lo, exec_lo, s10
                                        ; implicit-def: $vgpr30
                                        ; implicit-def: $vgpr82_vgpr83
                                        ; implicit-def: $vgpr2
.LBB4_7894:                             ;   in Loop: Header=BB4_7212 Depth=2
	s_and_not1_saveexec_b32 s10, s29
	s_cbranch_execz .LBB4_7900
; %bb.7895:                             ;   in Loop: Header=BB4_7212 Depth=2
	s_mov_b32 s29, exec_lo
                                        ; implicit-def: $vgpr87
	v_cmpx_ne_u64_e32 0, v[82:83]
	s_xor_b32 s29, exec_lo, s29
; %bb.7896:                             ;   in Loop: Header=BB4_7212 Depth=2
	v_or_b32_e32 v87, 0x7f, v2
                                        ; implicit-def: $vgpr30
; %bb.7897:                             ;   in Loop: Header=BB4_7212 Depth=2
	s_and_not1_saveexec_b32 s29, s29
; %bb.7898:                             ;   in Loop: Header=BB4_7212 Depth=2
	v_cmp_lt_i32_e32 vcc_lo, -1, v30
	v_cndmask_b32_e32 v87, 0xfc, v110, vcc_lo
; %bb.7899:                             ;   in Loop: Header=BB4_7212 Depth=2
	s_or_b32 exec_lo, exec_lo, s29
.LBB4_7900:                             ;   in Loop: Header=BB4_7212 Depth=2
	s_delay_alu instid0(SALU_CYCLE_1) | instskip(SKIP_2) | instid1(VALU_DEP_1)
	s_or_b32 exec_lo, exec_lo, s10
	v_dual_lshrrev_b32 v30, 16, v36 :: v_dual_mov_b32 v2, 0
	s_mov_b32 s10, exec_lo
	v_and_b32_e32 v20, 0xff, v30
	s_delay_alu instid0(VALU_DEP_1)
	v_cmpx_ne_u16_e32 0, v20
	s_cbranch_execz .LBB4_7910
; %bb.7901:                             ;   in Loop: Header=BB4_7212 Depth=2
	v_bfrev_b32_e32 v2, 1
	s_mov_b32 s29, exec_lo
	v_cmpx_ne_u16_e32 0x80, v20
	s_cbranch_execz .LBB4_7909
; %bb.7902:                             ;   in Loop: Header=BB4_7212 Depth=2
	v_and_b32_e32 v2, 0x7c0000, v36
	v_bfe_u32 v20, v36, 16, 2
	s_delay_alu instid0(VALU_DEP_2) | instskip(SKIP_1) | instid1(SALU_CYCLE_1)
	v_cmp_ne_u32_e32 vcc_lo, 0x7c0000, v2
                                        ; implicit-def: $vgpr2
	s_and_saveexec_b32 s40, vcc_lo
	s_xor_b32 s40, exec_lo, s40
	s_cbranch_execz .LBB4_7906
; %bb.7903:                             ;   in Loop: Header=BB4_7212 Depth=2
	v_bfe_u32 v2, v36, 18, 5
	s_mov_b32 s41, exec_lo
	s_delay_alu instid0(VALU_DEP_1)
	v_cmpx_eq_u32_e32 0, v2
; %bb.7904:                             ;   in Loop: Header=BB4_7212 Depth=2
	v_clz_i32_u32_e32 v2, v20
	s_delay_alu instid0(VALU_DEP_1) | instskip(NEXT) | instid1(VALU_DEP_1)
	v_min_u32_e32 v2, 32, v2
	v_subrev_nc_u32_e32 v20, 29, v2
	s_delay_alu instid0(VALU_DEP_1) | instskip(NEXT) | instid1(VALU_DEP_1)
	v_lshlrev_b64_e32 v[20:21], v20, v[30:31]
	v_dual_sub_nc_u32 v2, 30, v2 :: v_dual_bitop2_b32 v20, 3, v20 bitop3:0x40
; %bb.7905:                             ;   in Loop: Header=BB4_7212 Depth=2
	s_or_b32 exec_lo, exec_lo, s41
	v_lshlrev_b32_e32 v21, 24, v30
                                        ; implicit-def: $vgpr30
	s_delay_alu instid0(VALU_DEP_1) | instskip(NEXT) | instid1(VALU_DEP_1)
	v_and_b32_e32 v21, 0x80000000, v21
	v_lshl_add_u32 v2, v2, 23, v21
	s_delay_alu instid0(VALU_DEP_1) | instskip(NEXT) | instid1(VALU_DEP_1)
	v_lshl_or_b32 v2, v20, 21, v2
                                        ; implicit-def: $vgpr20
	v_add_nc_u32_e32 v2, 0x38000000, v2
.LBB4_7906:                             ;   in Loop: Header=BB4_7212 Depth=2
	s_and_not1_saveexec_b32 s40, s40
; %bb.7907:                             ;   in Loop: Header=BB4_7212 Depth=2
	v_bfe_i32 v2, v30, 0, 8
	s_delay_alu instid0(VALU_DEP_1) | instskip(SKIP_2) | instid1(VALU_DEP_2)
	v_cmp_lt_i16_e32 vcc_lo, -1, v2
	v_cndmask_b32_e32 v2, 0xff800000, v109, vcc_lo
	v_cmp_eq_u32_e32 vcc_lo, 0, v20
	v_cndmask_b32_e32 v2, 0x7f800001, v2, vcc_lo
; %bb.7908:                             ;   in Loop: Header=BB4_7212 Depth=2
	s_or_b32 exec_lo, exec_lo, s40
.LBB4_7909:                             ;   in Loop: Header=BB4_7212 Depth=2
	s_delay_alu instid0(SALU_CYCLE_1)
	s_or_b32 exec_lo, exec_lo, s29
.LBB4_7910:                             ;   in Loop: Header=BB4_7212 Depth=2
	s_delay_alu instid0(SALU_CYCLE_1) | instskip(SKIP_3) | instid1(VALU_DEP_1)
	s_or_b32 exec_lo, exec_lo, s10
	v_lshrrev_b32_e32 v30, 16, v11
	s_mov_b32 s29, 0
	s_mov_b32 s10, exec_lo
	v_and_b32_e32 v21, 0xff, v30
	s_delay_alu instid0(VALU_DEP_1)
	v_cmpx_lt_i16_e32 0x7f, v21
	s_xor_b32 s10, exec_lo, s10
	s_cbranch_execnz .LBB4_8247
; %bb.7911:                             ;   in Loop: Header=BB4_7212 Depth=2
	s_or_saveexec_b32 s10, s10
	v_bfrev_b32_e32 v20, 1
	s_xor_b32 exec_lo, exec_lo, s10
	s_cbranch_execnz .LBB4_8250
.LBB4_7912:                             ;   in Loop: Header=BB4_7212 Depth=2
	s_or_b32 exec_lo, exec_lo, s10
	s_and_saveexec_b32 s10, s29
	s_cbranch_execz .LBB4_7914
.LBB4_7913:                             ;   in Loop: Header=BB4_7212 Depth=2
	v_and_b32_e32 v24, 3, v30
	s_delay_alu instid0(VALU_DEP_1) | instskip(NEXT) | instid1(VALU_DEP_1)
	v_clz_i32_u32_e32 v20, v24
	v_min_u32_e32 v25, 32, v20
	s_delay_alu instid0(VALU_DEP_1) | instskip(NEXT) | instid1(VALU_DEP_1)
	v_subrev_nc_u32_e32 v20, 29, v25
	v_lshlrev_b64_e32 v[20:21], v20, v[30:31]
	v_bfe_u32 v31, v11, 18, 5
	v_dual_lshlrev_b32 v21, 24, v30 :: v_dual_sub_nc_u32 v25, 30, v25
	v_bfe_i32 v30, v30, 0, 8
	s_delay_alu instid0(VALU_DEP_3) | instskip(NEXT) | instid1(VALU_DEP_3)
	v_cmp_eq_u32_e32 vcc_lo, 0, v31
	v_and_b32_e32 v21, 0x80000000, v21
	s_delay_alu instid0(VALU_DEP_4) | instskip(NEXT) | instid1(VALU_DEP_1)
	v_dual_cndmask_b32 v25, v31, v25, vcc_lo :: v_dual_bitop2_b32 v20, 3, v20 bitop3:0x40
	v_cndmask_b32_e32 v20, v24, v20, vcc_lo
	v_cmp_lt_i16_e32 vcc_lo, -1, v30
	s_delay_alu instid0(VALU_DEP_3) | instskip(SKIP_2) | instid1(VALU_DEP_3)
	v_lshl_add_u32 v21, v25, 23, v21
	v_cndmask_b32_e32 v25, 0xff800000, v109, vcc_lo
	v_cmp_eq_u32_e32 vcc_lo, 0, v24
	v_lshl_or_b32 v20, v20, 21, v21
	v_and_b32_e32 v21, 0x7c0000, v11
	s_delay_alu instid0(VALU_DEP_4) | instskip(NEXT) | instid1(VALU_DEP_3)
	v_cndmask_b32_e32 v24, 0x7f800001, v25, vcc_lo
	v_add_nc_u32_e32 v20, 0x38000000, v20
	s_delay_alu instid0(VALU_DEP_3) | instskip(NEXT) | instid1(VALU_DEP_2)
	v_cmp_eq_u32_e32 vcc_lo, 0x7c0000, v21
	v_cndmask_b32_e32 v20, v20, v24, vcc_lo
.LBB4_7914:                             ;   in Loop: Header=BB4_7212 Depth=2
	s_or_b32 exec_lo, exec_lo, s10
	s_delay_alu instid0(VALU_DEP_1) | instskip(SKIP_2) | instid1(VALU_DEP_2)
	v_dual_add_f32 v30, v2, v20 :: v_dual_mov_b32 v21, v37
	v_mov_b32_e32 v83, v37
                                        ; implicit-def: $vgpr117
	s_mov_b32 s10, exec_lo
	v_and_b32_e32 v20, 0x7f800000, v30
	v_and_b32_e32 v82, 0x7fffff, v30
	v_lshrrev_b32_e32 v2, 24, v30
	s_delay_alu instid0(VALU_DEP_3)
	v_cmpx_ne_u64_e32 0x7f800000, v[20:21]
	s_xor_b32 s29, exec_lo, s10
	s_cbranch_execz .LBB4_7928
; %bb.7915:                             ;   in Loop: Header=BB4_7212 Depth=2
	v_and_b32_e32 v20, 0x7fffffff, v30
	v_mov_b32_e32 v21, v37
	v_and_b32_e32 v2, 0x80, v2
                                        ; implicit-def: $vgpr117
	s_mov_b32 s10, exec_lo
	s_delay_alu instid0(VALU_DEP_2)
	v_cmpx_gt_u64_e32 0x47600001, v[20:21]
	s_xor_b32 s40, exec_lo, s10
	s_cbranch_execz .LBB4_7925
; %bb.7916:                             ;   in Loop: Header=BB4_7212 Depth=2
	v_mov_b32_e32 v117, 0
	s_mov_b32 s41, exec_lo
	v_cmpx_ne_u32_e32 0, v30
	s_cbranch_execz .LBB4_7924
; %bb.7917:                             ;   in Loop: Header=BB4_7212 Depth=2
	v_bfe_u32 v20, v30, 23, 8
	v_or_b32_e32 v30, 0x800000, v82
	s_mov_b32 s42, exec_lo
	s_delay_alu instid0(VALU_DEP_2) | instskip(SKIP_1) | instid1(VALU_DEP_2)
	v_sub_nc_u32_e32 v21, 0x71, v20
	v_cmp_gt_u32_e32 vcc_lo, 0x72, v20
	v_cndmask_b32_e32 v21, 0, v21, vcc_lo
	v_cmp_eq_u32_e32 vcc_lo, 0, v20
	s_delay_alu instid0(VALU_DEP_2) | instskip(NEXT) | instid1(VALU_DEP_1)
	v_cndmask_b32_e64 v21, v21, 0x70, vcc_lo
	v_dual_cndmask_b32 v82, v30, v82, vcc_lo :: v_dual_add_nc_u32 v24, 21, v21
	v_add_nc_u32_e32 v31, 20, v21
	s_delay_alu instid0(VALU_DEP_2) | instskip(NEXT) | instid1(VALU_DEP_2)
	v_lshlrev_b64_e64 v[24:25], v24, -1
	v_lshlrev_b64_e64 v[30:31], v31, 1
	s_delay_alu instid0(VALU_DEP_2) | instskip(SKIP_1) | instid1(VALU_DEP_4)
	v_bfi_b32 v24, v24, 0, v82
	v_lshrrev_b64 v[82:83], v21, v[82:83]
	v_bfi_b32 v25, v25, 0, 0
	s_delay_alu instid0(VALU_DEP_2) | instskip(NEXT) | instid1(VALU_DEP_2)
	v_mov_b64_e32 v[84:85], v[82:83]
	v_cmpx_eq_u64_e64 v[24:25], v[30:31]
; %bb.7918:                             ;   in Loop: Header=BB4_7212 Depth=2
	v_bfe_u32 v24, v82, 21, 1
	v_mov_b32_e32 v25, v37
	s_delay_alu instid0(VALU_DEP_1) | instskip(NEXT) | instid1(VALU_DEP_1)
	v_add_nc_u64_e32 v[24:25], v[82:83], v[24:25]
	v_add_nc_u64_e32 v[84:85], -1, v[24:25]
; %bb.7919:                             ;   in Loop: Header=BB4_7212 Depth=2
	s_or_b32 exec_lo, exec_lo, s42
	v_dual_mov_b32 v83, v37 :: v_dual_add_nc_u32 v20, 0xffffff81, v20
	v_lshrrev_b32_e32 v24, 23, v82
	s_mov_b32 s10, exec_lo
	s_delay_alu instid0(VALU_DEP_2) | instskip(NEXT) | instid1(VALU_DEP_1)
	v_cndmask_b32_e64 v20, v20, 0xffffff82, vcc_lo
	v_add3_u32 v21, v21, v20, v24
	v_and_b32_e32 v20, 0x1fffff, v84
	s_delay_alu instid0(VALU_DEP_1) | instskip(NEXT) | instid1(VALU_DEP_1)
	v_dual_add_nc_u32 v30, 14, v21 :: v_dual_add_nc_u32 v82, v20, v82
                                        ; implicit-def: $vgpr20
	v_cmpx_ne_u32_e32 0, v30
	s_xor_b32 s10, exec_lo, s10
; %bb.7920:                             ;   in Loop: Header=BB4_7212 Depth=2
	s_delay_alu instid0(VALU_DEP_2) | instskip(SKIP_2) | instid1(VALU_DEP_2)
	v_cmp_lt_u64_e32 vcc_lo, 0xffffff, v[82:83]
	v_add_nc_u32_e32 v20, 15, v21
	v_cndmask_b32_e64 v21, 0, 1, vcc_lo
	v_cndmask_b32_e32 v20, v30, v20, vcc_lo
	s_delay_alu instid0(VALU_DEP_2)
	v_lshrrev_b64 v[82:83], v21, v[82:83]
; %bb.7921:                             ;   in Loop: Header=BB4_7212 Depth=2
	s_and_not1_saveexec_b32 s10, s10
; %bb.7922:                             ;   in Loop: Header=BB4_7212 Depth=2
	s_delay_alu instid0(VALU_DEP_1)
	v_bfe_u32 v20, v82, 23, 1
; %bb.7923:                             ;   in Loop: Header=BB4_7212 Depth=2
	s_or_b32 exec_lo, exec_lo, s10
	s_delay_alu instid0(VALU_DEP_2) | instskip(NEXT) | instid1(VALU_DEP_2)
	v_lshrrev_b64 v[24:25], 21, v[82:83]
	v_cmp_gt_i32_e32 vcc_lo, 32, v20
	v_min_i32_e32 v21, 31, v20
	v_cmp_eq_u32_e64 s10, 0, v20
	s_delay_alu instid0(VALU_DEP_4) | instskip(NEXT) | instid1(VALU_DEP_3)
	v_cndmask_b32_e32 v25, 0, v25, vcc_lo
	v_dual_cndmask_b32 v24, 3, v24 :: v_dual_lshlrev_b32 v21, 2, v21
	s_delay_alu instid0(VALU_DEP_1) | instskip(NEXT) | instid1(VALU_DEP_2)
	v_and_b32_e32 v21, 0xfc, v21
	v_cmp_eq_u64_e32 vcc_lo, 0, v[24:25]
	s_delay_alu instid0(VALU_DEP_2)
	v_and_or_b32 v20, v24, 3, v21
	s_and_b32 s10, s10, vcc_lo
	s_delay_alu instid0(VALU_DEP_1) | instid1(SALU_CYCLE_1)
	v_cndmask_b32_e64 v20, v20, 0, s10
	s_delay_alu instid0(VALU_DEP_1)
	v_or_b32_e32 v117, v20, v2
.LBB4_7924:                             ;   in Loop: Header=BB4_7212 Depth=2
	s_or_b32 exec_lo, exec_lo, s41
                                        ; implicit-def: $vgpr2
.LBB4_7925:                             ;   in Loop: Header=BB4_7212 Depth=2
	s_and_not1_saveexec_b32 s10, s40
; %bb.7926:                             ;   in Loop: Header=BB4_7212 Depth=2
	v_or_b32_e32 v117, 0x7b, v2
; %bb.7927:                             ;   in Loop: Header=BB4_7212 Depth=2
	s_or_b32 exec_lo, exec_lo, s10
                                        ; implicit-def: $vgpr30
                                        ; implicit-def: $vgpr82_vgpr83
                                        ; implicit-def: $vgpr2
.LBB4_7928:                             ;   in Loop: Header=BB4_7212 Depth=2
	s_and_not1_saveexec_b32 s10, s29
	s_cbranch_execz .LBB4_7934
; %bb.7929:                             ;   in Loop: Header=BB4_7212 Depth=2
	s_mov_b32 s29, exec_lo
                                        ; implicit-def: $vgpr117
	v_cmpx_ne_u64_e32 0, v[82:83]
	s_xor_b32 s29, exec_lo, s29
; %bb.7930:                             ;   in Loop: Header=BB4_7212 Depth=2
	v_or_b32_e32 v117, 0x7f, v2
                                        ; implicit-def: $vgpr30
; %bb.7931:                             ;   in Loop: Header=BB4_7212 Depth=2
	s_and_not1_saveexec_b32 s29, s29
; %bb.7932:                             ;   in Loop: Header=BB4_7212 Depth=2
	v_cmp_lt_i32_e32 vcc_lo, -1, v30
	v_cndmask_b32_e32 v117, 0xfc, v110, vcc_lo
; %bb.7933:                             ;   in Loop: Header=BB4_7212 Depth=2
	s_or_b32 exec_lo, exec_lo, s29
.LBB4_7934:                             ;   in Loop: Header=BB4_7212 Depth=2
	s_delay_alu instid0(SALU_CYCLE_1)
	s_or_b32 exec_lo, exec_lo, s10
	v_mov_b32_e32 v2, 0
	s_mov_b32 s10, exec_lo
	v_cmpx_lt_u32_e32 0xffffff, v36
	s_cbranch_execz .LBB4_7944
; %bb.7935:                             ;   in Loop: Header=BB4_7212 Depth=2
	v_lshrrev_b32_e32 v30, 24, v36
	v_bfrev_b32_e32 v2, 1
	s_mov_b32 s29, exec_lo
	s_delay_alu instid0(VALU_DEP_2)
	v_cmpx_ne_u32_e32 0x80, v30
	s_cbranch_execz .LBB4_7943
; %bb.7936:                             ;   in Loop: Header=BB4_7212 Depth=2
	v_and_b32_e32 v2, 0x7c000000, v36
	v_bfe_u32 v20, v36, 24, 2
	s_delay_alu instid0(VALU_DEP_2) | instskip(SKIP_1) | instid1(SALU_CYCLE_1)
	v_cmp_ne_u32_e32 vcc_lo, 0x7c000000, v2
                                        ; implicit-def: $vgpr2
	s_and_saveexec_b32 s40, vcc_lo
	s_xor_b32 s40, exec_lo, s40
	s_cbranch_execz .LBB4_7940
; %bb.7937:                             ;   in Loop: Header=BB4_7212 Depth=2
	v_bfe_u32 v2, v36, 26, 5
	s_mov_b32 s41, exec_lo
	s_delay_alu instid0(VALU_DEP_1)
	v_cmpx_eq_u32_e32 0, v2
; %bb.7938:                             ;   in Loop: Header=BB4_7212 Depth=2
	v_clz_i32_u32_e32 v2, v20
	s_delay_alu instid0(VALU_DEP_1) | instskip(NEXT) | instid1(VALU_DEP_1)
	v_min_u32_e32 v2, 32, v2
	v_subrev_nc_u32_e32 v20, 29, v2
	s_delay_alu instid0(VALU_DEP_1) | instskip(NEXT) | instid1(VALU_DEP_1)
	v_lshlrev_b64_e32 v[20:21], v20, v[30:31]
	v_dual_sub_nc_u32 v2, 30, v2 :: v_dual_bitop2_b32 v20, 3, v20 bitop3:0x40
; %bb.7939:                             ;   in Loop: Header=BB4_7212 Depth=2
	s_or_b32 exec_lo, exec_lo, s41
	v_and_b32_e32 v21, 0x80000000, v36
	s_delay_alu instid0(VALU_DEP_1) | instskip(NEXT) | instid1(VALU_DEP_1)
	v_lshl_add_u32 v2, v2, 23, v21
	v_lshl_or_b32 v2, v20, 21, v2
                                        ; implicit-def: $vgpr20
	s_delay_alu instid0(VALU_DEP_1)
	v_add_nc_u32_e32 v2, 0x38000000, v2
.LBB4_7940:                             ;   in Loop: Header=BB4_7212 Depth=2
	s_and_not1_saveexec_b32 s40, s40
; %bb.7941:                             ;   in Loop: Header=BB4_7212 Depth=2
	v_cmp_lt_i32_e32 vcc_lo, -1, v36
	v_cndmask_b32_e32 v2, 0xff800000, v109, vcc_lo
	v_cmp_eq_u32_e32 vcc_lo, 0, v20
	s_delay_alu instid0(VALU_DEP_2)
	v_cndmask_b32_e32 v2, 0x7f800001, v2, vcc_lo
; %bb.7942:                             ;   in Loop: Header=BB4_7212 Depth=2
	s_or_b32 exec_lo, exec_lo, s40
.LBB4_7943:                             ;   in Loop: Header=BB4_7212 Depth=2
	s_delay_alu instid0(SALU_CYCLE_1)
	s_or_b32 exec_lo, exec_lo, s29
.LBB4_7944:                             ;   in Loop: Header=BB4_7212 Depth=2
	s_delay_alu instid0(SALU_CYCLE_1) | instskip(SKIP_3) | instid1(VALU_DEP_2)
	s_or_b32 exec_lo, exec_lo, s10
	v_bfe_u32 v21, v11, 24, 2
	v_bfe_u32 v31, v11, 26, 5
	s_mov_b32 s10, exec_lo
	v_clz_i32_u32_e32 v20, v21
	s_delay_alu instid0(VALU_DEP_2) | instskip(NEXT) | instid1(VALU_DEP_2)
	v_cmp_eq_u32_e32 vcc_lo, 0, v31
	v_min_u32_e32 v30, 32, v20
	v_lshrrev_b32_e32 v20, 24, v11
	s_delay_alu instid0(VALU_DEP_2) | instskip(NEXT) | instid1(VALU_DEP_1)
	v_subrev_nc_u32_e32 v24, 29, v30
	v_lshlrev_b64_e32 v[24:25], v24, v[20:21]
	v_sub_nc_u32_e32 v25, 30, v30
	v_and_b32_e32 v30, 0x80000000, v11
	s_delay_alu instid0(VALU_DEP_2) | instskip(NEXT) | instid1(VALU_DEP_1)
	v_dual_cndmask_b32 v25, v31, v25, vcc_lo :: v_dual_bitop2_b32 v24, 3, v24 bitop3:0x40
	v_lshl_add_u32 v25, v25, 23, v30
	s_delay_alu instid0(VALU_DEP_2) | instskip(SKIP_1) | instid1(VALU_DEP_2)
	v_cndmask_b32_e32 v24, v21, v24, vcc_lo
	v_cmp_lt_i64_e32 vcc_lo, -1, v[10:11]
	v_lshl_or_b32 v24, v24, 21, v25
	v_and_b32_e32 v25, 0x7c000000, v11
	v_cndmask_b32_e32 v30, 0xff800000, v109, vcc_lo
	v_cmp_eq_u32_e32 vcc_lo, 0, v21
	s_delay_alu instid0(VALU_DEP_4) | instskip(NEXT) | instid1(VALU_DEP_3)
	v_add_nc_u32_e32 v24, 0x38000000, v24
	v_cndmask_b32_e32 v21, 0x7f800001, v30, vcc_lo
	v_cmp_eq_u32_e32 vcc_lo, 0x7c000000, v25
                                        ; implicit-def: $vgpr30
	s_delay_alu instid0(VALU_DEP_2) | instskip(SKIP_1) | instid1(VALU_DEP_2)
	v_cndmask_b32_e32 v21, v24, v21, vcc_lo
	v_cmp_ne_u32_e32 vcc_lo, 0x80, v20
	v_cndmask_b32_e32 v20, 0x80000000, v21, vcc_lo
	v_cmp_lt_u64_e32 vcc_lo, s[12:13], v[10:11]
	s_delay_alu instid0(VALU_DEP_2) | instskip(NEXT) | instid1(VALU_DEP_1)
	v_dual_mov_b32 v21, v37 :: v_dual_cndmask_b32 v10, 0, v20
	v_add_f32_e32 v10, v10, v2
	s_delay_alu instid0(VALU_DEP_1) | instskip(SKIP_2) | instid1(VALU_DEP_3)
	v_and_b32_e32 v20, 0x7f800000, v10
	v_and_b32_e32 v36, 0x7fffff, v10
	v_lshrrev_b32_e32 v2, 24, v10
	v_cmpx_ne_u64_e32 0x7f800000, v[20:21]
	s_xor_b32 s29, exec_lo, s10
	s_cbranch_execz .LBB4_7958
; %bb.7945:                             ;   in Loop: Header=BB4_7212 Depth=2
	v_and_b32_e32 v20, 0x7fffffff, v10
	v_mov_b32_e32 v21, v37
	v_and_b32_e32 v2, 0x80, v2
                                        ; implicit-def: $vgpr30
	s_mov_b32 s10, exec_lo
	s_delay_alu instid0(VALU_DEP_2)
	v_cmpx_gt_u64_e32 0x47600001, v[20:21]
	s_xor_b32 s40, exec_lo, s10
	s_cbranch_execz .LBB4_7955
; %bb.7946:                             ;   in Loop: Header=BB4_7212 Depth=2
	v_mov_b32_e32 v30, 0
	s_mov_b32 s41, exec_lo
	v_cmpx_ne_u32_e32 0, v10
	s_cbranch_execz .LBB4_7954
; %bb.7947:                             ;   in Loop: Header=BB4_7212 Depth=2
	v_bfe_u32 v20, v10, 23, 8
	v_or_b32_e32 v24, 0x800000, v36
	s_delay_alu instid0(VALU_DEP_2) | instskip(SKIP_1) | instid1(VALU_DEP_2)
	v_dual_mov_b32 v25, v37 :: v_dual_sub_nc_u32 v10, 0x71, v20
	v_cmp_gt_u32_e32 vcc_lo, 0x72, v20
	v_cndmask_b32_e32 v10, 0, v10, vcc_lo
	v_cmp_eq_u32_e32 vcc_lo, 0, v20
	s_delay_alu instid0(VALU_DEP_2) | instskip(NEXT) | instid1(VALU_DEP_1)
	v_cndmask_b32_e64 v21, v10, 0x70, vcc_lo
	v_dual_cndmask_b32 v24, v24, v36, vcc_lo :: v_dual_add_nc_u32 v10, 21, v21
	v_add_nc_u32_e32 v30, 20, v21
	s_delay_alu instid0(VALU_DEP_2) | instskip(NEXT) | instid1(VALU_DEP_2)
	v_lshlrev_b64_e64 v[10:11], v10, -1
	v_lshlrev_b64_e64 v[30:31], v30, 1
	s_delay_alu instid0(VALU_DEP_2) | instskip(NEXT) | instid1(VALU_DEP_3)
	v_bfi_b32 v83, v11, 0, 0
	v_bfi_b32 v82, v10, 0, v24
	v_lshrrev_b64 v[10:11], v21, v[24:25]
	s_delay_alu instid0(VALU_DEP_2) | instskip(NEXT) | instid1(VALU_DEP_2)
	v_cmp_eq_u64_e64 s10, v[82:83], v[30:31]
	v_mov_b64_e32 v[82:83], v[10:11]
	s_and_saveexec_b32 s42, s10
; %bb.7948:                             ;   in Loop: Header=BB4_7212 Depth=2
	v_bfe_u32 v24, v10, 21, 1
	v_mov_b32_e32 v25, v37
	s_delay_alu instid0(VALU_DEP_1) | instskip(NEXT) | instid1(VALU_DEP_1)
	v_add_nc_u64_e32 v[24:25], v[10:11], v[24:25]
	v_add_nc_u64_e32 v[82:83], -1, v[24:25]
; %bb.7949:                             ;   in Loop: Header=BB4_7212 Depth=2
	s_or_b32 exec_lo, exec_lo, s42
	v_add_nc_u32_e32 v11, 0xffffff81, v20
	v_lshrrev_b32_e32 v20, 23, v10
	s_mov_b32 s10, exec_lo
	s_delay_alu instid0(VALU_DEP_2) | instskip(NEXT) | instid1(VALU_DEP_1)
	v_cndmask_b32_e64 v11, v11, 0xffffff82, vcc_lo
	v_add3_u32 v21, v21, v11, v20
	v_and_b32_e32 v11, 0x1fffff, v82
                                        ; implicit-def: $vgpr20
	s_delay_alu instid0(VALU_DEP_1) | instskip(NEXT) | instid1(VALU_DEP_1)
	v_dual_add_nc_u32 v30, 14, v21 :: v_dual_add_nc_u32 v36, v11, v10
                                        ; implicit-def: $vgpr10_vgpr11
	v_cmpx_ne_u32_e32 0, v30
	s_xor_b32 s10, exec_lo, s10
; %bb.7950:                             ;   in Loop: Header=BB4_7212 Depth=2
	s_delay_alu instid0(VALU_DEP_2) | instskip(SKIP_1) | instid1(VALU_DEP_1)
	v_cmp_lt_u64_e32 vcc_lo, 0xffffff, v[36:37]
	v_add_nc_u32_e32 v10, 15, v21
	v_cndmask_b32_e32 v20, v30, v10, vcc_lo
	v_cndmask_b32_e64 v10, 0, 1, vcc_lo
	s_delay_alu instid0(VALU_DEP_1)
	v_lshrrev_b64 v[10:11], v10, v[36:37]
; %bb.7951:                             ;   in Loop: Header=BB4_7212 Depth=2
	s_and_not1_saveexec_b32 s10, s10
; %bb.7952:                             ;   in Loop: Header=BB4_7212 Depth=2
	v_mov_b64_e32 v[10:11], v[36:37]
	v_bfe_u32 v20, v36, 23, 1
; %bb.7953:                             ;   in Loop: Header=BB4_7212 Depth=2
	s_or_b32 exec_lo, exec_lo, s10
	s_delay_alu instid0(VALU_DEP_2) | instskip(NEXT) | instid1(VALU_DEP_2)
	v_lshrrev_b64 v[10:11], 21, v[10:11]
	v_cmp_gt_i32_e32 vcc_lo, 32, v20
	v_min_i32_e32 v21, 31, v20
	v_cmp_eq_u32_e64 s10, 0, v20
	s_delay_alu instid0(VALU_DEP_2) | instskip(SKIP_1) | instid1(VALU_DEP_2)
	v_dual_cndmask_b32 v11, 0, v11, vcc_lo :: v_dual_lshlrev_b32 v21, 2, v21
	v_cndmask_b32_e32 v10, 3, v10, vcc_lo
	v_and_b32_e32 v21, 0xfc, v21
	s_delay_alu instid0(VALU_DEP_2) | instskip(NEXT) | instid1(VALU_DEP_2)
	v_cmp_eq_u64_e32 vcc_lo, 0, v[10:11]
	v_and_or_b32 v10, v10, 3, v21
	s_and_b32 s10, s10, vcc_lo
	s_delay_alu instid0(VALU_DEP_1) | instid1(SALU_CYCLE_1)
	v_cndmask_b32_e64 v10, v10, 0, s10
	s_delay_alu instid0(VALU_DEP_1)
	v_or_b32_e32 v30, v10, v2
.LBB4_7954:                             ;   in Loop: Header=BB4_7212 Depth=2
	s_or_b32 exec_lo, exec_lo, s41
                                        ; implicit-def: $vgpr2
.LBB4_7955:                             ;   in Loop: Header=BB4_7212 Depth=2
	s_and_not1_saveexec_b32 s10, s40
; %bb.7956:                             ;   in Loop: Header=BB4_7212 Depth=2
	v_or_b32_e32 v30, 0x7b, v2
; %bb.7957:                             ;   in Loop: Header=BB4_7212 Depth=2
	s_or_b32 exec_lo, exec_lo, s10
                                        ; implicit-def: $vgpr10
                                        ; implicit-def: $vgpr2
.LBB4_7958:                             ;   in Loop: Header=BB4_7212 Depth=2
	s_and_not1_saveexec_b32 s10, s29
	s_cbranch_execz .LBB4_7964
; %bb.7959:                             ;   in Loop: Header=BB4_7212 Depth=2
	s_mov_b32 s29, exec_lo
                                        ; implicit-def: $vgpr30
	v_cmpx_ne_u64_e32 0, v[36:37]
	s_xor_b32 s29, exec_lo, s29
; %bb.7960:                             ;   in Loop: Header=BB4_7212 Depth=2
	v_or_b32_e32 v30, 0x7f, v2
                                        ; implicit-def: $vgpr10
; %bb.7961:                             ;   in Loop: Header=BB4_7212 Depth=2
	s_and_not1_saveexec_b32 s29, s29
; %bb.7962:                             ;   in Loop: Header=BB4_7212 Depth=2
	v_cmp_lt_i32_e32 vcc_lo, -1, v10
	v_cndmask_b32_e32 v30, 0xfc, v110, vcc_lo
; %bb.7963:                             ;   in Loop: Header=BB4_7212 Depth=2
	s_or_b32 exec_lo, exec_lo, s29
.LBB4_7964:                             ;   in Loop: Header=BB4_7212 Depth=2
	s_delay_alu instid0(SALU_CYCLE_1) | instskip(SKIP_3) | instid1(VALU_DEP_1)
	s_or_b32 exec_lo, exec_lo, s10
	v_lshl_or_b32 v2, v113, 8, v101
	v_dual_lshlrev_b32 v10, 16, v116 :: v_dual_lshlrev_b32 v11, 24, v118
	s_mov_b32 s10, exec_lo
	v_or3_b32 v36, v10, v11, v2
	v_mov_b32_e32 v10, 0
	v_cmpx_ne_u32_e32 0, v101
	s_cbranch_execz .LBB4_7974
; %bb.7965:                             ;   in Loop: Header=BB4_7212 Depth=2
	v_bfrev_b32_e32 v10, 1
	s_mov_b32 s29, exec_lo
	v_cmpx_ne_u32_e32 0x80, v101
	s_cbranch_execz .LBB4_7973
; %bb.7966:                             ;   in Loop: Header=BB4_7212 Depth=2
	v_and_b32_e32 v10, 0x7c, v101
	v_and_b32_e32 v11, 3, v101
	s_delay_alu instid0(VALU_DEP_2) | instskip(SKIP_1) | instid1(SALU_CYCLE_1)
	v_cmp_ne_u32_e32 vcc_lo, 0x7c, v10
                                        ; implicit-def: $vgpr10
	s_and_saveexec_b32 s40, vcc_lo
	s_xor_b32 s40, exec_lo, s40
	s_cbranch_execz .LBB4_7970
; %bb.7967:                             ;   in Loop: Header=BB4_7212 Depth=2
	v_bfe_u32 v10, v101, 2, 5
	s_mov_b32 s41, exec_lo
	s_delay_alu instid0(VALU_DEP_1)
	v_cmpx_eq_u32_e32 0, v10
; %bb.7968:                             ;   in Loop: Header=BB4_7212 Depth=2
	v_clz_i32_u32_e32 v10, v11
	s_delay_alu instid0(VALU_DEP_1) | instskip(NEXT) | instid1(VALU_DEP_1)
	v_min_u32_e32 v10, 32, v10
	v_subrev_nc_u32_e32 v11, 29, v10
	s_delay_alu instid0(VALU_DEP_1) | instskip(NEXT) | instid1(VALU_DEP_1)
	v_lshlrev_b64_e32 v[20:21], v11, v[36:37]
	v_dual_sub_nc_u32 v10, 30, v10 :: v_dual_bitop2_b32 v11, 3, v20 bitop3:0x40
; %bb.7969:                             ;   in Loop: Header=BB4_7212 Depth=2
	s_or_b32 exec_lo, exec_lo, s41
	v_lshlrev_b32_e32 v20, 24, v101
                                        ; implicit-def: $vgpr101
	s_delay_alu instid0(VALU_DEP_1) | instskip(NEXT) | instid1(VALU_DEP_1)
	v_and_b32_e32 v20, 0x80000000, v20
	v_lshl_add_u32 v10, v10, 23, v20
	s_delay_alu instid0(VALU_DEP_1) | instskip(NEXT) | instid1(VALU_DEP_1)
	v_lshl_or_b32 v10, v11, 21, v10
                                        ; implicit-def: $vgpr11
	v_add_nc_u32_e32 v10, 0x38000000, v10
.LBB4_7970:                             ;   in Loop: Header=BB4_7212 Depth=2
	s_and_not1_saveexec_b32 s40, s40
; %bb.7971:                             ;   in Loop: Header=BB4_7212 Depth=2
	v_and_b32_e32 v10, 0x80, v101
	s_delay_alu instid0(VALU_DEP_1) | instskip(SKIP_2) | instid1(VALU_DEP_2)
	v_cmp_eq_u32_e32 vcc_lo, 0, v10
	v_cndmask_b32_e32 v10, 0xff800000, v109, vcc_lo
	v_cmp_eq_u32_e32 vcc_lo, 0, v11
	v_cndmask_b32_e32 v10, 0x7f800001, v10, vcc_lo
; %bb.7972:                             ;   in Loop: Header=BB4_7212 Depth=2
	s_or_b32 exec_lo, exec_lo, s40
.LBB4_7973:                             ;   in Loop: Header=BB4_7212 Depth=2
	s_delay_alu instid0(SALU_CYCLE_1)
	s_or_b32 exec_lo, exec_lo, s29
.LBB4_7974:                             ;   in Loop: Header=BB4_7212 Depth=2
	s_delay_alu instid0(SALU_CYCLE_1) | instskip(SKIP_3) | instid1(VALU_DEP_1)
	s_or_b32 exec_lo, exec_lo, s10
	v_and_b32_e32 v20, 0xff, v12
	s_mov_b32 s29, 0
	s_mov_b32 s10, exec_lo
	v_cmpx_lt_i16_e32 0x7f, v20
	s_xor_b32 s10, exec_lo, s10
	s_cbranch_execnz .LBB4_8251
; %bb.7975:                             ;   in Loop: Header=BB4_7212 Depth=2
	s_or_saveexec_b32 s10, s10
	v_bfrev_b32_e32 v11, 1
	s_xor_b32 exec_lo, exec_lo, s10
	s_cbranch_execnz .LBB4_8254
.LBB4_7976:                             ;   in Loop: Header=BB4_7212 Depth=2
	s_or_b32 exec_lo, exec_lo, s10
	s_and_saveexec_b32 s10, s29
	s_cbranch_execz .LBB4_7978
.LBB4_7977:                             ;   in Loop: Header=BB4_7212 Depth=2
	v_and_b32_e32 v11, 3, v12
	v_bfe_u32 v25, v12, 2, 5
	s_delay_alu instid0(VALU_DEP_2) | instskip(NEXT) | instid1(VALU_DEP_2)
	v_clz_i32_u32_e32 v20, v11
	v_cmp_eq_u32_e32 vcc_lo, 0, v25
	s_delay_alu instid0(VALU_DEP_2) | instskip(NEXT) | instid1(VALU_DEP_1)
	v_min_u32_e32 v24, 32, v20
	v_subrev_nc_u32_e32 v20, 29, v24
	v_sub_nc_u32_e32 v24, 30, v24
	s_delay_alu instid0(VALU_DEP_2) | instskip(SKIP_1) | instid1(VALU_DEP_3)
	v_lshlrev_b64_e32 v[20:21], v20, v[12:13]
	v_lshlrev_b32_e32 v21, 24, v12
	v_cndmask_b32_e32 v24, v25, v24, vcc_lo
	v_bfe_i32 v25, v12, 0, 8
	s_delay_alu instid0(VALU_DEP_3) | instskip(SKIP_1) | instid1(VALU_DEP_2)
	v_and_b32_e32 v21, 0x80000000, v21
	v_and_b32_e32 v20, 3, v20
	v_lshl_add_u32 v21, v24, 23, v21
	s_delay_alu instid0(VALU_DEP_2) | instskip(SKIP_1) | instid1(VALU_DEP_2)
	v_cndmask_b32_e32 v20, v11, v20, vcc_lo
	v_cmp_lt_i16_e32 vcc_lo, -1, v25
	v_lshl_or_b32 v20, v20, 21, v21
	v_cndmask_b32_e32 v24, 0xff800000, v109, vcc_lo
	v_and_b32_e32 v21, 0x7c, v12
	v_cmp_eq_u32_e32 vcc_lo, 0, v11
	s_delay_alu instid0(VALU_DEP_4) | instskip(NEXT) | instid1(VALU_DEP_4)
	v_add_nc_u32_e32 v20, 0x38000000, v20
	v_cndmask_b32_e32 v11, 0x7f800001, v24, vcc_lo
	s_delay_alu instid0(VALU_DEP_4) | instskip(NEXT) | instid1(VALU_DEP_2)
	v_cmp_eq_u32_e32 vcc_lo, 0x7c, v21
	v_cndmask_b32_e32 v11, v20, v11, vcc_lo
.LBB4_7978:                             ;   in Loop: Header=BB4_7212 Depth=2
	s_or_b32 exec_lo, exec_lo, s10
	s_delay_alu instid0(VALU_DEP_1) | instskip(SKIP_1) | instid1(VALU_DEP_2)
	v_dual_add_f32 v82, v10, v11 :: v_dual_mov_b32 v21, v37
	v_mov_b32_e32 v11, v37
                                        ; implicit-def: $vgpr101
	v_and_b32_e32 v20, 0x7f800000, v82
	v_and_b32_e32 v10, 0x7fffff, v82
	s_delay_alu instid0(VALU_DEP_2) | instskip(SKIP_2) | instid1(SALU_CYCLE_1)
	v_cmp_ne_u64_e32 vcc_lo, 0x7f800000, v[20:21]
	v_lshrrev_b32_e32 v20, 24, v82
	s_and_saveexec_b32 s10, vcc_lo
	s_xor_b32 s29, exec_lo, s10
	s_cbranch_execz .LBB4_7992
; %bb.7979:                             ;   in Loop: Header=BB4_7212 Depth=2
	v_and_b32_e32 v24, 0x7fffffff, v82
	v_mov_b32_e32 v25, v37
	v_and_b32_e32 v84, 0x80, v20
                                        ; implicit-def: $vgpr101
	s_mov_b32 s10, exec_lo
	s_delay_alu instid0(VALU_DEP_2)
	v_cmpx_gt_u64_e32 0x47600001, v[24:25]
	s_xor_b32 s40, exec_lo, s10
	s_cbranch_execz .LBB4_7989
; %bb.7980:                             ;   in Loop: Header=BB4_7212 Depth=2
	v_mov_b32_e32 v101, 0
	s_mov_b32 s41, exec_lo
	v_cmpx_ne_u32_e32 0, v82
	s_cbranch_execz .LBB4_7988
; %bb.7981:                             ;   in Loop: Header=BB4_7212 Depth=2
	v_bfe_u32 v20, v82, 23, 8
	v_or_b32_e32 v31, 0x800000, v10
	s_delay_alu instid0(VALU_DEP_2) | instskip(SKIP_1) | instid1(VALU_DEP_2)
	v_sub_nc_u32_e32 v21, 0x71, v20
	v_cmp_gt_u32_e32 vcc_lo, 0x72, v20
	v_cndmask_b32_e32 v21, 0, v21, vcc_lo
	v_cmp_eq_u32_e32 vcc_lo, 0, v20
	s_delay_alu instid0(VALU_DEP_2) | instskip(NEXT) | instid1(VALU_DEP_1)
	v_cndmask_b32_e64 v21, v21, 0x70, vcc_lo
	v_dual_cndmask_b32 v10, v31, v10, vcc_lo :: v_dual_add_nc_u32 v24, 21, v21
	v_add_nc_u32_e32 v82, 20, v21
	s_delay_alu instid0(VALU_DEP_2) | instskip(NEXT) | instid1(VALU_DEP_2)
	v_lshlrev_b64_e64 v[24:25], v24, -1
	v_lshlrev_b64_e64 v[82:83], v82, 1
	s_delay_alu instid0(VALU_DEP_2) | instskip(SKIP_1) | instid1(VALU_DEP_4)
	v_bfi_b32 v24, v24, 0, v10
	v_lshrrev_b64 v[10:11], v21, v[10:11]
	v_bfi_b32 v25, v25, 0, 0
	s_delay_alu instid0(VALU_DEP_1) | instskip(NEXT) | instid1(VALU_DEP_3)
	v_cmp_eq_u64_e64 s10, v[24:25], v[82:83]
	v_mov_b64_e32 v[82:83], v[10:11]
	s_and_saveexec_b32 s42, s10
; %bb.7982:                             ;   in Loop: Header=BB4_7212 Depth=2
	v_bfe_u32 v24, v10, 21, 1
	v_mov_b32_e32 v25, v37
	s_delay_alu instid0(VALU_DEP_1) | instskip(NEXT) | instid1(VALU_DEP_1)
	v_add_nc_u64_e32 v[24:25], v[10:11], v[24:25]
	v_add_nc_u64_e32 v[82:83], -1, v[24:25]
; %bb.7983:                             ;   in Loop: Header=BB4_7212 Depth=2
	s_or_b32 exec_lo, exec_lo, s42
	v_add_nc_u32_e32 v11, 0xffffff81, v20
	v_lshrrev_b32_e32 v20, 23, v10
	s_mov_b32 s10, exec_lo
	s_delay_alu instid0(VALU_DEP_2) | instskip(NEXT) | instid1(VALU_DEP_1)
	v_cndmask_b32_e64 v11, v11, 0xffffff82, vcc_lo
	v_add3_u32 v21, v21, v11, v20
	v_and_b32_e32 v11, 0x1fffff, v82
                                        ; implicit-def: $vgpr20
	s_delay_alu instid0(VALU_DEP_1) | instskip(SKIP_1) | instid1(VALU_DEP_2)
	v_dual_add_nc_u32 v82, 14, v21 :: v_dual_add_nc_u32 v10, v11, v10
	v_mov_b32_e32 v11, v37
	v_cmpx_ne_u32_e32 0, v82
	s_xor_b32 s10, exec_lo, s10
; %bb.7984:                             ;   in Loop: Header=BB4_7212 Depth=2
	s_delay_alu instid0(VALU_DEP_2) | instskip(SKIP_2) | instid1(VALU_DEP_2)
	v_cmp_lt_u64_e32 vcc_lo, 0xffffff, v[10:11]
	v_add_nc_u32_e32 v20, 15, v21
	v_cndmask_b32_e64 v21, 0, 1, vcc_lo
	v_cndmask_b32_e32 v20, v82, v20, vcc_lo
	s_delay_alu instid0(VALU_DEP_2)
	v_lshrrev_b64 v[10:11], v21, v[10:11]
; %bb.7985:                             ;   in Loop: Header=BB4_7212 Depth=2
	s_and_not1_saveexec_b32 s10, s10
; %bb.7986:                             ;   in Loop: Header=BB4_7212 Depth=2
	s_delay_alu instid0(VALU_DEP_1)
	v_bfe_u32 v20, v10, 23, 1
; %bb.7987:                             ;   in Loop: Header=BB4_7212 Depth=2
	s_or_b32 exec_lo, exec_lo, s10
	s_delay_alu instid0(VALU_DEP_2) | instskip(NEXT) | instid1(VALU_DEP_2)
	v_lshrrev_b64 v[10:11], 21, v[10:11]
	v_cmp_gt_i32_e32 vcc_lo, 32, v20
	v_min_i32_e32 v21, 31, v20
	v_cmp_eq_u32_e64 s10, 0, v20
	s_delay_alu instid0(VALU_DEP_2) | instskip(SKIP_1) | instid1(VALU_DEP_2)
	v_dual_cndmask_b32 v11, 0, v11, vcc_lo :: v_dual_lshlrev_b32 v21, 2, v21
	v_cndmask_b32_e32 v10, 3, v10, vcc_lo
	v_and_b32_e32 v21, 0xfc, v21
	s_delay_alu instid0(VALU_DEP_2) | instskip(NEXT) | instid1(VALU_DEP_2)
	v_cmp_eq_u64_e32 vcc_lo, 0, v[10:11]
	v_and_or_b32 v10, v10, 3, v21
	s_and_b32 s10, s10, vcc_lo
	s_delay_alu instid0(VALU_DEP_1) | instid1(SALU_CYCLE_1)
	v_cndmask_b32_e64 v10, v10, 0, s10
	s_delay_alu instid0(VALU_DEP_1)
	v_or_b32_e32 v101, v10, v84
.LBB4_7988:                             ;   in Loop: Header=BB4_7212 Depth=2
	s_or_b32 exec_lo, exec_lo, s41
                                        ; implicit-def: $vgpr84
.LBB4_7989:                             ;   in Loop: Header=BB4_7212 Depth=2
	s_and_not1_saveexec_b32 s10, s40
; %bb.7990:                             ;   in Loop: Header=BB4_7212 Depth=2
	v_or_b32_e32 v101, 0x7b, v84
; %bb.7991:                             ;   in Loop: Header=BB4_7212 Depth=2
	s_or_b32 exec_lo, exec_lo, s10
                                        ; implicit-def: $vgpr82
                                        ; implicit-def: $vgpr10_vgpr11
                                        ; implicit-def: $vgpr20
.LBB4_7992:                             ;   in Loop: Header=BB4_7212 Depth=2
	s_and_not1_saveexec_b32 s10, s29
	s_cbranch_execz .LBB4_7998
; %bb.7993:                             ;   in Loop: Header=BB4_7212 Depth=2
	s_mov_b32 s29, exec_lo
                                        ; implicit-def: $vgpr101
	v_cmpx_ne_u64_e32 0, v[10:11]
	s_xor_b32 s29, exec_lo, s29
; %bb.7994:                             ;   in Loop: Header=BB4_7212 Depth=2
	v_or_b32_e32 v101, 0x7f, v20
                                        ; implicit-def: $vgpr82
; %bb.7995:                             ;   in Loop: Header=BB4_7212 Depth=2
	s_and_not1_saveexec_b32 s29, s29
; %bb.7996:                             ;   in Loop: Header=BB4_7212 Depth=2
	v_cmp_lt_i32_e32 vcc_lo, -1, v82
	v_cndmask_b32_e32 v101, 0xfc, v110, vcc_lo
; %bb.7997:                             ;   in Loop: Header=BB4_7212 Depth=2
	s_or_b32 exec_lo, exec_lo, s29
.LBB4_7998:                             ;   in Loop: Header=BB4_7212 Depth=2
	s_delay_alu instid0(SALU_CYCLE_1) | instskip(SKIP_3) | instid1(VALU_DEP_2)
	s_or_b32 exec_lo, exec_lo, s10
	v_lshrrev_b16 v10, 8, v2
	v_mov_b32_e32 v82, 0
	s_mov_b32 s10, exec_lo
	v_cmpx_ne_u16_e32 0, v10
	s_cbranch_execz .LBB4_8008
; %bb.7999:                             ;   in Loop: Header=BB4_7212 Depth=2
	v_bfrev_b32_e32 v82, 1
	s_mov_b32 s29, exec_lo
	v_cmpx_ne_u16_e32 0x80, v10
	s_cbranch_execz .LBB4_8007
; %bb.8000:                             ;   in Loop: Header=BB4_7212 Depth=2
	v_and_b32_e32 v20, 0xffff, v10
	s_mov_b32 s40, exec_lo
                                        ; implicit-def: $vgpr82
	s_delay_alu instid0(VALU_DEP_1) | instskip(SKIP_1) | instid1(VALU_DEP_2)
	v_and_b32_e32 v21, 0x7c, v20
	v_and_b32_e32 v11, 3, v20
	v_cmpx_ne_u32_e32 0x7c, v21
	s_xor_b32 s40, exec_lo, s40
	s_cbranch_execz .LBB4_8004
; %bb.8001:                             ;   in Loop: Header=BB4_7212 Depth=2
	v_bfe_u32 v20, v20, 2, 5
	s_mov_b32 s41, exec_lo
	s_delay_alu instid0(VALU_DEP_1)
	v_cmpx_eq_u32_e32 0, v20
	s_cbranch_execz .LBB4_8003
; %bb.8002:                             ;   in Loop: Header=BB4_7212 Depth=2
	v_clz_i32_u32_e32 v11, v11
	s_delay_alu instid0(VALU_DEP_1) | instskip(SKIP_1) | instid1(VALU_DEP_2)
	v_min_u32_e32 v20, 32, v11
	v_mov_b32_e32 v11, v37
	v_subrev_nc_u32_e32 v21, 29, v20
	v_sub_nc_u32_e32 v20, 30, v20
	s_delay_alu instid0(VALU_DEP_2) | instskip(NEXT) | instid1(VALU_DEP_1)
	v_lshlrev_b64_e32 v[10:11], v21, v[10:11]
	v_and_b32_e32 v11, 3, v10
.LBB4_8003:                             ;   in Loop: Header=BB4_7212 Depth=2
	s_or_b32 exec_lo, exec_lo, s41
	v_lshlrev_b32_e32 v2, 16, v2
	s_delay_alu instid0(VALU_DEP_1) | instskip(NEXT) | instid1(VALU_DEP_1)
	v_and_b32_e32 v2, 0x80000000, v2
	v_lshl_add_u32 v2, v20, 23, v2
	s_delay_alu instid0(VALU_DEP_1) | instskip(NEXT) | instid1(VALU_DEP_1)
	v_lshl_or_b32 v2, v11, 21, v2
                                        ; implicit-def: $vgpr11
	v_add_nc_u32_e32 v82, 0x38000000, v2
                                        ; implicit-def: $vgpr2
.LBB4_8004:                             ;   in Loop: Header=BB4_7212 Depth=2
	s_and_not1_saveexec_b32 s40, s40
; %bb.8005:                             ;   in Loop: Header=BB4_7212 Depth=2
	v_cmp_lt_i16_e32 vcc_lo, -1, v2
	v_cndmask_b32_e32 v2, 0xff800000, v109, vcc_lo
	v_cmp_eq_u32_e32 vcc_lo, 0, v11
	s_delay_alu instid0(VALU_DEP_2)
	v_cndmask_b32_e32 v82, 0x7f800001, v2, vcc_lo
; %bb.8006:                             ;   in Loop: Header=BB4_7212 Depth=2
	s_or_b32 exec_lo, exec_lo, s40
.LBB4_8007:                             ;   in Loop: Header=BB4_7212 Depth=2
	s_delay_alu instid0(SALU_CYCLE_1)
	s_or_b32 exec_lo, exec_lo, s29
.LBB4_8008:                             ;   in Loop: Header=BB4_7212 Depth=2
	s_delay_alu instid0(SALU_CYCLE_1) | instskip(SKIP_3) | instid1(VALU_DEP_1)
	s_or_b32 exec_lo, exec_lo, s10
	v_lshrrev_b16 v10, 8, v12
	s_mov_b32 s29, 0
	s_mov_b32 s10, exec_lo
	v_cmpx_lt_i16_e32 0x7f, v10
	s_xor_b32 s10, exec_lo, s10
	s_cbranch_execnz .LBB4_8255
; %bb.8009:                             ;   in Loop: Header=BB4_7212 Depth=2
	s_or_saveexec_b32 s10, s10
	v_bfrev_b32_e32 v2, 1
	s_xor_b32 exec_lo, exec_lo, s10
	s_cbranch_execnz .LBB4_8258
.LBB4_8010:                             ;   in Loop: Header=BB4_7212 Depth=2
	s_or_b32 exec_lo, exec_lo, s10
	s_and_saveexec_b32 s10, s29
	s_cbranch_execz .LBB4_8012
.LBB4_8011:                             ;   in Loop: Header=BB4_7212 Depth=2
	v_and_b32_e32 v2, 0xffff, v10
	s_delay_alu instid0(VALU_DEP_1) | instskip(NEXT) | instid1(VALU_DEP_1)
	v_and_b32_e32 v24, 3, v2
	v_clz_i32_u32_e32 v11, v24
	s_delay_alu instid0(VALU_DEP_1) | instskip(SKIP_1) | instid1(VALU_DEP_2)
	v_min_u32_e32 v25, 32, v11
	v_mov_b32_e32 v11, v37
	v_subrev_nc_u32_e32 v20, 29, v25
	s_delay_alu instid0(VALU_DEP_1) | instskip(SKIP_3) | instid1(VALU_DEP_3)
	v_lshlrev_b64_e32 v[20:21], v20, v[10:11]
	v_bfe_u32 v11, v2, 2, 5
	v_dual_lshlrev_b32 v10, 24, v10 :: v_dual_sub_nc_u32 v21, 30, v25
	v_and_b32_e32 v2, 0x7c, v2
	v_cmp_eq_u32_e32 vcc_lo, 0, v11
	s_delay_alu instid0(VALU_DEP_3) | instskip(NEXT) | instid1(VALU_DEP_4)
	v_and_b32_e32 v10, 0x80000000, v10
	v_dual_cndmask_b32 v11, v11, v21, vcc_lo :: v_dual_bitop2_b32 v20, 3, v20 bitop3:0x40
	s_delay_alu instid0(VALU_DEP_1) | instskip(SKIP_1) | instid1(VALU_DEP_3)
	v_cndmask_b32_e32 v20, v24, v20, vcc_lo
	v_cmp_lt_i16_e32 vcc_lo, -1, v12
	v_lshl_add_u32 v10, v11, 23, v10
	v_cndmask_b32_e32 v11, 0xff800000, v109, vcc_lo
	v_cmp_eq_u32_e32 vcc_lo, 0, v24
	s_delay_alu instid0(VALU_DEP_3) | instskip(NEXT) | instid1(VALU_DEP_3)
	v_lshl_or_b32 v10, v20, 21, v10
	v_cndmask_b32_e32 v11, 0x7f800001, v11, vcc_lo
	s_delay_alu instid0(VALU_DEP_2) | instskip(SKIP_1) | instid1(VALU_DEP_2)
	v_add_nc_u32_e32 v10, 0x38000000, v10
	v_cmp_eq_u32_e32 vcc_lo, 0x7c, v2
	v_cndmask_b32_e32 v2, v10, v11, vcc_lo
.LBB4_8012:                             ;   in Loop: Header=BB4_7212 Depth=2
	s_or_b32 exec_lo, exec_lo, s10
	s_delay_alu instid0(VALU_DEP_1) | instskip(SKIP_2) | instid1(VALU_DEP_2)
	v_dual_add_f32 v82, v82, v2 :: v_dual_mov_b32 v21, v37
	v_mov_b32_e32 v11, v37
                                        ; implicit-def: $vgpr113
	s_mov_b32 s10, exec_lo
	v_and_b32_e32 v20, 0x7f800000, v82
	v_and_b32_e32 v10, 0x7fffff, v82
	v_lshrrev_b32_e32 v2, 24, v82
	s_delay_alu instid0(VALU_DEP_3)
	v_cmpx_ne_u64_e32 0x7f800000, v[20:21]
	s_xor_b32 s29, exec_lo, s10
	s_cbranch_execz .LBB4_8026
; %bb.8013:                             ;   in Loop: Header=BB4_7212 Depth=2
	v_and_b32_e32 v20, 0x7fffffff, v82
	v_mov_b32_e32 v21, v37
	v_and_b32_e32 v2, 0x80, v2
                                        ; implicit-def: $vgpr113
	s_mov_b32 s10, exec_lo
	s_delay_alu instid0(VALU_DEP_2)
	v_cmpx_gt_u64_e32 0x47600001, v[20:21]
	s_xor_b32 s40, exec_lo, s10
	s_cbranch_execz .LBB4_8023
; %bb.8014:                             ;   in Loop: Header=BB4_7212 Depth=2
	v_mov_b32_e32 v113, 0
	s_mov_b32 s41, exec_lo
	v_cmpx_ne_u32_e32 0, v82
	s_cbranch_execz .LBB4_8022
; %bb.8015:                             ;   in Loop: Header=BB4_7212 Depth=2
	v_bfe_u32 v20, v82, 23, 8
	v_or_b32_e32 v31, 0x800000, v10
	s_delay_alu instid0(VALU_DEP_2) | instskip(SKIP_1) | instid1(VALU_DEP_2)
	v_sub_nc_u32_e32 v21, 0x71, v20
	v_cmp_gt_u32_e32 vcc_lo, 0x72, v20
	v_cndmask_b32_e32 v21, 0, v21, vcc_lo
	v_cmp_eq_u32_e32 vcc_lo, 0, v20
	s_delay_alu instid0(VALU_DEP_2) | instskip(NEXT) | instid1(VALU_DEP_1)
	v_cndmask_b32_e64 v21, v21, 0x70, vcc_lo
	v_dual_cndmask_b32 v10, v31, v10, vcc_lo :: v_dual_add_nc_u32 v24, 21, v21
	v_add_nc_u32_e32 v82, 20, v21
	s_delay_alu instid0(VALU_DEP_2) | instskip(NEXT) | instid1(VALU_DEP_2)
	v_lshlrev_b64_e64 v[24:25], v24, -1
	v_lshlrev_b64_e64 v[82:83], v82, 1
	s_delay_alu instid0(VALU_DEP_2) | instskip(SKIP_1) | instid1(VALU_DEP_4)
	v_bfi_b32 v24, v24, 0, v10
	v_lshrrev_b64 v[10:11], v21, v[10:11]
	v_bfi_b32 v25, v25, 0, 0
	s_delay_alu instid0(VALU_DEP_1) | instskip(NEXT) | instid1(VALU_DEP_3)
	v_cmp_eq_u64_e64 s10, v[24:25], v[82:83]
	v_mov_b64_e32 v[82:83], v[10:11]
	s_and_saveexec_b32 s42, s10
; %bb.8016:                             ;   in Loop: Header=BB4_7212 Depth=2
	v_bfe_u32 v24, v10, 21, 1
	v_mov_b32_e32 v25, v37
	s_delay_alu instid0(VALU_DEP_1) | instskip(NEXT) | instid1(VALU_DEP_1)
	v_add_nc_u64_e32 v[24:25], v[10:11], v[24:25]
	v_add_nc_u64_e32 v[82:83], -1, v[24:25]
; %bb.8017:                             ;   in Loop: Header=BB4_7212 Depth=2
	s_or_b32 exec_lo, exec_lo, s42
	v_add_nc_u32_e32 v11, 0xffffff81, v20
	v_lshrrev_b32_e32 v20, 23, v10
	s_mov_b32 s10, exec_lo
	s_delay_alu instid0(VALU_DEP_2) | instskip(NEXT) | instid1(VALU_DEP_1)
	v_cndmask_b32_e64 v11, v11, 0xffffff82, vcc_lo
	v_add3_u32 v21, v21, v11, v20
	v_and_b32_e32 v11, 0x1fffff, v82
                                        ; implicit-def: $vgpr20
	s_delay_alu instid0(VALU_DEP_1) | instskip(SKIP_1) | instid1(VALU_DEP_2)
	v_dual_add_nc_u32 v82, 14, v21 :: v_dual_add_nc_u32 v10, v11, v10
	v_mov_b32_e32 v11, v37
	v_cmpx_ne_u32_e32 0, v82
	s_xor_b32 s10, exec_lo, s10
; %bb.8018:                             ;   in Loop: Header=BB4_7212 Depth=2
	s_delay_alu instid0(VALU_DEP_2) | instskip(SKIP_2) | instid1(VALU_DEP_2)
	v_cmp_lt_u64_e32 vcc_lo, 0xffffff, v[10:11]
	v_add_nc_u32_e32 v20, 15, v21
	v_cndmask_b32_e64 v21, 0, 1, vcc_lo
	v_cndmask_b32_e32 v20, v82, v20, vcc_lo
	s_delay_alu instid0(VALU_DEP_2)
	v_lshrrev_b64 v[10:11], v21, v[10:11]
; %bb.8019:                             ;   in Loop: Header=BB4_7212 Depth=2
	s_and_not1_saveexec_b32 s10, s10
; %bb.8020:                             ;   in Loop: Header=BB4_7212 Depth=2
	s_delay_alu instid0(VALU_DEP_1)
	v_bfe_u32 v20, v10, 23, 1
; %bb.8021:                             ;   in Loop: Header=BB4_7212 Depth=2
	s_or_b32 exec_lo, exec_lo, s10
	s_delay_alu instid0(VALU_DEP_2) | instskip(NEXT) | instid1(VALU_DEP_2)
	v_lshrrev_b64 v[10:11], 21, v[10:11]
	v_cmp_gt_i32_e32 vcc_lo, 32, v20
	v_min_i32_e32 v21, 31, v20
	v_cmp_eq_u32_e64 s10, 0, v20
	s_delay_alu instid0(VALU_DEP_2) | instskip(SKIP_1) | instid1(VALU_DEP_2)
	v_dual_cndmask_b32 v11, 0, v11, vcc_lo :: v_dual_lshlrev_b32 v21, 2, v21
	v_cndmask_b32_e32 v10, 3, v10, vcc_lo
	v_and_b32_e32 v21, 0xfc, v21
	s_delay_alu instid0(VALU_DEP_2) | instskip(NEXT) | instid1(VALU_DEP_2)
	v_cmp_eq_u64_e32 vcc_lo, 0, v[10:11]
	v_and_or_b32 v10, v10, 3, v21
	s_and_b32 s10, s10, vcc_lo
	s_delay_alu instid0(VALU_DEP_1) | instid1(SALU_CYCLE_1)
	v_cndmask_b32_e64 v10, v10, 0, s10
	s_delay_alu instid0(VALU_DEP_1)
	v_or_b32_e32 v113, v10, v2
.LBB4_8022:                             ;   in Loop: Header=BB4_7212 Depth=2
	s_or_b32 exec_lo, exec_lo, s41
                                        ; implicit-def: $vgpr2
.LBB4_8023:                             ;   in Loop: Header=BB4_7212 Depth=2
	s_and_not1_saveexec_b32 s10, s40
; %bb.8024:                             ;   in Loop: Header=BB4_7212 Depth=2
	v_or_b32_e32 v113, 0x7b, v2
; %bb.8025:                             ;   in Loop: Header=BB4_7212 Depth=2
	s_or_b32 exec_lo, exec_lo, s10
                                        ; implicit-def: $vgpr82
                                        ; implicit-def: $vgpr10_vgpr11
                                        ; implicit-def: $vgpr2
.LBB4_8026:                             ;   in Loop: Header=BB4_7212 Depth=2
	s_and_not1_saveexec_b32 s10, s29
	s_cbranch_execz .LBB4_8032
; %bb.8027:                             ;   in Loop: Header=BB4_7212 Depth=2
	s_mov_b32 s29, exec_lo
                                        ; implicit-def: $vgpr113
	v_cmpx_ne_u64_e32 0, v[10:11]
	s_xor_b32 s29, exec_lo, s29
; %bb.8028:                             ;   in Loop: Header=BB4_7212 Depth=2
	v_or_b32_e32 v113, 0x7f, v2
                                        ; implicit-def: $vgpr82
; %bb.8029:                             ;   in Loop: Header=BB4_7212 Depth=2
	s_and_not1_saveexec_b32 s29, s29
; %bb.8030:                             ;   in Loop: Header=BB4_7212 Depth=2
	v_cmp_lt_i32_e32 vcc_lo, -1, v82
	v_cndmask_b32_e32 v113, 0xfc, v110, vcc_lo
; %bb.8031:                             ;   in Loop: Header=BB4_7212 Depth=2
	s_or_b32 exec_lo, exec_lo, s29
.LBB4_8032:                             ;   in Loop: Header=BB4_7212 Depth=2
	s_delay_alu instid0(SALU_CYCLE_1) | instskip(SKIP_2) | instid1(VALU_DEP_1)
	s_or_b32 exec_lo, exec_lo, s10
	v_dual_lshrrev_b32 v10, 16, v36 :: v_dual_mov_b32 v2, 0
	s_mov_b32 s10, exec_lo
	v_and_b32_e32 v11, 0xff, v10
	s_delay_alu instid0(VALU_DEP_1)
	v_cmpx_ne_u16_e32 0, v11
	s_cbranch_execz .LBB4_8042
; %bb.8033:                             ;   in Loop: Header=BB4_7212 Depth=2
	v_bfrev_b32_e32 v2, 1
	s_mov_b32 s29, exec_lo
	v_cmpx_ne_u16_e32 0x80, v11
	s_cbranch_execz .LBB4_8041
; %bb.8034:                             ;   in Loop: Header=BB4_7212 Depth=2
	v_and_b32_e32 v2, 0x7c0000, v36
	v_bfe_u32 v11, v36, 16, 2
	s_delay_alu instid0(VALU_DEP_2) | instskip(SKIP_1) | instid1(SALU_CYCLE_1)
	v_cmp_ne_u32_e32 vcc_lo, 0x7c0000, v2
                                        ; implicit-def: $vgpr2
	s_and_saveexec_b32 s40, vcc_lo
	s_xor_b32 s40, exec_lo, s40
	s_cbranch_execz .LBB4_8038
; %bb.8035:                             ;   in Loop: Header=BB4_7212 Depth=2
	v_bfe_u32 v2, v36, 18, 5
	s_mov_b32 s41, exec_lo
	s_delay_alu instid0(VALU_DEP_1)
	v_cmpx_eq_u32_e32 0, v2
; %bb.8036:                             ;   in Loop: Header=BB4_7212 Depth=2
	v_clz_i32_u32_e32 v2, v11
	s_delay_alu instid0(VALU_DEP_1) | instskip(NEXT) | instid1(VALU_DEP_1)
	v_min_u32_e32 v2, 32, v2
	v_subrev_nc_u32_e32 v11, 29, v2
	s_delay_alu instid0(VALU_DEP_1) | instskip(NEXT) | instid1(VALU_DEP_1)
	v_lshlrev_b64_e32 v[20:21], v11, v[10:11]
	v_dual_sub_nc_u32 v2, 30, v2 :: v_dual_bitop2_b32 v11, 3, v20 bitop3:0x40
; %bb.8037:                             ;   in Loop: Header=BB4_7212 Depth=2
	s_or_b32 exec_lo, exec_lo, s41
	v_lshlrev_b32_e32 v10, 24, v10
	s_delay_alu instid0(VALU_DEP_1) | instskip(NEXT) | instid1(VALU_DEP_1)
	v_and_b32_e32 v10, 0x80000000, v10
	v_lshl_add_u32 v2, v2, 23, v10
                                        ; implicit-def: $vgpr10
	s_delay_alu instid0(VALU_DEP_1) | instskip(NEXT) | instid1(VALU_DEP_1)
	v_lshl_or_b32 v2, v11, 21, v2
                                        ; implicit-def: $vgpr11
	v_add_nc_u32_e32 v2, 0x38000000, v2
.LBB4_8038:                             ;   in Loop: Header=BB4_7212 Depth=2
	s_and_not1_saveexec_b32 s40, s40
; %bb.8039:                             ;   in Loop: Header=BB4_7212 Depth=2
	v_bfe_i32 v2, v10, 0, 8
	s_delay_alu instid0(VALU_DEP_1) | instskip(SKIP_2) | instid1(VALU_DEP_2)
	v_cmp_lt_i16_e32 vcc_lo, -1, v2
	v_cndmask_b32_e32 v2, 0xff800000, v109, vcc_lo
	v_cmp_eq_u32_e32 vcc_lo, 0, v11
	v_cndmask_b32_e32 v2, 0x7f800001, v2, vcc_lo
; %bb.8040:                             ;   in Loop: Header=BB4_7212 Depth=2
	s_or_b32 exec_lo, exec_lo, s40
.LBB4_8041:                             ;   in Loop: Header=BB4_7212 Depth=2
	s_delay_alu instid0(SALU_CYCLE_1)
	s_or_b32 exec_lo, exec_lo, s29
.LBB4_8042:                             ;   in Loop: Header=BB4_7212 Depth=2
	s_delay_alu instid0(SALU_CYCLE_1) | instskip(SKIP_3) | instid1(VALU_DEP_1)
	s_or_b32 exec_lo, exec_lo, s10
	v_lshrrev_b32_e32 v10, 16, v12
	s_mov_b32 s29, 0
	s_mov_b32 s10, exec_lo
	v_and_b32_e32 v20, 0xff, v10
	s_delay_alu instid0(VALU_DEP_1)
	v_cmpx_lt_i16_e32 0x7f, v20
	s_xor_b32 s10, exec_lo, s10
	s_cbranch_execnz .LBB4_8259
; %bb.8043:                             ;   in Loop: Header=BB4_7212 Depth=2
	s_or_saveexec_b32 s10, s10
	v_bfrev_b32_e32 v11, 1
	s_xor_b32 exec_lo, exec_lo, s10
	s_cbranch_execnz .LBB4_8262
.LBB4_8044:                             ;   in Loop: Header=BB4_7212 Depth=2
	s_or_b32 exec_lo, exec_lo, s10
	s_and_saveexec_b32 s10, s29
	s_cbranch_execz .LBB4_8046
.LBB4_8045:                             ;   in Loop: Header=BB4_7212 Depth=2
	v_and_b32_e32 v11, 3, v10
	v_bfe_u32 v25, v12, 18, 5
	s_delay_alu instid0(VALU_DEP_2) | instskip(NEXT) | instid1(VALU_DEP_2)
	v_clz_i32_u32_e32 v20, v11
	v_cmp_eq_u32_e32 vcc_lo, 0, v25
	s_delay_alu instid0(VALU_DEP_2) | instskip(NEXT) | instid1(VALU_DEP_1)
	v_min_u32_e32 v24, 32, v20
	v_subrev_nc_u32_e32 v20, 29, v24
	v_sub_nc_u32_e32 v24, 30, v24
	s_delay_alu instid0(VALU_DEP_2) | instskip(NEXT) | instid1(VALU_DEP_2)
	v_lshlrev_b64_e32 v[20:21], v20, v[10:11]
	v_dual_cndmask_b32 v24, v25, v24 :: v_dual_lshlrev_b32 v21, 24, v10
	v_bfe_i32 v10, v10, 0, 8
	s_delay_alu instid0(VALU_DEP_2) | instskip(NEXT) | instid1(VALU_DEP_4)
	v_and_b32_e32 v21, 0x80000000, v21
	v_and_b32_e32 v20, 3, v20
	s_delay_alu instid0(VALU_DEP_2) | instskip(NEXT) | instid1(VALU_DEP_2)
	v_lshl_add_u32 v21, v24, 23, v21
	v_cndmask_b32_e32 v20, v11, v20, vcc_lo
	v_cmp_lt_i16_e32 vcc_lo, -1, v10
	s_delay_alu instid0(VALU_DEP_2) | instskip(SKIP_3) | instid1(VALU_DEP_4)
	v_lshl_or_b32 v20, v20, 21, v21
	v_cndmask_b32_e32 v10, 0xff800000, v109, vcc_lo
	v_and_b32_e32 v21, 0x7c0000, v12
	v_cmp_eq_u32_e32 vcc_lo, 0, v11
	v_add_nc_u32_e32 v11, 0x38000000, v20
	s_delay_alu instid0(VALU_DEP_4) | instskip(NEXT) | instid1(VALU_DEP_4)
	v_cndmask_b32_e32 v10, 0x7f800001, v10, vcc_lo
	v_cmp_eq_u32_e32 vcc_lo, 0x7c0000, v21
	s_delay_alu instid0(VALU_DEP_2)
	v_cndmask_b32_e32 v11, v11, v10, vcc_lo
.LBB4_8046:                             ;   in Loop: Header=BB4_7212 Depth=2
	s_or_b32 exec_lo, exec_lo, s10
	s_delay_alu instid0(VALU_DEP_1) | instskip(SKIP_2) | instid1(VALU_DEP_2)
	v_dual_add_f32 v82, v2, v11 :: v_dual_mov_b32 v21, v37
	v_mov_b32_e32 v11, v37
                                        ; implicit-def: $vgpr116
	s_mov_b32 s10, exec_lo
	v_and_b32_e32 v20, 0x7f800000, v82
	v_and_b32_e32 v10, 0x7fffff, v82
	v_lshrrev_b32_e32 v2, 24, v82
	s_delay_alu instid0(VALU_DEP_3)
	v_cmpx_ne_u64_e32 0x7f800000, v[20:21]
	s_xor_b32 s29, exec_lo, s10
	s_cbranch_execz .LBB4_8060
; %bb.8047:                             ;   in Loop: Header=BB4_7212 Depth=2
	v_and_b32_e32 v20, 0x7fffffff, v82
	v_mov_b32_e32 v21, v37
	v_and_b32_e32 v2, 0x80, v2
                                        ; implicit-def: $vgpr116
	s_mov_b32 s10, exec_lo
	s_delay_alu instid0(VALU_DEP_2)
	v_cmpx_gt_u64_e32 0x47600001, v[20:21]
	s_xor_b32 s40, exec_lo, s10
	s_cbranch_execz .LBB4_8057
; %bb.8048:                             ;   in Loop: Header=BB4_7212 Depth=2
	v_mov_b32_e32 v116, 0
	s_mov_b32 s41, exec_lo
	v_cmpx_ne_u32_e32 0, v82
	s_cbranch_execz .LBB4_8056
; %bb.8049:                             ;   in Loop: Header=BB4_7212 Depth=2
	v_bfe_u32 v20, v82, 23, 8
	v_or_b32_e32 v31, 0x800000, v10
	s_delay_alu instid0(VALU_DEP_2) | instskip(SKIP_1) | instid1(VALU_DEP_2)
	v_sub_nc_u32_e32 v21, 0x71, v20
	v_cmp_gt_u32_e32 vcc_lo, 0x72, v20
	v_cndmask_b32_e32 v21, 0, v21, vcc_lo
	v_cmp_eq_u32_e32 vcc_lo, 0, v20
	s_delay_alu instid0(VALU_DEP_2) | instskip(NEXT) | instid1(VALU_DEP_1)
	v_cndmask_b32_e64 v21, v21, 0x70, vcc_lo
	v_dual_cndmask_b32 v10, v31, v10, vcc_lo :: v_dual_add_nc_u32 v24, 21, v21
	v_add_nc_u32_e32 v82, 20, v21
	s_delay_alu instid0(VALU_DEP_2) | instskip(NEXT) | instid1(VALU_DEP_2)
	v_lshlrev_b64_e64 v[24:25], v24, -1
	v_lshlrev_b64_e64 v[82:83], v82, 1
	s_delay_alu instid0(VALU_DEP_2) | instskip(SKIP_1) | instid1(VALU_DEP_4)
	v_bfi_b32 v24, v24, 0, v10
	v_lshrrev_b64 v[10:11], v21, v[10:11]
	v_bfi_b32 v25, v25, 0, 0
	s_delay_alu instid0(VALU_DEP_1) | instskip(NEXT) | instid1(VALU_DEP_3)
	v_cmp_eq_u64_e64 s10, v[24:25], v[82:83]
	v_mov_b64_e32 v[82:83], v[10:11]
	s_and_saveexec_b32 s42, s10
; %bb.8050:                             ;   in Loop: Header=BB4_7212 Depth=2
	v_bfe_u32 v24, v10, 21, 1
	v_mov_b32_e32 v25, v37
	s_delay_alu instid0(VALU_DEP_1) | instskip(NEXT) | instid1(VALU_DEP_1)
	v_add_nc_u64_e32 v[24:25], v[10:11], v[24:25]
	v_add_nc_u64_e32 v[82:83], -1, v[24:25]
; %bb.8051:                             ;   in Loop: Header=BB4_7212 Depth=2
	s_or_b32 exec_lo, exec_lo, s42
	v_add_nc_u32_e32 v11, 0xffffff81, v20
	v_lshrrev_b32_e32 v20, 23, v10
	s_mov_b32 s10, exec_lo
	s_delay_alu instid0(VALU_DEP_2) | instskip(NEXT) | instid1(VALU_DEP_1)
	v_cndmask_b32_e64 v11, v11, 0xffffff82, vcc_lo
	v_add3_u32 v21, v21, v11, v20
	v_and_b32_e32 v11, 0x1fffff, v82
                                        ; implicit-def: $vgpr20
	s_delay_alu instid0(VALU_DEP_1) | instskip(SKIP_1) | instid1(VALU_DEP_2)
	v_dual_add_nc_u32 v82, 14, v21 :: v_dual_add_nc_u32 v10, v11, v10
	v_mov_b32_e32 v11, v37
	v_cmpx_ne_u32_e32 0, v82
	s_xor_b32 s10, exec_lo, s10
; %bb.8052:                             ;   in Loop: Header=BB4_7212 Depth=2
	s_delay_alu instid0(VALU_DEP_2) | instskip(SKIP_2) | instid1(VALU_DEP_2)
	v_cmp_lt_u64_e32 vcc_lo, 0xffffff, v[10:11]
	v_add_nc_u32_e32 v20, 15, v21
	v_cndmask_b32_e64 v21, 0, 1, vcc_lo
	v_cndmask_b32_e32 v20, v82, v20, vcc_lo
	s_delay_alu instid0(VALU_DEP_2)
	v_lshrrev_b64 v[10:11], v21, v[10:11]
; %bb.8053:                             ;   in Loop: Header=BB4_7212 Depth=2
	s_and_not1_saveexec_b32 s10, s10
; %bb.8054:                             ;   in Loop: Header=BB4_7212 Depth=2
	s_delay_alu instid0(VALU_DEP_1)
	v_bfe_u32 v20, v10, 23, 1
; %bb.8055:                             ;   in Loop: Header=BB4_7212 Depth=2
	s_or_b32 exec_lo, exec_lo, s10
	s_delay_alu instid0(VALU_DEP_2) | instskip(NEXT) | instid1(VALU_DEP_2)
	v_lshrrev_b64 v[10:11], 21, v[10:11]
	v_cmp_gt_i32_e32 vcc_lo, 32, v20
	v_min_i32_e32 v21, 31, v20
	v_cmp_eq_u32_e64 s10, 0, v20
	s_delay_alu instid0(VALU_DEP_2) | instskip(SKIP_1) | instid1(VALU_DEP_2)
	v_dual_cndmask_b32 v11, 0, v11, vcc_lo :: v_dual_lshlrev_b32 v21, 2, v21
	v_cndmask_b32_e32 v10, 3, v10, vcc_lo
	v_and_b32_e32 v21, 0xfc, v21
	s_delay_alu instid0(VALU_DEP_2) | instskip(NEXT) | instid1(VALU_DEP_2)
	v_cmp_eq_u64_e32 vcc_lo, 0, v[10:11]
	v_and_or_b32 v10, v10, 3, v21
	s_and_b32 s10, s10, vcc_lo
	s_delay_alu instid0(VALU_DEP_1) | instid1(SALU_CYCLE_1)
	v_cndmask_b32_e64 v10, v10, 0, s10
	s_delay_alu instid0(VALU_DEP_1)
	v_or_b32_e32 v116, v10, v2
.LBB4_8056:                             ;   in Loop: Header=BB4_7212 Depth=2
	s_or_b32 exec_lo, exec_lo, s41
                                        ; implicit-def: $vgpr2
.LBB4_8057:                             ;   in Loop: Header=BB4_7212 Depth=2
	s_and_not1_saveexec_b32 s10, s40
; %bb.8058:                             ;   in Loop: Header=BB4_7212 Depth=2
	v_or_b32_e32 v116, 0x7b, v2
; %bb.8059:                             ;   in Loop: Header=BB4_7212 Depth=2
	s_or_b32 exec_lo, exec_lo, s10
                                        ; implicit-def: $vgpr82
                                        ; implicit-def: $vgpr10_vgpr11
                                        ; implicit-def: $vgpr2
.LBB4_8060:                             ;   in Loop: Header=BB4_7212 Depth=2
	s_and_not1_saveexec_b32 s10, s29
	s_cbranch_execz .LBB4_8066
; %bb.8061:                             ;   in Loop: Header=BB4_7212 Depth=2
	s_mov_b32 s29, exec_lo
                                        ; implicit-def: $vgpr116
	v_cmpx_ne_u64_e32 0, v[10:11]
	s_xor_b32 s29, exec_lo, s29
; %bb.8062:                             ;   in Loop: Header=BB4_7212 Depth=2
	v_or_b32_e32 v116, 0x7f, v2
                                        ; implicit-def: $vgpr82
; %bb.8063:                             ;   in Loop: Header=BB4_7212 Depth=2
	s_and_not1_saveexec_b32 s29, s29
; %bb.8064:                             ;   in Loop: Header=BB4_7212 Depth=2
	v_cmp_lt_i32_e32 vcc_lo, -1, v82
	v_cndmask_b32_e32 v116, 0xfc, v110, vcc_lo
; %bb.8065:                             ;   in Loop: Header=BB4_7212 Depth=2
	s_or_b32 exec_lo, exec_lo, s29
.LBB4_8066:                             ;   in Loop: Header=BB4_7212 Depth=2
	s_delay_alu instid0(SALU_CYCLE_1)
	s_or_b32 exec_lo, exec_lo, s10
	v_mov_b32_e32 v2, 0
	s_mov_b32 s10, exec_lo
	v_cmpx_lt_u32_e32 0xffffff, v36
	s_cbranch_execz .LBB4_8076
; %bb.8067:                             ;   in Loop: Header=BB4_7212 Depth=2
	v_lshrrev_b32_e32 v10, 24, v36
	v_bfrev_b32_e32 v2, 1
	s_mov_b32 s29, exec_lo
	s_delay_alu instid0(VALU_DEP_2)
	v_cmpx_ne_u32_e32 0x80, v10
	s_cbranch_execz .LBB4_8075
; %bb.8068:                             ;   in Loop: Header=BB4_7212 Depth=2
	v_and_b32_e32 v2, 0x7c000000, v36
	v_bfe_u32 v11, v36, 24, 2
	s_delay_alu instid0(VALU_DEP_2) | instskip(SKIP_1) | instid1(SALU_CYCLE_1)
	v_cmp_ne_u32_e32 vcc_lo, 0x7c000000, v2
                                        ; implicit-def: $vgpr2
	s_and_saveexec_b32 s40, vcc_lo
	s_xor_b32 s40, exec_lo, s40
	s_cbranch_execz .LBB4_8072
; %bb.8069:                             ;   in Loop: Header=BB4_7212 Depth=2
	v_bfe_u32 v2, v36, 26, 5
	s_mov_b32 s41, exec_lo
	s_delay_alu instid0(VALU_DEP_1)
	v_cmpx_eq_u32_e32 0, v2
; %bb.8070:                             ;   in Loop: Header=BB4_7212 Depth=2
	v_clz_i32_u32_e32 v2, v11
	s_delay_alu instid0(VALU_DEP_1) | instskip(NEXT) | instid1(VALU_DEP_1)
	v_min_u32_e32 v2, 32, v2
	v_subrev_nc_u32_e32 v11, 29, v2
	v_sub_nc_u32_e32 v2, 30, v2
	s_delay_alu instid0(VALU_DEP_2) | instskip(NEXT) | instid1(VALU_DEP_1)
	v_lshlrev_b64_e32 v[10:11], v11, v[10:11]
	v_and_b32_e32 v11, 3, v10
; %bb.8071:                             ;   in Loop: Header=BB4_7212 Depth=2
	s_or_b32 exec_lo, exec_lo, s41
	v_and_b32_e32 v10, 0x80000000, v36
	s_delay_alu instid0(VALU_DEP_1) | instskip(NEXT) | instid1(VALU_DEP_1)
	v_lshl_add_u32 v2, v2, 23, v10
	v_lshl_or_b32 v2, v11, 21, v2
                                        ; implicit-def: $vgpr11
	s_delay_alu instid0(VALU_DEP_1)
	v_add_nc_u32_e32 v2, 0x38000000, v2
.LBB4_8072:                             ;   in Loop: Header=BB4_7212 Depth=2
	s_and_not1_saveexec_b32 s40, s40
; %bb.8073:                             ;   in Loop: Header=BB4_7212 Depth=2
	v_cmp_lt_i32_e32 vcc_lo, -1, v36
	v_cndmask_b32_e32 v2, 0xff800000, v109, vcc_lo
	v_cmp_eq_u32_e32 vcc_lo, 0, v11
	s_delay_alu instid0(VALU_DEP_2)
	v_cndmask_b32_e32 v2, 0x7f800001, v2, vcc_lo
; %bb.8074:                             ;   in Loop: Header=BB4_7212 Depth=2
	s_or_b32 exec_lo, exec_lo, s40
.LBB4_8075:                             ;   in Loop: Header=BB4_7212 Depth=2
	s_delay_alu instid0(SALU_CYCLE_1)
	s_or_b32 exec_lo, exec_lo, s29
.LBB4_8076:                             ;   in Loop: Header=BB4_7212 Depth=2
	s_delay_alu instid0(SALU_CYCLE_1) | instskip(SKIP_3) | instid1(VALU_DEP_2)
	s_or_b32 exec_lo, exec_lo, s10
	v_bfe_u32 v11, v12, 24, 2
	v_bfe_u32 v25, v12, 26, 5
                                        ; implicit-def: $vgpr118
	s_mov_b32 s10, exec_lo
	v_clz_i32_u32_e32 v10, v11
	s_delay_alu instid0(VALU_DEP_2) | instskip(NEXT) | instid1(VALU_DEP_2)
	v_cmp_eq_u32_e32 vcc_lo, 0, v25
	v_min_u32_e32 v24, 32, v10
	v_lshrrev_b32_e32 v10, 24, v12
	s_delay_alu instid0(VALU_DEP_2) | instskip(NEXT) | instid1(VALU_DEP_1)
	v_subrev_nc_u32_e32 v20, 29, v24
	v_lshlrev_b64_e32 v[20:21], v20, v[10:11]
	v_sub_nc_u32_e32 v21, 30, v24
	v_and_b32_e32 v24, 0x80000000, v12
	s_delay_alu instid0(VALU_DEP_2) | instskip(NEXT) | instid1(VALU_DEP_1)
	v_dual_cndmask_b32 v21, v25, v21, vcc_lo :: v_dual_bitop2_b32 v20, 3, v20 bitop3:0x40
	v_lshl_add_u32 v21, v21, 23, v24
	s_delay_alu instid0(VALU_DEP_2) | instskip(SKIP_1) | instid1(VALU_DEP_2)
	v_cndmask_b32_e32 v20, v11, v20, vcc_lo
	v_cmp_lt_i32_e32 vcc_lo, -1, v12
	v_lshl_or_b32 v20, v20, 21, v21
	v_cndmask_b32_e32 v24, 0xff800000, v109, vcc_lo
	v_and_b32_e32 v21, 0x7c000000, v12
	v_cmp_eq_u32_e32 vcc_lo, 0, v11
	s_delay_alu instid0(VALU_DEP_4) | instskip(NEXT) | instid1(VALU_DEP_4)
	v_add_nc_u32_e32 v20, 0x38000000, v20
	v_cndmask_b32_e32 v11, 0x7f800001, v24, vcc_lo
	s_delay_alu instid0(VALU_DEP_4) | instskip(NEXT) | instid1(VALU_DEP_2)
	v_cmp_eq_u32_e32 vcc_lo, 0x7c000000, v21
	v_dual_mov_b32 v21, v37 :: v_dual_cndmask_b32 v11, v20, v11, vcc_lo
	v_cmp_ne_u32_e32 vcc_lo, 0x80, v10
	s_delay_alu instid0(VALU_DEP_2) | instskip(SKIP_1) | instid1(VALU_DEP_2)
	v_cndmask_b32_e32 v10, 0x80000000, v11, vcc_lo
	v_cmp_lt_u32_e32 vcc_lo, 0xffffff, v12
	v_cndmask_b32_e32 v10, 0, v10, vcc_lo
	s_delay_alu instid0(VALU_DEP_1) | instskip(NEXT) | instid1(VALU_DEP_1)
	v_add_f32_e32 v10, v10, v2
	v_and_b32_e32 v20, 0x7f800000, v10
	v_and_b32_e32 v36, 0x7fffff, v10
	v_lshrrev_b32_e32 v2, 24, v10
	s_delay_alu instid0(VALU_DEP_3)
	v_cmpx_ne_u64_e32 0x7f800000, v[20:21]
	s_xor_b32 s29, exec_lo, s10
	s_cbranch_execz .LBB4_8090
; %bb.8077:                             ;   in Loop: Header=BB4_7212 Depth=2
	v_and_b32_e32 v20, 0x7fffffff, v10
	v_mov_b32_e32 v21, v37
	v_and_b32_e32 v2, 0x80, v2
                                        ; implicit-def: $vgpr118
	s_mov_b32 s10, exec_lo
	s_delay_alu instid0(VALU_DEP_2)
	v_cmpx_gt_u64_e32 0x47600001, v[20:21]
	s_xor_b32 s40, exec_lo, s10
	s_cbranch_execz .LBB4_8087
; %bb.8078:                             ;   in Loop: Header=BB4_7212 Depth=2
	v_mov_b32_e32 v118, 0
	s_mov_b32 s41, exec_lo
	v_cmpx_ne_u32_e32 0, v10
	s_cbranch_execz .LBB4_8086
; %bb.8079:                             ;   in Loop: Header=BB4_7212 Depth=2
	v_bfe_u32 v20, v10, 23, 8
	v_or_b32_e32 v24, 0x800000, v36
	s_delay_alu instid0(VALU_DEP_2) | instskip(SKIP_1) | instid1(VALU_DEP_2)
	v_dual_mov_b32 v25, v37 :: v_dual_sub_nc_u32 v10, 0x71, v20
	v_cmp_gt_u32_e32 vcc_lo, 0x72, v20
	v_cndmask_b32_e32 v10, 0, v10, vcc_lo
	v_cmp_eq_u32_e32 vcc_lo, 0, v20
	s_delay_alu instid0(VALU_DEP_2) | instskip(NEXT) | instid1(VALU_DEP_1)
	v_cndmask_b32_e64 v21, v10, 0x70, vcc_lo
	v_dual_cndmask_b32 v24, v24, v36, vcc_lo :: v_dual_add_nc_u32 v10, 21, v21
	v_add_nc_u32_e32 v31, 20, v21
	s_delay_alu instid0(VALU_DEP_2) | instskip(NEXT) | instid1(VALU_DEP_2)
	v_lshlrev_b64_e64 v[10:11], v10, -1
	v_lshlrev_b64_e64 v[82:83], v31, 1
	s_delay_alu instid0(VALU_DEP_2) | instskip(NEXT) | instid1(VALU_DEP_3)
	v_bfi_b32 v85, v11, 0, 0
	v_bfi_b32 v84, v10, 0, v24
	v_lshrrev_b64 v[10:11], v21, v[24:25]
	s_delay_alu instid0(VALU_DEP_2) | instskip(NEXT) | instid1(VALU_DEP_2)
	v_cmp_eq_u64_e64 s10, v[84:85], v[82:83]
	v_mov_b64_e32 v[82:83], v[10:11]
	s_and_saveexec_b32 s42, s10
; %bb.8080:                             ;   in Loop: Header=BB4_7212 Depth=2
	v_bfe_u32 v24, v10, 21, 1
	v_mov_b32_e32 v25, v37
	s_delay_alu instid0(VALU_DEP_1) | instskip(NEXT) | instid1(VALU_DEP_1)
	v_add_nc_u64_e32 v[24:25], v[10:11], v[24:25]
	v_add_nc_u64_e32 v[82:83], -1, v[24:25]
; %bb.8081:                             ;   in Loop: Header=BB4_7212 Depth=2
	s_or_b32 exec_lo, exec_lo, s42
	v_add_nc_u32_e32 v11, 0xffffff81, v20
	v_lshrrev_b32_e32 v20, 23, v10
	s_mov_b32 s10, exec_lo
	s_delay_alu instid0(VALU_DEP_2) | instskip(NEXT) | instid1(VALU_DEP_1)
	v_cndmask_b32_e64 v11, v11, 0xffffff82, vcc_lo
	v_add3_u32 v21, v21, v11, v20
	v_and_b32_e32 v11, 0x1fffff, v82
                                        ; implicit-def: $vgpr20
	s_delay_alu instid0(VALU_DEP_1) | instskip(NEXT) | instid1(VALU_DEP_1)
	v_dual_add_nc_u32 v82, 14, v21 :: v_dual_add_nc_u32 v36, v11, v10
                                        ; implicit-def: $vgpr10_vgpr11
	v_cmpx_ne_u32_e32 0, v82
	s_xor_b32 s10, exec_lo, s10
; %bb.8082:                             ;   in Loop: Header=BB4_7212 Depth=2
	s_delay_alu instid0(VALU_DEP_2) | instskip(SKIP_1) | instid1(VALU_DEP_1)
	v_cmp_lt_u64_e32 vcc_lo, 0xffffff, v[36:37]
	v_add_nc_u32_e32 v10, 15, v21
	v_cndmask_b32_e32 v20, v82, v10, vcc_lo
	v_cndmask_b32_e64 v10, 0, 1, vcc_lo
	s_delay_alu instid0(VALU_DEP_1)
	v_lshrrev_b64 v[10:11], v10, v[36:37]
; %bb.8083:                             ;   in Loop: Header=BB4_7212 Depth=2
	s_and_not1_saveexec_b32 s10, s10
; %bb.8084:                             ;   in Loop: Header=BB4_7212 Depth=2
	v_mov_b64_e32 v[10:11], v[36:37]
	v_bfe_u32 v20, v36, 23, 1
; %bb.8085:                             ;   in Loop: Header=BB4_7212 Depth=2
	s_or_b32 exec_lo, exec_lo, s10
	s_delay_alu instid0(VALU_DEP_2) | instskip(NEXT) | instid1(VALU_DEP_2)
	v_lshrrev_b64 v[10:11], 21, v[10:11]
	v_cmp_gt_i32_e32 vcc_lo, 32, v20
	v_min_i32_e32 v21, 31, v20
	v_cmp_eq_u32_e64 s10, 0, v20
	s_delay_alu instid0(VALU_DEP_2) | instskip(SKIP_1) | instid1(VALU_DEP_2)
	v_dual_cndmask_b32 v11, 0, v11, vcc_lo :: v_dual_lshlrev_b32 v21, 2, v21
	v_cndmask_b32_e32 v10, 3, v10, vcc_lo
	v_and_b32_e32 v21, 0xfc, v21
	s_delay_alu instid0(VALU_DEP_2) | instskip(NEXT) | instid1(VALU_DEP_2)
	v_cmp_eq_u64_e32 vcc_lo, 0, v[10:11]
	v_and_or_b32 v10, v10, 3, v21
	s_and_b32 s10, s10, vcc_lo
	s_delay_alu instid0(VALU_DEP_1) | instid1(SALU_CYCLE_1)
	v_cndmask_b32_e64 v10, v10, 0, s10
	s_delay_alu instid0(VALU_DEP_1)
	v_or_b32_e32 v118, v10, v2
.LBB4_8086:                             ;   in Loop: Header=BB4_7212 Depth=2
	s_or_b32 exec_lo, exec_lo, s41
                                        ; implicit-def: $vgpr2
.LBB4_8087:                             ;   in Loop: Header=BB4_7212 Depth=2
	s_and_not1_saveexec_b32 s10, s40
; %bb.8088:                             ;   in Loop: Header=BB4_7212 Depth=2
	v_or_b32_e32 v118, 0x7b, v2
; %bb.8089:                             ;   in Loop: Header=BB4_7212 Depth=2
	s_or_b32 exec_lo, exec_lo, s10
                                        ; implicit-def: $vgpr10
                                        ; implicit-def: $vgpr2
.LBB4_8090:                             ;   in Loop: Header=BB4_7212 Depth=2
	s_and_not1_saveexec_b32 s10, s29
	s_cbranch_execz .LBB4_8096
; %bb.8091:                             ;   in Loop: Header=BB4_7212 Depth=2
	s_mov_b32 s29, exec_lo
                                        ; implicit-def: $vgpr118
	v_cmpx_ne_u64_e32 0, v[36:37]
	s_xor_b32 s29, exec_lo, s29
; %bb.8092:                             ;   in Loop: Header=BB4_7212 Depth=2
	v_or_b32_e32 v118, 0x7f, v2
                                        ; implicit-def: $vgpr10
; %bb.8093:                             ;   in Loop: Header=BB4_7212 Depth=2
	s_and_not1_saveexec_b32 s29, s29
; %bb.8094:                             ;   in Loop: Header=BB4_7212 Depth=2
	v_cmp_lt_i32_e32 vcc_lo, -1, v10
	v_cndmask_b32_e32 v118, 0xfc, v110, vcc_lo
; %bb.8095:                             ;   in Loop: Header=BB4_7212 Depth=2
	s_or_b32 exec_lo, exec_lo, s29
.LBB4_8096:                             ;   in Loop: Header=BB4_7212 Depth=2
	s_delay_alu instid0(SALU_CYCLE_1) | instskip(SKIP_4) | instid1(VALU_DEP_2)
	s_or_b32 exec_lo, exec_lo, s10
	v_dual_lshlrev_b32 v10, 24, v115 :: v_dual_lshlrev_b32 v11, 16, v112
	v_lshl_or_b32 v2, v102, 8, v99
	v_mov_b32_e32 v82, 0
	s_mov_b32 s10, exec_lo
	v_or3_b32 v36, v11, v10, v2
	v_cmpx_ne_u32_e32 0, v99
	s_cbranch_execz .LBB4_8106
; %bb.8097:                             ;   in Loop: Header=BB4_7212 Depth=2
	v_bfrev_b32_e32 v82, 1
	s_mov_b32 s29, exec_lo
	v_cmpx_ne_u32_e32 0x80, v99
	s_cbranch_execz .LBB4_8105
; %bb.8098:                             ;   in Loop: Header=BB4_7212 Depth=2
	v_and_b32_e32 v11, 0x7c, v99
	v_and_b32_e32 v10, 3, v99
	s_mov_b32 s40, exec_lo
                                        ; implicit-def: $vgpr82
	s_delay_alu instid0(VALU_DEP_2)
	v_cmpx_ne_u32_e32 0x7c, v11
	s_xor_b32 s40, exec_lo, s40
	s_cbranch_execz .LBB4_8102
; %bb.8099:                             ;   in Loop: Header=BB4_7212 Depth=2
	v_bfe_u32 v11, v99, 2, 5
	s_mov_b32 s41, exec_lo
	s_delay_alu instid0(VALU_DEP_1)
	v_cmpx_eq_u32_e32 0, v11
; %bb.8100:                             ;   in Loop: Header=BB4_7212 Depth=2
	v_clz_i32_u32_e32 v10, v10
	s_delay_alu instid0(VALU_DEP_1) | instskip(NEXT) | instid1(VALU_DEP_1)
	v_min_u32_e32 v20, 32, v10
	v_subrev_nc_u32_e32 v10, 29, v20
	s_delay_alu instid0(VALU_DEP_1) | instskip(NEXT) | instid1(VALU_DEP_1)
	v_lshlrev_b64_e32 v[10:11], v10, v[36:37]
	v_dual_sub_nc_u32 v11, 30, v20 :: v_dual_bitop2_b32 v10, 3, v10 bitop3:0x40
; %bb.8101:                             ;   in Loop: Header=BB4_7212 Depth=2
	s_or_b32 exec_lo, exec_lo, s41
	v_lshlrev_b32_e32 v20, 24, v99
                                        ; implicit-def: $vgpr99
	s_delay_alu instid0(VALU_DEP_1) | instskip(NEXT) | instid1(VALU_DEP_1)
	v_and_b32_e32 v20, 0x80000000, v20
	v_lshl_add_u32 v11, v11, 23, v20
	s_delay_alu instid0(VALU_DEP_1) | instskip(NEXT) | instid1(VALU_DEP_1)
	v_lshl_or_b32 v10, v10, 21, v11
	v_add_nc_u32_e32 v82, 0x38000000, v10
                                        ; implicit-def: $vgpr10
.LBB4_8102:                             ;   in Loop: Header=BB4_7212 Depth=2
	s_and_not1_saveexec_b32 s40, s40
; %bb.8103:                             ;   in Loop: Header=BB4_7212 Depth=2
	v_and_b32_e32 v11, 0x80, v99
	s_delay_alu instid0(VALU_DEP_1) | instskip(SKIP_2) | instid1(VALU_DEP_2)
	v_cmp_eq_u32_e32 vcc_lo, 0, v11
	v_cndmask_b32_e32 v11, 0xff800000, v109, vcc_lo
	v_cmp_eq_u32_e32 vcc_lo, 0, v10
	v_cndmask_b32_e32 v82, 0x7f800001, v11, vcc_lo
; %bb.8104:                             ;   in Loop: Header=BB4_7212 Depth=2
	s_or_b32 exec_lo, exec_lo, s40
.LBB4_8105:                             ;   in Loop: Header=BB4_7212 Depth=2
	s_delay_alu instid0(SALU_CYCLE_1)
	s_or_b32 exec_lo, exec_lo, s29
.LBB4_8106:                             ;   in Loop: Header=BB4_7212 Depth=2
	s_delay_alu instid0(SALU_CYCLE_1) | instskip(SKIP_4) | instid1(VALU_DEP_2)
	s_or_b32 exec_lo, exec_lo, s10
	v_and_b32_e32 v11, 0xff, v13
	v_mov_b32_e32 v10, v13
	s_mov_b32 s29, 0
	s_mov_b32 s10, exec_lo
	v_cmpx_lt_i16_e32 0x7f, v11
	s_xor_b32 s10, exec_lo, s10
	s_cbranch_execnz .LBB4_8263
; %bb.8107:                             ;   in Loop: Header=BB4_7212 Depth=2
	s_or_saveexec_b32 s10, s10
	v_bfrev_b32_e32 v20, 1
	s_xor_b32 exec_lo, exec_lo, s10
	s_cbranch_execnz .LBB4_8266
.LBB4_8108:                             ;   in Loop: Header=BB4_7212 Depth=2
	s_or_b32 exec_lo, exec_lo, s10
	v_mov_b32_e32 v11, v37
	s_and_saveexec_b32 s10, s29
	s_cbranch_execz .LBB4_8110
.LBB4_8109:                             ;   in Loop: Header=BB4_7212 Depth=2
	v_and_b32_e32 v24, 3, v13
	s_delay_alu instid0(VALU_DEP_1) | instskip(NEXT) | instid1(VALU_DEP_1)
	v_clz_i32_u32_e32 v20, v24
	v_min_u32_e32 v25, 32, v20
	s_delay_alu instid0(VALU_DEP_1) | instskip(NEXT) | instid1(VALU_DEP_1)
	v_subrev_nc_u32_e32 v20, 29, v25
	v_lshlrev_b64_e32 v[20:21], v20, v[10:11]
	v_bfe_u32 v21, v13, 2, 5
	v_lshlrev_b32_e32 v11, 24, v13
	v_sub_nc_u32_e32 v25, 30, v25
	s_delay_alu instid0(VALU_DEP_3) | instskip(NEXT) | instid1(VALU_DEP_3)
	v_cmp_eq_u32_e32 vcc_lo, 0, v21
	v_and_b32_e32 v11, 0x80000000, v11
	s_delay_alu instid0(VALU_DEP_3) | instskip(SKIP_1) | instid1(VALU_DEP_2)
	v_dual_cndmask_b32 v21, v21, v25, vcc_lo :: v_dual_bitop2_b32 v20, 3, v20 bitop3:0x40
	v_bfe_i32 v25, v13, 0, 8
	v_cndmask_b32_e32 v20, v24, v20, vcc_lo
	s_delay_alu instid0(VALU_DEP_3) | instskip(NEXT) | instid1(VALU_DEP_3)
	v_lshl_add_u32 v11, v21, 23, v11
	v_cmp_lt_i16_e32 vcc_lo, -1, v25
	s_delay_alu instid0(VALU_DEP_2) | instskip(SKIP_3) | instid1(VALU_DEP_4)
	v_lshl_or_b32 v11, v20, 21, v11
	v_cndmask_b32_e32 v21, 0xff800000, v109, vcc_lo
	v_and_b32_e32 v20, 0x7c, v13
	v_cmp_eq_u32_e32 vcc_lo, 0, v24
	v_add_nc_u32_e32 v11, 0x38000000, v11
	s_delay_alu instid0(VALU_DEP_4) | instskip(NEXT) | instid1(VALU_DEP_4)
	v_cndmask_b32_e32 v21, 0x7f800001, v21, vcc_lo
	v_cmp_eq_u32_e32 vcc_lo, 0x7c, v20
	s_delay_alu instid0(VALU_DEP_2)
	v_cndmask_b32_e32 v20, v11, v21, vcc_lo
.LBB4_8110:                             ;   in Loop: Header=BB4_7212 Depth=2
	s_or_b32 exec_lo, exec_lo, s10
	s_delay_alu instid0(VALU_DEP_1) | instskip(SKIP_2) | instid1(VALU_DEP_2)
	v_dual_add_f32 v85, v82, v20 :: v_dual_mov_b32 v21, v37
	v_mov_b32_e32 v83, v37
                                        ; implicit-def: $vgpr84
	s_mov_b32 s10, exec_lo
	v_and_b32_e32 v20, 0x7f800000, v85
	v_and_b32_e32 v82, 0x7fffff, v85
	v_lshrrev_b32_e32 v11, 24, v85
	s_delay_alu instid0(VALU_DEP_3)
	v_cmpx_ne_u64_e32 0x7f800000, v[20:21]
	s_xor_b32 s29, exec_lo, s10
	s_cbranch_execz .LBB4_8124
; %bb.8111:                             ;   in Loop: Header=BB4_7212 Depth=2
	v_and_b32_e32 v20, 0x7fffffff, v85
	v_mov_b32_e32 v21, v37
	v_and_b32_e32 v11, 0x80, v11
                                        ; implicit-def: $vgpr84
	s_mov_b32 s10, exec_lo
	s_delay_alu instid0(VALU_DEP_2)
	v_cmpx_gt_u64_e32 0x47600001, v[20:21]
	s_xor_b32 s40, exec_lo, s10
	s_cbranch_execz .LBB4_8121
; %bb.8112:                             ;   in Loop: Header=BB4_7212 Depth=2
	v_mov_b32_e32 v84, 0
	s_mov_b32 s41, exec_lo
	v_cmpx_ne_u32_e32 0, v85
	s_cbranch_execz .LBB4_8120
; %bb.8113:                             ;   in Loop: Header=BB4_7212 Depth=2
	v_bfe_u32 v20, v85, 23, 8
	v_or_b32_e32 v31, 0x800000, v82
	s_delay_alu instid0(VALU_DEP_2) | instskip(SKIP_1) | instid1(VALU_DEP_2)
	v_sub_nc_u32_e32 v21, 0x71, v20
	v_cmp_gt_u32_e32 vcc_lo, 0x72, v20
	v_cndmask_b32_e32 v21, 0, v21, vcc_lo
	v_cmp_eq_u32_e32 vcc_lo, 0, v20
	s_delay_alu instid0(VALU_DEP_2) | instskip(NEXT) | instid1(VALU_DEP_1)
	v_cndmask_b32_e64 v21, v21, 0x70, vcc_lo
	v_dual_cndmask_b32 v82, v31, v82, vcc_lo :: v_dual_add_nc_u32 v24, 21, v21
	v_add_nc_u32_e32 v84, 20, v21
	s_delay_alu instid0(VALU_DEP_2) | instskip(NEXT) | instid1(VALU_DEP_2)
	v_lshlrev_b64_e64 v[24:25], v24, -1
	v_lshlrev_b64_e64 v[84:85], v84, 1
	s_delay_alu instid0(VALU_DEP_2) | instskip(SKIP_1) | instid1(VALU_DEP_4)
	v_bfi_b32 v24, v24, 0, v82
	v_lshrrev_b64 v[82:83], v21, v[82:83]
	v_bfi_b32 v25, v25, 0, 0
	s_delay_alu instid0(VALU_DEP_1) | instskip(NEXT) | instid1(VALU_DEP_3)
	v_cmp_eq_u64_e64 s10, v[24:25], v[84:85]
	v_mov_b64_e32 v[84:85], v[82:83]
	s_and_saveexec_b32 s42, s10
; %bb.8114:                             ;   in Loop: Header=BB4_7212 Depth=2
	v_bfe_u32 v24, v82, 21, 1
	v_mov_b32_e32 v25, v37
	s_delay_alu instid0(VALU_DEP_1) | instskip(NEXT) | instid1(VALU_DEP_1)
	v_add_nc_u64_e32 v[24:25], v[82:83], v[24:25]
	v_add_nc_u64_e32 v[84:85], -1, v[24:25]
; %bb.8115:                             ;   in Loop: Header=BB4_7212 Depth=2
	s_or_b32 exec_lo, exec_lo, s42
	v_dual_mov_b32 v83, v37 :: v_dual_add_nc_u32 v20, 0xffffff81, v20
	v_lshrrev_b32_e32 v24, 23, v82
	s_mov_b32 s10, exec_lo
	s_delay_alu instid0(VALU_DEP_2) | instskip(NEXT) | instid1(VALU_DEP_1)
	v_cndmask_b32_e64 v20, v20, 0xffffff82, vcc_lo
	v_add3_u32 v21, v21, v20, v24
	v_and_b32_e32 v20, 0x1fffff, v84
	s_delay_alu instid0(VALU_DEP_1) | instskip(NEXT) | instid1(VALU_DEP_1)
	v_dual_add_nc_u32 v84, 14, v21 :: v_dual_add_nc_u32 v82, v20, v82
                                        ; implicit-def: $vgpr20
	v_cmpx_ne_u32_e32 0, v84
	s_xor_b32 s10, exec_lo, s10
; %bb.8116:                             ;   in Loop: Header=BB4_7212 Depth=2
	s_delay_alu instid0(VALU_DEP_2) | instskip(SKIP_2) | instid1(VALU_DEP_2)
	v_cmp_lt_u64_e32 vcc_lo, 0xffffff, v[82:83]
	v_add_nc_u32_e32 v20, 15, v21
	v_cndmask_b32_e64 v21, 0, 1, vcc_lo
	v_cndmask_b32_e32 v20, v84, v20, vcc_lo
	s_delay_alu instid0(VALU_DEP_2)
	v_lshrrev_b64 v[82:83], v21, v[82:83]
; %bb.8117:                             ;   in Loop: Header=BB4_7212 Depth=2
	s_and_not1_saveexec_b32 s10, s10
; %bb.8118:                             ;   in Loop: Header=BB4_7212 Depth=2
	s_delay_alu instid0(VALU_DEP_1)
	v_bfe_u32 v20, v82, 23, 1
; %bb.8119:                             ;   in Loop: Header=BB4_7212 Depth=2
	s_or_b32 exec_lo, exec_lo, s10
	s_delay_alu instid0(VALU_DEP_2) | instskip(NEXT) | instid1(VALU_DEP_2)
	v_lshrrev_b64 v[24:25], 21, v[82:83]
	v_cmp_gt_i32_e32 vcc_lo, 32, v20
	v_min_i32_e32 v21, 31, v20
	v_cmp_eq_u32_e64 s10, 0, v20
	s_delay_alu instid0(VALU_DEP_4) | instskip(NEXT) | instid1(VALU_DEP_3)
	v_cndmask_b32_e32 v25, 0, v25, vcc_lo
	v_dual_cndmask_b32 v24, 3, v24 :: v_dual_lshlrev_b32 v21, 2, v21
	s_delay_alu instid0(VALU_DEP_1) | instskip(NEXT) | instid1(VALU_DEP_2)
	v_and_b32_e32 v21, 0xfc, v21
	v_cmp_eq_u64_e32 vcc_lo, 0, v[24:25]
	s_delay_alu instid0(VALU_DEP_2)
	v_and_or_b32 v20, v24, 3, v21
	s_and_b32 s10, s10, vcc_lo
	s_delay_alu instid0(VALU_DEP_1) | instid1(SALU_CYCLE_1)
	v_cndmask_b32_e64 v20, v20, 0, s10
	s_delay_alu instid0(VALU_DEP_1)
	v_or_b32_e32 v84, v20, v11
.LBB4_8120:                             ;   in Loop: Header=BB4_7212 Depth=2
	s_or_b32 exec_lo, exec_lo, s41
                                        ; implicit-def: $vgpr11
.LBB4_8121:                             ;   in Loop: Header=BB4_7212 Depth=2
	s_and_not1_saveexec_b32 s10, s40
; %bb.8122:                             ;   in Loop: Header=BB4_7212 Depth=2
	v_or_b32_e32 v84, 0x7b, v11
; %bb.8123:                             ;   in Loop: Header=BB4_7212 Depth=2
	s_or_b32 exec_lo, exec_lo, s10
                                        ; implicit-def: $vgpr85
                                        ; implicit-def: $vgpr82_vgpr83
                                        ; implicit-def: $vgpr11
.LBB4_8124:                             ;   in Loop: Header=BB4_7212 Depth=2
	s_and_not1_saveexec_b32 s10, s29
	s_cbranch_execz .LBB4_8130
; %bb.8125:                             ;   in Loop: Header=BB4_7212 Depth=2
	s_mov_b32 s29, exec_lo
                                        ; implicit-def: $vgpr84
	v_cmpx_ne_u64_e32 0, v[82:83]
	s_xor_b32 s29, exec_lo, s29
; %bb.8126:                             ;   in Loop: Header=BB4_7212 Depth=2
	v_or_b32_e32 v84, 0x7f, v11
                                        ; implicit-def: $vgpr85
; %bb.8127:                             ;   in Loop: Header=BB4_7212 Depth=2
	s_and_not1_saveexec_b32 s29, s29
; %bb.8128:                             ;   in Loop: Header=BB4_7212 Depth=2
	v_cmp_lt_i32_e32 vcc_lo, -1, v85
	v_cndmask_b32_e32 v84, 0xfc, v110, vcc_lo
; %bb.8129:                             ;   in Loop: Header=BB4_7212 Depth=2
	s_or_b32 exec_lo, exec_lo, s29
.LBB4_8130:                             ;   in Loop: Header=BB4_7212 Depth=2
	s_delay_alu instid0(SALU_CYCLE_1) | instskip(SKIP_3) | instid1(VALU_DEP_2)
	s_or_b32 exec_lo, exec_lo, s10
	v_lshrrev_b16 v82, 8, v2
	v_mov_b32_e32 v11, 0
	s_mov_b32 s10, exec_lo
	v_cmpx_ne_u16_e32 0, v82
	s_cbranch_execz .LBB4_8140
; %bb.8131:                             ;   in Loop: Header=BB4_7212 Depth=2
	v_bfrev_b32_e32 v11, 1
	s_mov_b32 s29, exec_lo
	v_cmpx_ne_u16_e32 0x80, v82
	s_cbranch_execz .LBB4_8139
; %bb.8132:                             ;   in Loop: Header=BB4_7212 Depth=2
	v_and_b32_e32 v21, 0xffff, v82
	s_delay_alu instid0(VALU_DEP_1) | instskip(SKIP_1) | instid1(VALU_DEP_2)
	v_and_b32_e32 v11, 0x7c, v21
	v_and_b32_e32 v20, 3, v21
	v_cmp_ne_u32_e32 vcc_lo, 0x7c, v11
                                        ; implicit-def: $vgpr11
	s_and_saveexec_b32 s40, vcc_lo
	s_delay_alu instid0(SALU_CYCLE_1)
	s_xor_b32 s40, exec_lo, s40
	s_cbranch_execz .LBB4_8136
; %bb.8133:                             ;   in Loop: Header=BB4_7212 Depth=2
	v_bfe_u32 v11, v21, 2, 5
	s_mov_b32 s41, exec_lo
	s_delay_alu instid0(VALU_DEP_1)
	v_cmpx_eq_u32_e32 0, v11
	s_cbranch_execz .LBB4_8135
; %bb.8134:                             ;   in Loop: Header=BB4_7212 Depth=2
	v_clz_i32_u32_e32 v11, v20
	s_delay_alu instid0(VALU_DEP_1) | instskip(SKIP_1) | instid1(VALU_DEP_2)
	v_min_u32_e32 v11, 32, v11
	v_mov_b32_e32 v83, v37
	v_subrev_nc_u32_e32 v20, 29, v11
	v_sub_nc_u32_e32 v11, 30, v11
	s_delay_alu instid0(VALU_DEP_2) | instskip(NEXT) | instid1(VALU_DEP_1)
	v_lshlrev_b64_e32 v[20:21], v20, v[82:83]
	v_and_b32_e32 v20, 3, v20
.LBB4_8135:                             ;   in Loop: Header=BB4_7212 Depth=2
	s_or_b32 exec_lo, exec_lo, s41
	v_lshlrev_b32_e32 v2, 16, v2
	s_delay_alu instid0(VALU_DEP_1) | instskip(NEXT) | instid1(VALU_DEP_1)
	v_and_b32_e32 v2, 0x80000000, v2
	v_lshl_add_u32 v2, v11, 23, v2
	s_delay_alu instid0(VALU_DEP_1) | instskip(NEXT) | instid1(VALU_DEP_1)
	v_lshl_or_b32 v2, v20, 21, v2
                                        ; implicit-def: $vgpr20
	v_add_nc_u32_e32 v11, 0x38000000, v2
                                        ; implicit-def: $vgpr2
.LBB4_8136:                             ;   in Loop: Header=BB4_7212 Depth=2
	s_and_not1_saveexec_b32 s40, s40
; %bb.8137:                             ;   in Loop: Header=BB4_7212 Depth=2
	v_cmp_lt_i16_e32 vcc_lo, -1, v2
	v_cndmask_b32_e32 v2, 0xff800000, v109, vcc_lo
	v_cmp_eq_u32_e32 vcc_lo, 0, v20
	s_delay_alu instid0(VALU_DEP_2)
	v_cndmask_b32_e32 v11, 0x7f800001, v2, vcc_lo
; %bb.8138:                             ;   in Loop: Header=BB4_7212 Depth=2
	s_or_b32 exec_lo, exec_lo, s40
.LBB4_8139:                             ;   in Loop: Header=BB4_7212 Depth=2
	s_delay_alu instid0(SALU_CYCLE_1)
	s_or_b32 exec_lo, exec_lo, s29
.LBB4_8140:                             ;   in Loop: Header=BB4_7212 Depth=2
	s_delay_alu instid0(SALU_CYCLE_1) | instskip(SKIP_3) | instid1(VALU_DEP_1)
	s_or_b32 exec_lo, exec_lo, s10
	v_lshrrev_b16 v82, 8, v10
	s_mov_b32 s29, 0
	s_mov_b32 s10, exec_lo
	v_cmpx_lt_i16_e32 0x7f, v82
	s_xor_b32 s10, exec_lo, s10
	s_cbranch_execnz .LBB4_8267
; %bb.8141:                             ;   in Loop: Header=BB4_7212 Depth=2
	s_or_saveexec_b32 s10, s10
	v_bfrev_b32_e32 v2, 1
	s_xor_b32 exec_lo, exec_lo, s10
	s_cbranch_execnz .LBB4_8270
.LBB4_8142:                             ;   in Loop: Header=BB4_7212 Depth=2
	s_or_b32 exec_lo, exec_lo, s10
	s_and_saveexec_b32 s10, s29
	s_cbranch_execz .LBB4_8144
.LBB4_8143:                             ;   in Loop: Header=BB4_7212 Depth=2
	v_and_b32_e32 v2, 0xffff, v82
	s_delay_alu instid0(VALU_DEP_1) | instskip(SKIP_2) | instid1(VALU_DEP_3)
	v_dual_mov_b32 v83, v37 :: v_dual_bitop2_b32 v24, 3, v2 bitop3:0x40
	v_bfe_u32 v31, v2, 2, 5
	v_and_b32_e32 v2, 0x7c, v2
	v_clz_i32_u32_e32 v20, v24
	s_delay_alu instid0(VALU_DEP_3) | instskip(NEXT) | instid1(VALU_DEP_2)
	v_cmp_eq_u32_e32 vcc_lo, 0, v31
	v_min_u32_e32 v25, 32, v20
	s_delay_alu instid0(VALU_DEP_1) | instskip(SKIP_1) | instid1(VALU_DEP_2)
	v_subrev_nc_u32_e32 v20, 29, v25
	v_sub_nc_u32_e32 v25, 30, v25
	v_lshlrev_b64_e32 v[20:21], v20, v[82:83]
	s_delay_alu instid0(VALU_DEP_2) | instskip(NEXT) | instid1(VALU_DEP_1)
	v_dual_lshlrev_b32 v21, 24, v82 :: v_dual_cndmask_b32 v25, v31, v25, vcc_lo
	v_and_b32_e32 v21, 0x80000000, v21
	s_delay_alu instid0(VALU_DEP_3) | instskip(NEXT) | instid1(VALU_DEP_2)
	v_and_b32_e32 v20, 3, v20
	v_lshl_add_u32 v21, v25, 23, v21
	s_delay_alu instid0(VALU_DEP_2) | instskip(SKIP_1) | instid1(VALU_DEP_2)
	v_cndmask_b32_e32 v20, v24, v20, vcc_lo
	v_cmp_lt_i16_e32 vcc_lo, -1, v10
	v_lshl_or_b32 v20, v20, 21, v21
	v_cndmask_b32_e32 v10, 0xff800000, v109, vcc_lo
	v_cmp_eq_u32_e32 vcc_lo, 0, v24
	s_delay_alu instid0(VALU_DEP_3) | instskip(NEXT) | instid1(VALU_DEP_3)
	v_add_nc_u32_e32 v20, 0x38000000, v20
	v_cndmask_b32_e32 v10, 0x7f800001, v10, vcc_lo
	v_cmp_eq_u32_e32 vcc_lo, 0x7c, v2
	s_delay_alu instid0(VALU_DEP_2)
	v_cndmask_b32_e32 v2, v20, v10, vcc_lo
.LBB4_8144:                             ;   in Loop: Header=BB4_7212 Depth=2
	s_or_b32 exec_lo, exec_lo, s10
	s_delay_alu instid0(VALU_DEP_1) | instskip(SKIP_1) | instid1(VALU_DEP_2)
	v_dual_add_f32 v82, v11, v2 :: v_dual_mov_b32 v21, v37
	v_mov_b32_e32 v11, v37
                                        ; implicit-def: $vgpr2
	v_and_b32_e32 v20, 0x7f800000, v82
	v_and_b32_e32 v10, 0x7fffff, v82
	s_delay_alu instid0(VALU_DEP_2) | instskip(SKIP_2) | instid1(SALU_CYCLE_1)
	v_cmp_ne_u64_e32 vcc_lo, 0x7f800000, v[20:21]
	v_lshrrev_b32_e32 v20, 24, v82
	s_and_saveexec_b32 s10, vcc_lo
	s_xor_b32 s29, exec_lo, s10
	s_cbranch_execz .LBB4_8158
; %bb.8145:                             ;   in Loop: Header=BB4_7212 Depth=2
	v_and_b32_e32 v24, 0x7fffffff, v82
	v_mov_b32_e32 v25, v37
	v_and_b32_e32 v85, 0x80, v20
                                        ; implicit-def: $vgpr2
	s_mov_b32 s10, exec_lo
	s_delay_alu instid0(VALU_DEP_2)
	v_cmpx_gt_u64_e32 0x47600001, v[24:25]
	s_xor_b32 s40, exec_lo, s10
	s_cbranch_execz .LBB4_8155
; %bb.8146:                             ;   in Loop: Header=BB4_7212 Depth=2
	v_mov_b32_e32 v2, 0
	s_mov_b32 s41, exec_lo
	v_cmpx_ne_u32_e32 0, v82
	s_cbranch_execz .LBB4_8154
; %bb.8147:                             ;   in Loop: Header=BB4_7212 Depth=2
	v_bfe_u32 v2, v82, 23, 8
	v_or_b32_e32 v31, 0x800000, v10
	s_delay_alu instid0(VALU_DEP_2) | instskip(SKIP_1) | instid1(VALU_DEP_2)
	v_sub_nc_u32_e32 v20, 0x71, v2
	v_cmp_gt_u32_e32 vcc_lo, 0x72, v2
	v_cndmask_b32_e32 v20, 0, v20, vcc_lo
	v_cmp_eq_u32_e32 vcc_lo, 0, v2
	v_cndmask_b32_e32 v10, v31, v10, vcc_lo
	s_delay_alu instid0(VALU_DEP_3) | instskip(NEXT) | instid1(VALU_DEP_1)
	v_cndmask_b32_e64 v20, v20, 0x70, vcc_lo
	v_add_nc_u32_e32 v21, 21, v20
	s_delay_alu instid0(VALU_DEP_1) | instskip(SKIP_1) | instid1(VALU_DEP_1)
	v_lshlrev_b64_e64 v[24:25], v21, -1
	v_add_nc_u32_e32 v21, 20, v20
	v_lshlrev_b64_e64 v[82:83], v21, 1
	s_delay_alu instid0(VALU_DEP_3) | instskip(SKIP_2) | instid1(VALU_DEP_1)
	v_bfi_b32 v24, v24, 0, v10
	v_lshrrev_b64 v[10:11], v20, v[10:11]
	v_bfi_b32 v25, v25, 0, 0
	v_cmp_eq_u64_e64 s10, v[24:25], v[82:83]
	s_delay_alu instid0(VALU_DEP_3)
	v_mov_b64_e32 v[82:83], v[10:11]
	s_and_saveexec_b32 s42, s10
; %bb.8148:                             ;   in Loop: Header=BB4_7212 Depth=2
	v_bfe_u32 v24, v10, 21, 1
	v_mov_b32_e32 v25, v37
	s_delay_alu instid0(VALU_DEP_1) | instskip(NEXT) | instid1(VALU_DEP_1)
	v_add_nc_u64_e32 v[24:25], v[10:11], v[24:25]
	v_add_nc_u64_e32 v[82:83], -1, v[24:25]
; %bb.8149:                             ;   in Loop: Header=BB4_7212 Depth=2
	s_or_b32 exec_lo, exec_lo, s42
	v_add_nc_u32_e32 v2, 0xffffff81, v2
	v_lshrrev_b32_e32 v11, 23, v10
	s_mov_b32 s10, exec_lo
	s_delay_alu instid0(VALU_DEP_2) | instskip(NEXT) | instid1(VALU_DEP_1)
	v_cndmask_b32_e64 v2, v2, 0xffffff82, vcc_lo
	v_add3_u32 v20, v20, v2, v11
	v_and_b32_e32 v2, 0x1fffff, v82
	s_delay_alu instid0(VALU_DEP_2) | instskip(NEXT) | instid1(VALU_DEP_2)
	v_dual_mov_b32 v11, v37 :: v_dual_add_nc_u32 v21, 14, v20
	v_add_nc_u32_e32 v10, v2, v10
                                        ; implicit-def: $vgpr2
	s_delay_alu instid0(VALU_DEP_2)
	v_cmpx_ne_u32_e32 0, v21
	s_xor_b32 s10, exec_lo, s10
; %bb.8150:                             ;   in Loop: Header=BB4_7212 Depth=2
	s_delay_alu instid0(VALU_DEP_2) | instskip(SKIP_2) | instid1(VALU_DEP_2)
	v_cmp_lt_u64_e32 vcc_lo, 0xffffff, v[10:11]
	v_add_nc_u32_e32 v2, 15, v20
	v_cndmask_b32_e64 v20, 0, 1, vcc_lo
	v_cndmask_b32_e32 v2, v21, v2, vcc_lo
	s_delay_alu instid0(VALU_DEP_2)
	v_lshrrev_b64 v[10:11], v20, v[10:11]
; %bb.8151:                             ;   in Loop: Header=BB4_7212 Depth=2
	s_and_not1_saveexec_b32 s10, s10
; %bb.8152:                             ;   in Loop: Header=BB4_7212 Depth=2
	s_delay_alu instid0(VALU_DEP_1)
	v_bfe_u32 v2, v10, 23, 1
; %bb.8153:                             ;   in Loop: Header=BB4_7212 Depth=2
	s_or_b32 exec_lo, exec_lo, s10
	s_delay_alu instid0(VALU_DEP_2) | instskip(NEXT) | instid1(VALU_DEP_2)
	v_lshrrev_b64 v[10:11], 21, v[10:11]
	v_cmp_gt_i32_e32 vcc_lo, 32, v2
	v_min_i32_e32 v20, 31, v2
	v_cmp_eq_u32_e64 s10, 0, v2
	s_delay_alu instid0(VALU_DEP_2) | instskip(SKIP_1) | instid1(VALU_DEP_2)
	v_dual_cndmask_b32 v11, 0, v11 :: v_dual_lshlrev_b32 v20, 2, v20
	v_cndmask_b32_e32 v10, 3, v10, vcc_lo
	v_and_b32_e32 v20, 0xfc, v20
	s_delay_alu instid0(VALU_DEP_2) | instskip(NEXT) | instid1(VALU_DEP_2)
	v_cmp_eq_u64_e32 vcc_lo, 0, v[10:11]
	v_and_or_b32 v2, v10, 3, v20
	s_and_b32 s10, s10, vcc_lo
	s_delay_alu instid0(VALU_DEP_1) | instid1(SALU_CYCLE_1)
	v_cndmask_b32_e64 v2, v2, 0, s10
	s_delay_alu instid0(VALU_DEP_1)
	v_or_b32_e32 v2, v2, v85
.LBB4_8154:                             ;   in Loop: Header=BB4_7212 Depth=2
	s_or_b32 exec_lo, exec_lo, s41
                                        ; implicit-def: $vgpr85
.LBB4_8155:                             ;   in Loop: Header=BB4_7212 Depth=2
	s_and_not1_saveexec_b32 s10, s40
; %bb.8156:                             ;   in Loop: Header=BB4_7212 Depth=2
	v_or_b32_e32 v2, 0x7b, v85
; %bb.8157:                             ;   in Loop: Header=BB4_7212 Depth=2
	s_or_b32 exec_lo, exec_lo, s10
                                        ; implicit-def: $vgpr82
                                        ; implicit-def: $vgpr10_vgpr11
                                        ; implicit-def: $vgpr20
.LBB4_8158:                             ;   in Loop: Header=BB4_7212 Depth=2
	s_and_not1_saveexec_b32 s10, s29
	s_cbranch_execz .LBB4_8164
; %bb.8159:                             ;   in Loop: Header=BB4_7212 Depth=2
	s_mov_b32 s29, exec_lo
                                        ; implicit-def: $vgpr2
	v_cmpx_ne_u64_e32 0, v[10:11]
	s_xor_b32 s29, exec_lo, s29
; %bb.8160:                             ;   in Loop: Header=BB4_7212 Depth=2
	v_or_b32_e32 v2, 0x7f, v20
                                        ; implicit-def: $vgpr82
; %bb.8161:                             ;   in Loop: Header=BB4_7212 Depth=2
	s_and_not1_saveexec_b32 s29, s29
; %bb.8162:                             ;   in Loop: Header=BB4_7212 Depth=2
	v_cmp_lt_i32_e32 vcc_lo, -1, v82
	v_cndmask_b32_e32 v2, 0xfc, v110, vcc_lo
; %bb.8163:                             ;   in Loop: Header=BB4_7212 Depth=2
	s_or_b32 exec_lo, exec_lo, s29
.LBB4_8164:                             ;   in Loop: Header=BB4_7212 Depth=2
	s_delay_alu instid0(SALU_CYCLE_1) | instskip(SKIP_2) | instid1(VALU_DEP_1)
	s_or_b32 exec_lo, exec_lo, s10
	v_dual_mov_b32 v11, 0 :: v_dual_lshrrev_b32 v10, 16, v36
	s_mov_b32 s10, exec_lo
	v_and_b32_e32 v20, 0xff, v10
	s_delay_alu instid0(VALU_DEP_1)
	v_cmpx_ne_u16_e32 0, v20
	s_cbranch_execz .LBB4_8174
; %bb.8165:                             ;   in Loop: Header=BB4_7212 Depth=2
	v_bfrev_b32_e32 v11, 1
	s_mov_b32 s29, exec_lo
	v_cmpx_ne_u16_e32 0x80, v20
	s_cbranch_execz .LBB4_8173
; %bb.8166:                             ;   in Loop: Header=BB4_7212 Depth=2
	v_and_b32_e32 v11, 0x7c0000, v36
	v_bfe_u32 v20, v36, 16, 2
	s_delay_alu instid0(VALU_DEP_2) | instskip(SKIP_1) | instid1(SALU_CYCLE_1)
	v_cmp_ne_u32_e32 vcc_lo, 0x7c0000, v11
                                        ; implicit-def: $vgpr11
	s_and_saveexec_b32 s40, vcc_lo
	s_xor_b32 s40, exec_lo, s40
	s_cbranch_execz .LBB4_8170
; %bb.8167:                             ;   in Loop: Header=BB4_7212 Depth=2
	v_bfe_u32 v11, v36, 18, 5
	s_mov_b32 s41, exec_lo
	s_delay_alu instid0(VALU_DEP_1)
	v_cmpx_eq_u32_e32 0, v11
; %bb.8168:                             ;   in Loop: Header=BB4_7212 Depth=2
	v_clz_i32_u32_e32 v11, v20
	s_delay_alu instid0(VALU_DEP_1) | instskip(NEXT) | instid1(VALU_DEP_1)
	v_min_u32_e32 v11, 32, v11
	v_subrev_nc_u32_e32 v20, 29, v11
	s_delay_alu instid0(VALU_DEP_1) | instskip(NEXT) | instid1(VALU_DEP_1)
	v_lshlrev_b64_e32 v[20:21], v20, v[10:11]
	v_dual_sub_nc_u32 v11, 30, v11 :: v_dual_bitop2_b32 v20, 3, v20 bitop3:0x40
; %bb.8169:                             ;   in Loop: Header=BB4_7212 Depth=2
	s_or_b32 exec_lo, exec_lo, s41
	v_lshlrev_b32_e32 v10, 24, v10
	s_delay_alu instid0(VALU_DEP_1) | instskip(NEXT) | instid1(VALU_DEP_1)
	v_and_b32_e32 v10, 0x80000000, v10
	v_lshl_add_u32 v10, v11, 23, v10
	s_delay_alu instid0(VALU_DEP_1) | instskip(NEXT) | instid1(VALU_DEP_1)
	v_lshl_or_b32 v10, v20, 21, v10
                                        ; implicit-def: $vgpr20
	v_add_nc_u32_e32 v11, 0x38000000, v10
                                        ; implicit-def: $vgpr10
.LBB4_8170:                             ;   in Loop: Header=BB4_7212 Depth=2
	s_and_not1_saveexec_b32 s40, s40
; %bb.8171:                             ;   in Loop: Header=BB4_7212 Depth=2
	v_bfe_i32 v10, v10, 0, 8
	s_delay_alu instid0(VALU_DEP_1) | instskip(SKIP_2) | instid1(VALU_DEP_2)
	v_cmp_lt_i16_e32 vcc_lo, -1, v10
	v_cndmask_b32_e32 v10, 0xff800000, v109, vcc_lo
	v_cmp_eq_u32_e32 vcc_lo, 0, v20
	v_cndmask_b32_e32 v11, 0x7f800001, v10, vcc_lo
; %bb.8172:                             ;   in Loop: Header=BB4_7212 Depth=2
	s_or_b32 exec_lo, exec_lo, s40
.LBB4_8173:                             ;   in Loop: Header=BB4_7212 Depth=2
	s_delay_alu instid0(SALU_CYCLE_1)
	s_or_b32 exec_lo, exec_lo, s29
.LBB4_8174:                             ;   in Loop: Header=BB4_7212 Depth=2
	s_delay_alu instid0(SALU_CYCLE_1) | instskip(SKIP_3) | instid1(VALU_DEP_1)
	s_or_b32 exec_lo, exec_lo, s10
	v_lshrrev_b32_e32 v10, 16, v13
	s_mov_b32 s29, 0
	s_mov_b32 s10, exec_lo
	v_and_b32_e32 v21, 0xff, v10
	s_delay_alu instid0(VALU_DEP_1)
	v_cmpx_lt_i16_e32 0x7f, v21
	s_xor_b32 s10, exec_lo, s10
	s_cbranch_execnz .LBB4_8271
; %bb.8175:                             ;   in Loop: Header=BB4_7212 Depth=2
	s_or_saveexec_b32 s10, s10
	v_bfrev_b32_e32 v20, 1
	s_xor_b32 exec_lo, exec_lo, s10
	s_cbranch_execnz .LBB4_8274
.LBB4_8176:                             ;   in Loop: Header=BB4_7212 Depth=2
	s_or_b32 exec_lo, exec_lo, s10
	s_and_saveexec_b32 s10, s29
	s_cbranch_execz .LBB4_8178
.LBB4_8177:                             ;   in Loop: Header=BB4_7212 Depth=2
	v_and_b32_e32 v24, 3, v10
	v_bfe_u32 v31, v13, 18, 5
	s_delay_alu instid0(VALU_DEP_2) | instskip(NEXT) | instid1(VALU_DEP_2)
	v_clz_i32_u32_e32 v20, v24
	v_cmp_eq_u32_e32 vcc_lo, 0, v31
	s_delay_alu instid0(VALU_DEP_2) | instskip(NEXT) | instid1(VALU_DEP_1)
	v_min_u32_e32 v25, 32, v20
	v_subrev_nc_u32_e32 v20, 29, v25
	s_delay_alu instid0(VALU_DEP_1) | instskip(SKIP_2) | instid1(VALU_DEP_2)
	v_lshlrev_b64_e32 v[20:21], v20, v[10:11]
	v_dual_lshlrev_b32 v21, 24, v10 :: v_dual_sub_nc_u32 v25, 30, v25
	v_bfe_i32 v10, v10, 0, 8
	v_and_b32_e32 v21, 0x80000000, v21
	s_delay_alu instid0(VALU_DEP_3) | instskip(NEXT) | instid1(VALU_DEP_1)
	v_dual_cndmask_b32 v25, v31, v25, vcc_lo :: v_dual_bitop2_b32 v20, 3, v20 bitop3:0x40
	v_cndmask_b32_e32 v20, v24, v20, vcc_lo
	s_delay_alu instid0(VALU_DEP_2) | instskip(SKIP_1) | instid1(VALU_DEP_2)
	v_lshl_add_u32 v21, v25, 23, v21
	v_cmp_lt_i16_e32 vcc_lo, -1, v10
	v_lshl_or_b32 v20, v20, 21, v21
	v_cndmask_b32_e32 v10, 0xff800000, v109, vcc_lo
	v_and_b32_e32 v21, 0x7c0000, v13
	v_cmp_eq_u32_e32 vcc_lo, 0, v24
	s_delay_alu instid0(VALU_DEP_4) | instskip(NEXT) | instid1(VALU_DEP_4)
	v_add_nc_u32_e32 v20, 0x38000000, v20
	v_cndmask_b32_e32 v10, 0x7f800001, v10, vcc_lo
	s_delay_alu instid0(VALU_DEP_4) | instskip(NEXT) | instid1(VALU_DEP_2)
	v_cmp_eq_u32_e32 vcc_lo, 0x7c0000, v21
	v_cndmask_b32_e32 v20, v20, v10, vcc_lo
.LBB4_8178:                             ;   in Loop: Header=BB4_7212 Depth=2
	s_or_b32 exec_lo, exec_lo, s10
	s_delay_alu instid0(VALU_DEP_1) | instskip(SKIP_1) | instid1(VALU_DEP_2)
	v_dual_add_f32 v83, v11, v20 :: v_dual_mov_b32 v21, v37
	v_mov_b32_e32 v11, v37
                                        ; implicit-def: $vgpr82
	v_and_b32_e32 v20, 0x7f800000, v83
	v_and_b32_e32 v10, 0x7fffff, v83
	s_delay_alu instid0(VALU_DEP_2) | instskip(SKIP_2) | instid1(SALU_CYCLE_1)
	v_cmp_ne_u64_e32 vcc_lo, 0x7f800000, v[20:21]
	v_lshrrev_b32_e32 v20, 24, v83
	s_and_saveexec_b32 s10, vcc_lo
	s_xor_b32 s29, exec_lo, s10
	s_cbranch_execz .LBB4_8192
; %bb.8179:                             ;   in Loop: Header=BB4_7212 Depth=2
	v_and_b32_e32 v24, 0x7fffffff, v83
	v_mov_b32_e32 v25, v37
	v_and_b32_e32 v85, 0x80, v20
                                        ; implicit-def: $vgpr82
	s_mov_b32 s10, exec_lo
	s_delay_alu instid0(VALU_DEP_2)
	v_cmpx_gt_u64_e32 0x47600001, v[24:25]
	s_xor_b32 s40, exec_lo, s10
	s_cbranch_execz .LBB4_8189
; %bb.8180:                             ;   in Loop: Header=BB4_7212 Depth=2
	v_mov_b32_e32 v82, 0
	s_mov_b32 s41, exec_lo
	v_cmpx_ne_u32_e32 0, v83
	s_cbranch_execz .LBB4_8188
; %bb.8181:                             ;   in Loop: Header=BB4_7212 Depth=2
	v_bfe_u32 v20, v83, 23, 8
	v_or_b32_e32 v31, 0x800000, v10
	s_delay_alu instid0(VALU_DEP_2) | instskip(SKIP_1) | instid1(VALU_DEP_2)
	v_sub_nc_u32_e32 v21, 0x71, v20
	v_cmp_gt_u32_e32 vcc_lo, 0x72, v20
	v_cndmask_b32_e32 v21, 0, v21, vcc_lo
	v_cmp_eq_u32_e32 vcc_lo, 0, v20
	s_delay_alu instid0(VALU_DEP_2) | instskip(NEXT) | instid1(VALU_DEP_1)
	v_cndmask_b32_e64 v21, v21, 0x70, vcc_lo
	v_dual_cndmask_b32 v10, v31, v10, vcc_lo :: v_dual_add_nc_u32 v24, 21, v21
	v_add_nc_u32_e32 v82, 20, v21
	s_delay_alu instid0(VALU_DEP_2) | instskip(NEXT) | instid1(VALU_DEP_2)
	v_lshlrev_b64_e64 v[24:25], v24, -1
	v_lshlrev_b64_e64 v[82:83], v82, 1
	s_delay_alu instid0(VALU_DEP_2) | instskip(SKIP_1) | instid1(VALU_DEP_4)
	v_bfi_b32 v24, v24, 0, v10
	v_lshrrev_b64 v[10:11], v21, v[10:11]
	v_bfi_b32 v25, v25, 0, 0
	s_delay_alu instid0(VALU_DEP_1) | instskip(NEXT) | instid1(VALU_DEP_3)
	v_cmp_eq_u64_e64 s10, v[24:25], v[82:83]
	v_mov_b64_e32 v[82:83], v[10:11]
	s_and_saveexec_b32 s42, s10
; %bb.8182:                             ;   in Loop: Header=BB4_7212 Depth=2
	v_bfe_u32 v24, v10, 21, 1
	v_mov_b32_e32 v25, v37
	s_delay_alu instid0(VALU_DEP_1) | instskip(NEXT) | instid1(VALU_DEP_1)
	v_add_nc_u64_e32 v[24:25], v[10:11], v[24:25]
	v_add_nc_u64_e32 v[82:83], -1, v[24:25]
; %bb.8183:                             ;   in Loop: Header=BB4_7212 Depth=2
	s_or_b32 exec_lo, exec_lo, s42
	v_add_nc_u32_e32 v11, 0xffffff81, v20
	v_lshrrev_b32_e32 v20, 23, v10
	s_mov_b32 s10, exec_lo
	s_delay_alu instid0(VALU_DEP_2) | instskip(NEXT) | instid1(VALU_DEP_1)
	v_cndmask_b32_e64 v11, v11, 0xffffff82, vcc_lo
	v_add3_u32 v21, v21, v11, v20
	v_and_b32_e32 v11, 0x1fffff, v82
                                        ; implicit-def: $vgpr20
	s_delay_alu instid0(VALU_DEP_1) | instskip(SKIP_1) | instid1(VALU_DEP_2)
	v_dual_add_nc_u32 v82, 14, v21 :: v_dual_add_nc_u32 v10, v11, v10
	v_mov_b32_e32 v11, v37
	v_cmpx_ne_u32_e32 0, v82
	s_xor_b32 s10, exec_lo, s10
; %bb.8184:                             ;   in Loop: Header=BB4_7212 Depth=2
	s_delay_alu instid0(VALU_DEP_2) | instskip(SKIP_2) | instid1(VALU_DEP_2)
	v_cmp_lt_u64_e32 vcc_lo, 0xffffff, v[10:11]
	v_add_nc_u32_e32 v20, 15, v21
	v_cndmask_b32_e64 v21, 0, 1, vcc_lo
	v_cndmask_b32_e32 v20, v82, v20, vcc_lo
	s_delay_alu instid0(VALU_DEP_2)
	v_lshrrev_b64 v[10:11], v21, v[10:11]
; %bb.8185:                             ;   in Loop: Header=BB4_7212 Depth=2
	s_and_not1_saveexec_b32 s10, s10
; %bb.8186:                             ;   in Loop: Header=BB4_7212 Depth=2
	s_delay_alu instid0(VALU_DEP_1)
	v_bfe_u32 v20, v10, 23, 1
; %bb.8187:                             ;   in Loop: Header=BB4_7212 Depth=2
	s_or_b32 exec_lo, exec_lo, s10
	s_delay_alu instid0(VALU_DEP_2) | instskip(NEXT) | instid1(VALU_DEP_2)
	v_lshrrev_b64 v[10:11], 21, v[10:11]
	v_cmp_gt_i32_e32 vcc_lo, 32, v20
	v_min_i32_e32 v21, 31, v20
	v_cmp_eq_u32_e64 s10, 0, v20
	s_delay_alu instid0(VALU_DEP_2) | instskip(SKIP_1) | instid1(VALU_DEP_2)
	v_dual_cndmask_b32 v11, 0, v11, vcc_lo :: v_dual_lshlrev_b32 v21, 2, v21
	v_cndmask_b32_e32 v10, 3, v10, vcc_lo
	v_and_b32_e32 v21, 0xfc, v21
	s_delay_alu instid0(VALU_DEP_2) | instskip(NEXT) | instid1(VALU_DEP_2)
	v_cmp_eq_u64_e32 vcc_lo, 0, v[10:11]
	v_and_or_b32 v10, v10, 3, v21
	s_and_b32 s10, s10, vcc_lo
	s_delay_alu instid0(VALU_DEP_1) | instid1(SALU_CYCLE_1)
	v_cndmask_b32_e64 v10, v10, 0, s10
	s_delay_alu instid0(VALU_DEP_1)
	v_or_b32_e32 v82, v10, v85
.LBB4_8188:                             ;   in Loop: Header=BB4_7212 Depth=2
	s_or_b32 exec_lo, exec_lo, s41
                                        ; implicit-def: $vgpr85
.LBB4_8189:                             ;   in Loop: Header=BB4_7212 Depth=2
	s_and_not1_saveexec_b32 s10, s40
; %bb.8190:                             ;   in Loop: Header=BB4_7212 Depth=2
	v_or_b32_e32 v82, 0x7b, v85
; %bb.8191:                             ;   in Loop: Header=BB4_7212 Depth=2
	s_or_b32 exec_lo, exec_lo, s10
                                        ; implicit-def: $vgpr83
                                        ; implicit-def: $vgpr10_vgpr11
                                        ; implicit-def: $vgpr20
.LBB4_8192:                             ;   in Loop: Header=BB4_7212 Depth=2
	s_and_not1_saveexec_b32 s10, s29
	s_cbranch_execz .LBB4_8198
; %bb.8193:                             ;   in Loop: Header=BB4_7212 Depth=2
	s_mov_b32 s29, exec_lo
                                        ; implicit-def: $vgpr82
	v_cmpx_ne_u64_e32 0, v[10:11]
	s_xor_b32 s29, exec_lo, s29
; %bb.8194:                             ;   in Loop: Header=BB4_7212 Depth=2
	v_or_b32_e32 v82, 0x7f, v20
                                        ; implicit-def: $vgpr83
; %bb.8195:                             ;   in Loop: Header=BB4_7212 Depth=2
	s_and_not1_saveexec_b32 s29, s29
; %bb.8196:                             ;   in Loop: Header=BB4_7212 Depth=2
	v_cmp_lt_i32_e32 vcc_lo, -1, v83
	v_cndmask_b32_e32 v82, 0xfc, v110, vcc_lo
; %bb.8197:                             ;   in Loop: Header=BB4_7212 Depth=2
	s_or_b32 exec_lo, exec_lo, s29
.LBB4_8198:                             ;   in Loop: Header=BB4_7212 Depth=2
	s_delay_alu instid0(SALU_CYCLE_1)
	s_or_b32 exec_lo, exec_lo, s10
	v_mov_b32_e32 v11, 0
	s_mov_b32 s10, exec_lo
	v_cmpx_lt_u32_e32 0xffffff, v36
	s_cbranch_execz .LBB4_8208
; %bb.8199:                             ;   in Loop: Header=BB4_7212 Depth=2
	v_lshrrev_b32_e32 v10, 24, v36
	v_bfrev_b32_e32 v11, 1
	s_mov_b32 s29, exec_lo
	s_delay_alu instid0(VALU_DEP_2)
	v_cmpx_ne_u32_e32 0x80, v10
	s_cbranch_execz .LBB4_8207
; %bb.8200:                             ;   in Loop: Header=BB4_7212 Depth=2
	v_and_b32_e32 v11, 0x7c000000, v36
	v_bfe_u32 v20, v36, 24, 2
	s_delay_alu instid0(VALU_DEP_2) | instskip(SKIP_1) | instid1(SALU_CYCLE_1)
	v_cmp_ne_u32_e32 vcc_lo, 0x7c000000, v11
                                        ; implicit-def: $vgpr11
	s_and_saveexec_b32 s40, vcc_lo
	s_xor_b32 s40, exec_lo, s40
	s_cbranch_execz .LBB4_8204
; %bb.8201:                             ;   in Loop: Header=BB4_7212 Depth=2
	v_bfe_u32 v11, v36, 26, 5
	s_mov_b32 s41, exec_lo
	s_delay_alu instid0(VALU_DEP_1)
	v_cmpx_eq_u32_e32 0, v11
; %bb.8202:                             ;   in Loop: Header=BB4_7212 Depth=2
	v_clz_i32_u32_e32 v11, v20
	s_delay_alu instid0(VALU_DEP_1) | instskip(NEXT) | instid1(VALU_DEP_1)
	v_min_u32_e32 v20, 32, v11
	v_subrev_nc_u32_e32 v11, 29, v20
	s_delay_alu instid0(VALU_DEP_1) | instskip(NEXT) | instid1(VALU_DEP_1)
	v_lshlrev_b64_e32 v[10:11], v11, v[10:11]
	v_dual_sub_nc_u32 v11, 30, v20 :: v_dual_bitop2_b32 v20, 3, v10 bitop3:0x40
; %bb.8203:                             ;   in Loop: Header=BB4_7212 Depth=2
	s_or_b32 exec_lo, exec_lo, s41
	v_and_b32_e32 v10, 0x80000000, v36
	s_delay_alu instid0(VALU_DEP_1) | instskip(NEXT) | instid1(VALU_DEP_1)
	v_lshl_add_u32 v10, v11, 23, v10
	v_lshl_or_b32 v10, v20, 21, v10
                                        ; implicit-def: $vgpr20
	s_delay_alu instid0(VALU_DEP_1)
	v_add_nc_u32_e32 v11, 0x38000000, v10
.LBB4_8204:                             ;   in Loop: Header=BB4_7212 Depth=2
	s_and_not1_saveexec_b32 s40, s40
; %bb.8205:                             ;   in Loop: Header=BB4_7212 Depth=2
	v_cmp_lt_i32_e32 vcc_lo, -1, v36
	v_cndmask_b32_e32 v10, 0xff800000, v109, vcc_lo
	v_cmp_eq_u32_e32 vcc_lo, 0, v20
	s_delay_alu instid0(VALU_DEP_2)
	v_cndmask_b32_e32 v11, 0x7f800001, v10, vcc_lo
; %bb.8206:                             ;   in Loop: Header=BB4_7212 Depth=2
	s_or_b32 exec_lo, exec_lo, s40
.LBB4_8207:                             ;   in Loop: Header=BB4_7212 Depth=2
	s_delay_alu instid0(SALU_CYCLE_1)
	s_or_b32 exec_lo, exec_lo, s29
.LBB4_8208:                             ;   in Loop: Header=BB4_7212 Depth=2
	s_delay_alu instid0(SALU_CYCLE_1) | instskip(SKIP_2) | instid1(VALU_DEP_2)
	s_or_b32 exec_lo, exec_lo, s10
	v_bfe_u32 v24, v13, 24, 2
	v_bfe_u32 v31, v13, 26, 5
	v_clz_i32_u32_e32 v10, v24
	s_delay_alu instid0(VALU_DEP_2) | instskip(NEXT) | instid1(VALU_DEP_2)
	v_cmp_eq_u32_e32 vcc_lo, 0, v31
	v_min_u32_e32 v25, 32, v10
	v_lshrrev_b32_e32 v10, 24, v13
	s_delay_alu instid0(VALU_DEP_2) | instskip(NEXT) | instid1(VALU_DEP_1)
	v_subrev_nc_u32_e32 v20, 29, v25
	v_lshlrev_b64_e32 v[20:21], v20, v[10:11]
	s_delay_alu instid0(VALU_DEP_1) | instskip(SKIP_1) | instid1(VALU_DEP_2)
	v_dual_sub_nc_u32 v21, 30, v25 :: v_dual_bitop2_b32 v20, 3, v20 bitop3:0x40
	v_and_b32_e32 v25, 0x80000000, v13
	v_dual_cndmask_b32 v20, v24, v20 :: v_dual_cndmask_b32 v21, v31, v21
	v_cmp_lt_i64_e32 vcc_lo, -1, v[12:13]
	s_delay_alu instid0(VALU_DEP_2) | instskip(SKIP_2) | instid1(VALU_DEP_3)
	v_lshl_add_u32 v21, v21, 23, v25
	v_cndmask_b32_e32 v25, 0xff800000, v109, vcc_lo
	v_cmp_eq_u32_e32 vcc_lo, 0, v24
	v_lshl_or_b32 v20, v20, 21, v21
	v_and_b32_e32 v21, 0x7c000000, v13
	s_delay_alu instid0(VALU_DEP_4) | instskip(NEXT) | instid1(VALU_DEP_3)
	v_cndmask_b32_e32 v24, 0x7f800001, v25, vcc_lo
	v_add_nc_u32_e32 v20, 0x38000000, v20
	s_delay_alu instid0(VALU_DEP_3) | instskip(NEXT) | instid1(VALU_DEP_2)
	v_cmp_eq_u32_e32 vcc_lo, 0x7c000000, v21
	v_cndmask_b32_e32 v20, v20, v24, vcc_lo
	v_cmp_ne_u32_e32 vcc_lo, 0x80, v10
	s_delay_alu instid0(VALU_DEP_2) | instskip(SKIP_1) | instid1(VALU_DEP_2)
	v_cndmask_b32_e32 v10, 0x80000000, v20, vcc_lo
	v_cmp_lt_u64_e32 vcc_lo, s[12:13], v[12:13]
	v_dual_mov_b32 v13, v37 :: v_dual_cndmask_b32 v10, 0, v10
	s_delay_alu instid0(VALU_DEP_1) | instskip(NEXT) | instid1(VALU_DEP_1)
	v_add_f32_e32 v11, v10, v11
                                        ; implicit-def: $vgpr10
	v_and_b32_e32 v12, 0x7f800000, v11
	v_and_b32_e32 v36, 0x7fffff, v11
	s_delay_alu instid0(VALU_DEP_2) | instskip(SKIP_2) | instid1(SALU_CYCLE_1)
	v_cmp_ne_u64_e32 vcc_lo, 0x7f800000, v[12:13]
	v_lshrrev_b32_e32 v12, 24, v11
	s_and_saveexec_b32 s10, vcc_lo
	s_xor_b32 s29, exec_lo, s10
	s_cbranch_execz .LBB4_8222
; %bb.8209:                             ;   in Loop: Header=BB4_7212 Depth=2
	v_and_b32_e32 v20, 0x7fffffff, v11
	v_mov_b32_e32 v21, v37
	v_and_b32_e32 v83, 0x80, v12
                                        ; implicit-def: $vgpr10
	s_mov_b32 s10, exec_lo
	s_delay_alu instid0(VALU_DEP_2)
	v_cmpx_gt_u64_e32 0x47600001, v[20:21]
	s_xor_b32 s40, exec_lo, s10
	s_cbranch_execz .LBB4_8219
; %bb.8210:                             ;   in Loop: Header=BB4_7212 Depth=2
	v_mov_b32_e32 v10, 0
	s_mov_b32 s41, exec_lo
	v_cmpx_ne_u32_e32 0, v11
	s_cbranch_execz .LBB4_8218
; %bb.8211:                             ;   in Loop: Header=BB4_7212 Depth=2
	v_bfe_u32 v20, v11, 23, 8
	v_or_b32_e32 v12, 0x800000, v36
	s_mov_b32 s42, exec_lo
	s_delay_alu instid0(VALU_DEP_2) | instskip(SKIP_1) | instid1(VALU_DEP_2)
	v_dual_mov_b32 v13, v37 :: v_dual_sub_nc_u32 v10, 0x71, v20
	v_cmp_gt_u32_e32 vcc_lo, 0x72, v20
	v_cndmask_b32_e32 v10, 0, v10, vcc_lo
	v_cmp_eq_u32_e32 vcc_lo, 0, v20
	s_delay_alu instid0(VALU_DEP_2) | instskip(NEXT) | instid1(VALU_DEP_1)
	v_cndmask_b32_e64 v21, v10, 0x70, vcc_lo
	v_dual_cndmask_b32 v12, v12, v36, vcc_lo :: v_dual_add_nc_u32 v10, 21, v21
	v_add_nc_u32_e32 v24, 20, v21
	s_delay_alu instid0(VALU_DEP_2) | instskip(NEXT) | instid1(VALU_DEP_2)
	v_lshlrev_b64_e64 v[10:11], v10, -1
	v_lshlrev_b64_e64 v[24:25], v24, 1
	s_delay_alu instid0(VALU_DEP_2) | instskip(NEXT) | instid1(VALU_DEP_3)
	v_bfi_b32 v41, v11, 0, 0
	v_bfi_b32 v40, v10, 0, v12
	v_lshrrev_b64 v[10:11], v21, v[12:13]
	s_delay_alu instid0(VALU_DEP_1) | instskip(NEXT) | instid1(VALU_DEP_3)
	v_mov_b64_e32 v[12:13], v[10:11]
	v_cmpx_eq_u64_e64 v[40:41], v[24:25]
; %bb.8212:                             ;   in Loop: Header=BB4_7212 Depth=2
	v_bfe_u32 v12, v10, 21, 1
	v_mov_b32_e32 v13, v37
	s_delay_alu instid0(VALU_DEP_1) | instskip(NEXT) | instid1(VALU_DEP_1)
	v_add_nc_u64_e32 v[12:13], v[10:11], v[12:13]
	v_add_nc_u64_e32 v[12:13], -1, v[12:13]
; %bb.8213:                             ;   in Loop: Header=BB4_7212 Depth=2
	s_or_b32 exec_lo, exec_lo, s42
	v_add_nc_u32_e32 v11, 0xffffff81, v20
	v_lshrrev_b32_e32 v13, 23, v10
	s_mov_b32 s10, exec_lo
	s_delay_alu instid0(VALU_DEP_2) | instskip(NEXT) | instid1(VALU_DEP_1)
	v_cndmask_b32_e64 v11, v11, 0xffffff82, vcc_lo
	v_add3_u32 v13, v21, v11, v13
	v_and_b32_e32 v11, 0x1fffff, v12
                                        ; implicit-def: $vgpr12
	s_delay_alu instid0(VALU_DEP_1) | instskip(NEXT) | instid1(VALU_DEP_1)
	v_dual_add_nc_u32 v20, 14, v13 :: v_dual_add_nc_u32 v36, v11, v10
                                        ; implicit-def: $vgpr10_vgpr11
	v_cmpx_ne_u32_e32 0, v20
	s_xor_b32 s10, exec_lo, s10
; %bb.8214:                             ;   in Loop: Header=BB4_7212 Depth=2
	s_delay_alu instid0(VALU_DEP_2) | instskip(SKIP_1) | instid1(VALU_DEP_1)
	v_cmp_lt_u64_e32 vcc_lo, 0xffffff, v[36:37]
	v_add_nc_u32_e32 v10, 15, v13
	v_cndmask_b32_e32 v12, v20, v10, vcc_lo
	v_cndmask_b32_e64 v10, 0, 1, vcc_lo
	s_delay_alu instid0(VALU_DEP_1)
	v_lshrrev_b64 v[10:11], v10, v[36:37]
; %bb.8215:                             ;   in Loop: Header=BB4_7212 Depth=2
	s_and_not1_saveexec_b32 s10, s10
; %bb.8216:                             ;   in Loop: Header=BB4_7212 Depth=2
	v_mov_b64_e32 v[10:11], v[36:37]
	v_bfe_u32 v12, v36, 23, 1
; %bb.8217:                             ;   in Loop: Header=BB4_7212 Depth=2
	s_or_b32 exec_lo, exec_lo, s10
	s_delay_alu instid0(VALU_DEP_2) | instskip(NEXT) | instid1(VALU_DEP_2)
	v_lshrrev_b64 v[10:11], 21, v[10:11]
	v_cmp_gt_i32_e32 vcc_lo, 32, v12
	v_min_i32_e32 v13, 31, v12
	v_cmp_eq_u32_e64 s10, 0, v12
	s_delay_alu instid0(VALU_DEP_2) | instskip(SKIP_1) | instid1(VALU_DEP_2)
	v_dual_cndmask_b32 v11, 0, v11, vcc_lo :: v_dual_lshlrev_b32 v13, 2, v13
	v_cndmask_b32_e32 v10, 3, v10, vcc_lo
	v_and_b32_e32 v13, 0xfc, v13
	s_delay_alu instid0(VALU_DEP_2) | instskip(NEXT) | instid1(VALU_DEP_2)
	v_cmp_eq_u64_e32 vcc_lo, 0, v[10:11]
	v_and_or_b32 v10, v10, 3, v13
	s_and_b32 s10, s10, vcc_lo
	s_delay_alu instid0(VALU_DEP_1) | instid1(SALU_CYCLE_1)
	v_cndmask_b32_e64 v10, v10, 0, s10
	s_delay_alu instid0(VALU_DEP_1)
	v_or_b32_e32 v10, v10, v83
.LBB4_8218:                             ;   in Loop: Header=BB4_7212 Depth=2
	s_or_b32 exec_lo, exec_lo, s41
                                        ; implicit-def: $vgpr83
.LBB4_8219:                             ;   in Loop: Header=BB4_7212 Depth=2
	s_and_not1_saveexec_b32 s10, s40
; %bb.8220:                             ;   in Loop: Header=BB4_7212 Depth=2
	v_or_b32_e32 v10, 0x7b, v83
; %bb.8221:                             ;   in Loop: Header=BB4_7212 Depth=2
	s_or_b32 exec_lo, exec_lo, s10
                                        ; implicit-def: $vgpr11
                                        ; implicit-def: $vgpr12
.LBB4_8222:                             ;   in Loop: Header=BB4_7212 Depth=2
	s_and_not1_saveexec_b32 s10, s29
	s_cbranch_execz .LBB4_7211
; %bb.8223:                             ;   in Loop: Header=BB4_7212 Depth=2
	s_mov_b32 s29, exec_lo
                                        ; implicit-def: $vgpr10
	v_cmpx_ne_u64_e32 0, v[36:37]
	s_xor_b32 s29, exec_lo, s29
; %bb.8224:                             ;   in Loop: Header=BB4_7212 Depth=2
	v_or_b32_e32 v10, 0x7f, v12
                                        ; implicit-def: $vgpr11
; %bb.8225:                             ;   in Loop: Header=BB4_7212 Depth=2
	s_and_not1_saveexec_b32 s29, s29
	s_cbranch_execz .LBB4_7210
; %bb.8226:                             ;   in Loop: Header=BB4_7212 Depth=2
	v_cmp_lt_i32_e32 vcc_lo, -1, v11
	v_cndmask_b32_e32 v10, 0xfc, v110, vcc_lo
	s_branch .LBB4_7210
.LBB4_8227:                             ;   in Loop: Header=BB4_7212 Depth=2
	s_mov_b32 s29, -1
	s_mov_b32 s40, exec_lo
	v_cmpx_eq_u16_e32 0x80, v21
; %bb.8228:                             ;   in Loop: Header=BB4_7212 Depth=2
	s_xor_b32 s29, exec_lo, -1
; %bb.8229:                             ;   in Loop: Header=BB4_7212 Depth=2
	s_or_b32 exec_lo, exec_lo, s40
	s_delay_alu instid0(SALU_CYCLE_1)
	s_and_b32 s29, s29, exec_lo
                                        ; implicit-def: $vgpr21
	s_or_saveexec_b32 s10, s10
	v_bfrev_b32_e32 v20, 1
	s_xor_b32 exec_lo, exec_lo, s10
	s_cbranch_execz .LBB4_7712
.LBB4_8230:                             ;   in Loop: Header=BB4_7212 Depth=2
	v_cmp_ne_u16_e32 vcc_lo, 0, v21
	v_mov_b32_e32 v20, 0
	s_and_not1_b32 s29, s29, exec_lo
	s_and_b32 s40, vcc_lo, exec_lo
	s_delay_alu instid0(SALU_CYCLE_1)
	s_or_b32 s29, s29, s40
	s_or_b32 exec_lo, exec_lo, s10
	s_and_saveexec_b32 s10, s29
	s_cbranch_execnz .LBB4_7713
	s_branch .LBB4_7714
.LBB4_8231:                             ;   in Loop: Header=BB4_7212 Depth=2
	s_mov_b32 s29, -1
	s_mov_b32 s40, exec_lo
	v_cmpx_eq_u16_e32 0x80, v82
; %bb.8232:                             ;   in Loop: Header=BB4_7212 Depth=2
	s_xor_b32 s29, exec_lo, -1
; %bb.8233:                             ;   in Loop: Header=BB4_7212 Depth=2
	s_or_b32 exec_lo, exec_lo, s40
	s_delay_alu instid0(SALU_CYCLE_1)
	s_and_b32 s29, s29, exec_lo
	s_or_saveexec_b32 s10, s10
	v_bfrev_b32_e32 v2, 1
	s_xor_b32 exec_lo, exec_lo, s10
	s_cbranch_execz .LBB4_7746
.LBB4_8234:                             ;   in Loop: Header=BB4_7212 Depth=2
	v_cmp_ne_u16_e32 vcc_lo, 0, v82
	v_mov_b32_e32 v2, 0
	s_and_not1_b32 s29, s29, exec_lo
	s_and_b32 s40, vcc_lo, exec_lo
	s_delay_alu instid0(SALU_CYCLE_1)
	s_or_b32 s29, s29, s40
	s_or_b32 exec_lo, exec_lo, s10
	s_and_saveexec_b32 s10, s29
	s_cbranch_execnz .LBB4_7747
	s_branch .LBB4_7748
.LBB4_8235:                             ;   in Loop: Header=BB4_7212 Depth=2
	s_mov_b32 s29, -1
	s_mov_b32 s40, exec_lo
	v_cmpx_eq_u16_e32 0x80, v21
; %bb.8236:                             ;   in Loop: Header=BB4_7212 Depth=2
	s_xor_b32 s29, exec_lo, -1
; %bb.8237:                             ;   in Loop: Header=BB4_7212 Depth=2
	s_or_b32 exec_lo, exec_lo, s40
	s_delay_alu instid0(SALU_CYCLE_1)
	s_and_b32 s29, s29, exec_lo
                                        ; implicit-def: $vgpr21
	s_or_saveexec_b32 s10, s10
	v_bfrev_b32_e32 v20, 1
	s_xor_b32 exec_lo, exec_lo, s10
	s_cbranch_execz .LBB4_7780
.LBB4_8238:                             ;   in Loop: Header=BB4_7212 Depth=2
	v_cmp_ne_u16_e32 vcc_lo, 0, v21
	v_mov_b32_e32 v20, 0
	s_and_not1_b32 s29, s29, exec_lo
	s_and_b32 s40, vcc_lo, exec_lo
	s_delay_alu instid0(SALU_CYCLE_1)
	s_or_b32 s29, s29, s40
	s_or_b32 exec_lo, exec_lo, s10
	s_and_saveexec_b32 s10, s29
	s_cbranch_execnz .LBB4_7781
	s_branch .LBB4_7782
.LBB4_8239:                             ;   in Loop: Header=BB4_7212 Depth=2
	s_mov_b32 s29, -1
	s_mov_b32 s40, exec_lo
	v_cmpx_eq_u16_e32 0x80, v21
; %bb.8240:                             ;   in Loop: Header=BB4_7212 Depth=2
	s_xor_b32 s29, exec_lo, -1
; %bb.8241:                             ;   in Loop: Header=BB4_7212 Depth=2
	s_or_b32 exec_lo, exec_lo, s40
	s_delay_alu instid0(SALU_CYCLE_1)
	s_and_b32 s29, s29, exec_lo
                                        ; implicit-def: $vgpr21
	s_or_saveexec_b32 s10, s10
	v_bfrev_b32_e32 v20, 1
	s_xor_b32 exec_lo, exec_lo, s10
	s_cbranch_execz .LBB4_7844
.LBB4_8242:                             ;   in Loop: Header=BB4_7212 Depth=2
	v_cmp_ne_u16_e32 vcc_lo, 0, v21
	v_mov_b32_e32 v20, 0
	s_and_not1_b32 s29, s29, exec_lo
	s_and_b32 s40, vcc_lo, exec_lo
	s_delay_alu instid0(SALU_CYCLE_1)
	s_or_b32 s29, s29, s40
	s_or_b32 exec_lo, exec_lo, s10
	v_mov_b32_e32 v83, v37
	s_and_saveexec_b32 s10, s29
	s_cbranch_execnz .LBB4_7845
	s_branch .LBB4_7846
.LBB4_8243:                             ;   in Loop: Header=BB4_7212 Depth=2
	s_mov_b32 s29, -1
	s_mov_b32 s40, exec_lo
	v_cmpx_eq_u16_e32 0x80, v84
; %bb.8244:                             ;   in Loop: Header=BB4_7212 Depth=2
	s_xor_b32 s29, exec_lo, -1
; %bb.8245:                             ;   in Loop: Header=BB4_7212 Depth=2
	s_or_b32 exec_lo, exec_lo, s40
	s_delay_alu instid0(SALU_CYCLE_1)
	s_and_b32 s29, s29, exec_lo
	s_or_saveexec_b32 s10, s10
	v_bfrev_b32_e32 v2, 1
	s_xor_b32 exec_lo, exec_lo, s10
	s_cbranch_execz .LBB4_7878
.LBB4_8246:                             ;   in Loop: Header=BB4_7212 Depth=2
	v_cmp_ne_u16_e32 vcc_lo, 0, v84
	v_mov_b32_e32 v2, 0
	s_and_not1_b32 s29, s29, exec_lo
	s_and_b32 s40, vcc_lo, exec_lo
	s_delay_alu instid0(SALU_CYCLE_1)
	s_or_b32 s29, s29, s40
	s_or_b32 exec_lo, exec_lo, s10
	s_and_saveexec_b32 s10, s29
	s_cbranch_execnz .LBB4_7879
	s_branch .LBB4_7880
.LBB4_8247:                             ;   in Loop: Header=BB4_7212 Depth=2
	s_mov_b32 s29, -1
	s_mov_b32 s40, exec_lo
	v_cmpx_eq_u16_e32 0x80, v21
; %bb.8248:                             ;   in Loop: Header=BB4_7212 Depth=2
	s_xor_b32 s29, exec_lo, -1
; %bb.8249:                             ;   in Loop: Header=BB4_7212 Depth=2
	s_or_b32 exec_lo, exec_lo, s40
	s_delay_alu instid0(SALU_CYCLE_1)
	s_and_b32 s29, s29, exec_lo
                                        ; implicit-def: $vgpr21
	s_or_saveexec_b32 s10, s10
	v_bfrev_b32_e32 v20, 1
	s_xor_b32 exec_lo, exec_lo, s10
	s_cbranch_execz .LBB4_7912
.LBB4_8250:                             ;   in Loop: Header=BB4_7212 Depth=2
	v_cmp_ne_u16_e32 vcc_lo, 0, v21
	v_mov_b32_e32 v20, 0
	s_and_not1_b32 s29, s29, exec_lo
	s_and_b32 s40, vcc_lo, exec_lo
	s_delay_alu instid0(SALU_CYCLE_1)
	s_or_b32 s29, s29, s40
	s_or_b32 exec_lo, exec_lo, s10
	s_and_saveexec_b32 s10, s29
	s_cbranch_execnz .LBB4_7913
	s_branch .LBB4_7914
.LBB4_8251:                             ;   in Loop: Header=BB4_7212 Depth=2
	s_mov_b32 s29, -1
	s_mov_b32 s40, exec_lo
	v_cmpx_eq_u16_e32 0x80, v20
; %bb.8252:                             ;   in Loop: Header=BB4_7212 Depth=2
	s_xor_b32 s29, exec_lo, -1
; %bb.8253:                             ;   in Loop: Header=BB4_7212 Depth=2
	s_or_b32 exec_lo, exec_lo, s40
	s_delay_alu instid0(SALU_CYCLE_1)
	s_and_b32 s29, s29, exec_lo
                                        ; implicit-def: $vgpr20
	s_or_saveexec_b32 s10, s10
	v_bfrev_b32_e32 v11, 1
	s_xor_b32 exec_lo, exec_lo, s10
	s_cbranch_execz .LBB4_7976
.LBB4_8254:                             ;   in Loop: Header=BB4_7212 Depth=2
	v_cmp_ne_u16_e32 vcc_lo, 0, v20
	v_mov_b32_e32 v11, 0
	s_and_not1_b32 s29, s29, exec_lo
	s_and_b32 s40, vcc_lo, exec_lo
	s_delay_alu instid0(SALU_CYCLE_1)
	s_or_b32 s29, s29, s40
	s_or_b32 exec_lo, exec_lo, s10
	s_and_saveexec_b32 s10, s29
	s_cbranch_execnz .LBB4_7977
	s_branch .LBB4_7978
.LBB4_8255:                             ;   in Loop: Header=BB4_7212 Depth=2
	s_mov_b32 s29, -1
	s_mov_b32 s40, exec_lo
	v_cmpx_eq_u16_e32 0x80, v10
; %bb.8256:                             ;   in Loop: Header=BB4_7212 Depth=2
	s_xor_b32 s29, exec_lo, -1
; %bb.8257:                             ;   in Loop: Header=BB4_7212 Depth=2
	s_or_b32 exec_lo, exec_lo, s40
	s_delay_alu instid0(SALU_CYCLE_1)
	s_and_b32 s29, s29, exec_lo
	s_or_saveexec_b32 s10, s10
	v_bfrev_b32_e32 v2, 1
	s_xor_b32 exec_lo, exec_lo, s10
	s_cbranch_execz .LBB4_8010
.LBB4_8258:                             ;   in Loop: Header=BB4_7212 Depth=2
	v_cmp_ne_u16_e32 vcc_lo, 0, v10
	v_mov_b32_e32 v2, 0
	s_and_not1_b32 s29, s29, exec_lo
	s_and_b32 s40, vcc_lo, exec_lo
	s_delay_alu instid0(SALU_CYCLE_1)
	s_or_b32 s29, s29, s40
	s_or_b32 exec_lo, exec_lo, s10
	s_and_saveexec_b32 s10, s29
	s_cbranch_execnz .LBB4_8011
	s_branch .LBB4_8012
.LBB4_8259:                             ;   in Loop: Header=BB4_7212 Depth=2
	s_mov_b32 s29, -1
	s_mov_b32 s40, exec_lo
	v_cmpx_eq_u16_e32 0x80, v20
; %bb.8260:                             ;   in Loop: Header=BB4_7212 Depth=2
	s_xor_b32 s29, exec_lo, -1
; %bb.8261:                             ;   in Loop: Header=BB4_7212 Depth=2
	s_or_b32 exec_lo, exec_lo, s40
	s_delay_alu instid0(SALU_CYCLE_1)
	s_and_b32 s29, s29, exec_lo
                                        ; implicit-def: $vgpr20
	s_or_saveexec_b32 s10, s10
	v_bfrev_b32_e32 v11, 1
	s_xor_b32 exec_lo, exec_lo, s10
	s_cbranch_execz .LBB4_8044
.LBB4_8262:                             ;   in Loop: Header=BB4_7212 Depth=2
	v_cmp_ne_u16_e32 vcc_lo, 0, v20
	v_mov_b32_e32 v11, 0
	s_and_not1_b32 s29, s29, exec_lo
	s_and_b32 s40, vcc_lo, exec_lo
	s_delay_alu instid0(SALU_CYCLE_1)
	s_or_b32 s29, s29, s40
	s_or_b32 exec_lo, exec_lo, s10
	s_and_saveexec_b32 s10, s29
	s_cbranch_execnz .LBB4_8045
	s_branch .LBB4_8046
.LBB4_8263:                             ;   in Loop: Header=BB4_7212 Depth=2
	s_mov_b32 s29, -1
	s_mov_b32 s40, exec_lo
	v_cmpx_eq_u16_e32 0x80, v11
; %bb.8264:                             ;   in Loop: Header=BB4_7212 Depth=2
	s_xor_b32 s29, exec_lo, -1
; %bb.8265:                             ;   in Loop: Header=BB4_7212 Depth=2
	s_or_b32 exec_lo, exec_lo, s40
	s_delay_alu instid0(SALU_CYCLE_1)
	s_and_b32 s29, s29, exec_lo
                                        ; implicit-def: $vgpr11
	s_or_saveexec_b32 s10, s10
	v_bfrev_b32_e32 v20, 1
	s_xor_b32 exec_lo, exec_lo, s10
	s_cbranch_execz .LBB4_8108
.LBB4_8266:                             ;   in Loop: Header=BB4_7212 Depth=2
	v_cmp_ne_u16_e32 vcc_lo, 0, v11
	v_mov_b32_e32 v20, 0
	s_and_not1_b32 s29, s29, exec_lo
	s_and_b32 s40, vcc_lo, exec_lo
	s_delay_alu instid0(SALU_CYCLE_1)
	s_or_b32 s29, s29, s40
	s_or_b32 exec_lo, exec_lo, s10
	v_mov_b32_e32 v11, v37
	s_and_saveexec_b32 s10, s29
	s_cbranch_execnz .LBB4_8109
	s_branch .LBB4_8110
.LBB4_8267:                             ;   in Loop: Header=BB4_7212 Depth=2
	s_mov_b32 s29, -1
	s_mov_b32 s40, exec_lo
	v_cmpx_eq_u16_e32 0x80, v82
; %bb.8268:                             ;   in Loop: Header=BB4_7212 Depth=2
	s_xor_b32 s29, exec_lo, -1
; %bb.8269:                             ;   in Loop: Header=BB4_7212 Depth=2
	s_or_b32 exec_lo, exec_lo, s40
	s_delay_alu instid0(SALU_CYCLE_1)
	s_and_b32 s29, s29, exec_lo
	s_or_saveexec_b32 s10, s10
	v_bfrev_b32_e32 v2, 1
	s_xor_b32 exec_lo, exec_lo, s10
	s_cbranch_execz .LBB4_8142
.LBB4_8270:                             ;   in Loop: Header=BB4_7212 Depth=2
	v_cmp_ne_u16_e32 vcc_lo, 0, v82
	v_mov_b32_e32 v2, 0
	s_and_not1_b32 s29, s29, exec_lo
	s_and_b32 s40, vcc_lo, exec_lo
	s_delay_alu instid0(SALU_CYCLE_1)
	s_or_b32 s29, s29, s40
	s_or_b32 exec_lo, exec_lo, s10
	s_and_saveexec_b32 s10, s29
	s_cbranch_execnz .LBB4_8143
	s_branch .LBB4_8144
.LBB4_8271:                             ;   in Loop: Header=BB4_7212 Depth=2
	s_mov_b32 s29, -1
	s_mov_b32 s40, exec_lo
	v_cmpx_eq_u16_e32 0x80, v21
; %bb.8272:                             ;   in Loop: Header=BB4_7212 Depth=2
	s_xor_b32 s29, exec_lo, -1
; %bb.8273:                             ;   in Loop: Header=BB4_7212 Depth=2
	s_or_b32 exec_lo, exec_lo, s40
	s_delay_alu instid0(SALU_CYCLE_1)
	s_and_b32 s29, s29, exec_lo
                                        ; implicit-def: $vgpr21
	s_or_saveexec_b32 s10, s10
	v_bfrev_b32_e32 v20, 1
	s_xor_b32 exec_lo, exec_lo, s10
	s_cbranch_execz .LBB4_8176
.LBB4_8274:                             ;   in Loop: Header=BB4_7212 Depth=2
	v_cmp_ne_u16_e32 vcc_lo, 0, v21
	v_mov_b32_e32 v20, 0
	s_and_not1_b32 s29, s29, exec_lo
	s_and_b32 s40, vcc_lo, exec_lo
	s_delay_alu instid0(SALU_CYCLE_1)
	s_or_b32 s29, s29, s40
	s_or_b32 exec_lo, exec_lo, s10
	s_and_saveexec_b32 s10, s29
	s_cbranch_execnz .LBB4_8177
	s_branch .LBB4_8178
.LBB4_8275:                             ;   in Loop: Header=BB4_4883 Depth=1
	s_or_b32 exec_lo, exec_lo, s26
.LBB4_8276:                             ;   in Loop: Header=BB4_4883 Depth=1
	s_delay_alu instid0(SALU_CYCLE_1) | instskip(NEXT) | instid1(VALU_DEP_2)
	s_or_b32 exec_lo, exec_lo, s25
	v_cmp_lt_i32_e32 vcc_lo, 0, v96
	v_and_b32_e32 v2, 15, v111
	v_and_b32_e32 v10, 0x1f0, v111
	v_cndmask_b32_e32 v11, 0, v38, vcc_lo
	s_delay_alu instid0(VALU_DEP_3) | instskip(NEXT) | instid1(VALU_DEP_2)
	v_cndmask_b32_e64 v122, v3, v2, s7
	v_dual_cndmask_b32 v2, 0, v10, s7 :: v_dual_sub_nc_u32 v3, v11, v96
	s_delay_alu instid0(VALU_DEP_2) | instskip(NEXT) | instid1(VALU_DEP_2)
	v_cmp_ne_u32_e32 vcc_lo, 0, v122
	v_and_or_b32 v30, 0x3ffffe00, v111, v2
	s_delay_alu instid0(VALU_DEP_3)
	v_lshl_add_u32 v123, v3, 5, v0
	s_and_b32 s7, vcc_lo, exec_lo
.LBB4_8277:                             ;   in Loop: Header=BB4_4883 Depth=1
	s_or_b32 exec_lo, exec_lo, s11
	s_and_saveexec_b32 s25, s7
	s_cbranch_execz .LBB4_9628
.LBB4_8278:                             ;   in Loop: Header=BB4_4883 Depth=1
	v_dual_ashrrev_i32 v0, 31, v123 :: v_dual_lshrrev_b32 v3, 9, v122
	s_mov_b32 s26, exec_lo
	s_delay_alu instid0(VALU_DEP_1) | instskip(NEXT) | instid1(VALU_DEP_1)
	v_lshrrev_b32_e32 v0, 27, v0
	v_add_nc_u32_e32 v2, v123, v0
	s_delay_alu instid0(VALU_DEP_1) | instskip(NEXT) | instid1(VALU_DEP_1)
	v_ashrrev_i32_e32 v0, 5, v2
	v_sub_nc_u32_e32 v3, v3, v0
	s_delay_alu instid0(VALU_DEP_1)
	v_cmpx_lt_i32_e32 0, v3
	s_cbranch_execz .LBB4_9538
; %bb.8279:                             ;   in Loop: Header=BB4_4883 Depth=1
	v_and_b32_e32 v2, 0xffffffe0, v2
	s_trap 2
	ds_load_b64 v[12:13], v0
	v_lshlrev_b32_e32 v10, 9, v0
	v_add_nc_u64_e32 v[16:17], 0x1e0, v[70:71]
	v_sub_nc_u32_e32 v2, v123, v2
	s_mov_b32 s27, 0
	s_delay_alu instid0(VALU_DEP_1) | instskip(NEXT) | instid1(VALU_DEP_1)
	v_add3_u32 v14, v30, v2, v10
	v_ashrrev_i32_e32 v15, 31, v14
	s_delay_alu instid0(VALU_DEP_1)
	v_add_nc_u64_e32 v[10:11], v[14:15], v[68:69]
	s_wait_dscnt 0x0
	v_add_nc_u64_e32 v[12:13], v[12:13], v[14:15]
	v_add_nc_u64_e32 v[14:15], v[16:17], v[14:15]
	s_branch .LBB4_8282
.LBB4_8280:                             ;   in Loop: Header=BB4_8282 Depth=2
	s_or_b32 exec_lo, exec_lo, s10
.LBB4_8281:                             ;   in Loop: Header=BB4_8282 Depth=2
	s_delay_alu instid0(SALU_CYCLE_1)
	s_or_b32 exec_lo, exec_lo, s7
	v_sub_nc_u32_e32 v3, v3, v38
	s_clause 0xf
	flat_store_b8 v[14:15], v104 offset:-480 th:TH_STORE_NT
	flat_store_b8 v[14:15], v56 offset:-448 th:TH_STORE_NT
	;; [unrolled: 1-line block ×15, first 2 shown]
	flat_store_b8 v[14:15], v17 th:TH_STORE_NT
	v_add_nc_u64_e32 v[10:11], v[10:11], v[52:53]
	v_add_nc_u64_e32 v[12:13], v[12:13], v[52:53]
	v_cmp_gt_i32_e32 vcc_lo, 1, v3
	s_wait_xcnt 0x0
	v_add_nc_u64_e32 v[14:15], v[14:15], v[52:53]
	s_or_b32 s27, vcc_lo, s27
	s_delay_alu instid0(SALU_CYCLE_1)
	s_and_not1_b32 exec_lo, exec_lo, s27
	s_cbranch_execz .LBB4_9537
.LBB4_8282:                             ;   Parent Loop BB4_4883 Depth=1
                                        ; =>  This Inner Loop Header: Depth=2
	s_trap 2
	ds_load_b64 v[16:17], v0
	s_mov_b32 s28, 0
	s_wait_dscnt 0x0
	v_and_b32_e32 v2, 0xff, v16
	v_readfirstlane_b32 s10, v16
	v_readfirstlane_b32 s11, v17
	s_delay_alu instid0(VALU_DEP_3)
	v_cmp_eq_u32_e32 vcc_lo, 0, v2
	s_cbranch_vccnz .LBB4_8290
; %bb.8283:                             ;   in Loop: Header=BB4_8282 Depth=2
	s_bfe_i32 s29, s10, 0x80000
	s_brev_b32 s28, 1
	s_and_b32 s7, 0xffff, s29
	s_delay_alu instid0(SALU_CYCLE_1)
	s_cmp_eq_u32 s7, 0xff80
	s_cbranch_scc1 .LBB4_8290
; %bb.8284:                             ;   in Loop: Header=BB4_8282 Depth=2
	s_and_b32 s28, s10, 0x7c
	s_and_b32 s7, s10, 3
	s_mov_b32 s40, -1
	s_cmp_lg_u32 s28, 0x7c
	s_sext_i32_i16 s29, s29
                                        ; implicit-def: $sgpr28
	s_cbranch_scc0 .LBB4_8288
; %bb.8285:                             ;   in Loop: Header=BB4_8282 Depth=2
	s_bfe_u32 s28, s10, 0x50002
	s_mov_b32 s40, s7
	s_cmp_lg_u32 s28, 0
	s_cbranch_scc1 .LBB4_8287
; %bb.8286:                             ;   in Loop: Header=BB4_8282 Depth=2
	s_clz_i32_u32 s28, s7
	s_delay_alu instid0(SALU_CYCLE_1) | instskip(NEXT) | instid1(SALU_CYCLE_1)
	s_min_u32 s28, s28, 32
	s_sub_co_i32 s40, s28, 29
	s_sub_co_i32 s28, 30, s28
	s_lshl_b64 s[10:11], s[10:11], s40
	s_delay_alu instid0(SALU_CYCLE_1)
	s_and_b32 s40, s10, 3
.LBB4_8287:                             ;   in Loop: Header=BB4_8282 Depth=2
	s_and_b32 s10, s29, 0x80000000
	s_lshl_b32 s11, s28, 23
	s_lshl_b32 s28, s40, 21
	s_add_co_i32 s11, s11, s10
	s_mov_b32 s40, 0
	s_or_b32 s10, s11, s28
	s_delay_alu instid0(SALU_CYCLE_1)
	s_add_co_i32 s28, s10, 0x38000000
.LBB4_8288:                             ;   in Loop: Header=BB4_8282 Depth=2
	s_and_b32 vcc_lo, exec_lo, s40
	s_cbranch_vccz .LBB4_8290
; %bb.8289:                             ;   in Loop: Header=BB4_8282 Depth=2
	s_cmp_gt_i32 s29, -1
	s_cselect_b32 s10, s22, 0xff800000
	s_cmp_eq_u32 s7, 0
	s_cselect_b32 s28, s10, 0x7f800001
.LBB4_8290:                             ;   in Loop: Header=BB4_8282 Depth=2
	flat_load_i8 v16, v[10:11] th:TH_LOAD_NT
	v_mov_b32_e32 v17, 0
	s_mov_b32 s7, exec_lo
	s_wait_loadcnt_dscnt 0x0
	v_cmpx_ne_u16_e32 0, v16
	s_cbranch_execz .LBB4_8300
; %bb.8291:                             ;   in Loop: Header=BB4_8282 Depth=2
	v_bfrev_b32_e32 v17, 1
	s_mov_b32 s10, exec_lo
	v_cmpx_ne_u16_e32 0xff80, v16
	s_cbranch_execz .LBB4_8299
; %bb.8292:                             ;   in Loop: Header=BB4_8282 Depth=2
	v_and_b32_e32 v17, 0x7c, v16
	v_and_b32_e32 v2, 3, v16
	s_delay_alu instid0(VALU_DEP_2) | instskip(SKIP_1) | instid1(SALU_CYCLE_1)
	v_cmp_ne_u32_e32 vcc_lo, 0x7c, v17
                                        ; implicit-def: $vgpr17
	s_and_saveexec_b32 s11, vcc_lo
	s_xor_b32 s11, exec_lo, s11
	s_cbranch_execz .LBB4_8296
; %bb.8293:                             ;   in Loop: Header=BB4_8282 Depth=2
	v_and_b32_e32 v17, 0xff, v16
	s_mov_b32 s29, exec_lo
	s_delay_alu instid0(VALU_DEP_1) | instskip(NEXT) | instid1(VALU_DEP_1)
	v_bfe_u32 v17, v17, 2, 5
	v_cmpx_eq_u32_e32 0, v17
; %bb.8294:                             ;   in Loop: Header=BB4_8282 Depth=2
	v_clz_i32_u32_e32 v2, v2
	v_mov_b32_e32 v17, v37
	s_delay_alu instid0(VALU_DEP_2) | instskip(NEXT) | instid1(VALU_DEP_1)
	v_min_u32_e32 v2, 32, v2
	v_subrev_nc_u32_e32 v20, 29, v2
	s_delay_alu instid0(VALU_DEP_1) | instskip(NEXT) | instid1(VALU_DEP_1)
	v_lshlrev_b64_e32 v[20:21], v20, v[16:17]
	v_dual_sub_nc_u32 v17, 30, v2 :: v_dual_bitop2_b32 v2, 3, v20 bitop3:0x40
; %bb.8295:                             ;   in Loop: Header=BB4_8282 Depth=2
	s_or_b32 exec_lo, exec_lo, s29
	v_bfe_i32 v16, v16, 0, 16
	s_delay_alu instid0(VALU_DEP_1) | instskip(NEXT) | instid1(VALU_DEP_1)
	v_and_b32_e32 v16, 0x80000000, v16
	v_lshl_add_u32 v16, v17, 23, v16
	s_delay_alu instid0(VALU_DEP_1) | instskip(NEXT) | instid1(VALU_DEP_1)
	v_lshl_or_b32 v2, v2, 21, v16
                                        ; implicit-def: $vgpr16
	v_add_nc_u32_e32 v17, 0x38000000, v2
                                        ; implicit-def: $vgpr2
.LBB4_8296:                             ;   in Loop: Header=BB4_8282 Depth=2
	s_and_not1_saveexec_b32 s11, s11
; %bb.8297:                             ;   in Loop: Header=BB4_8282 Depth=2
	v_cmp_lt_i16_e32 vcc_lo, -1, v16
	v_cndmask_b32_e32 v16, 0xff800000, v109, vcc_lo
	v_cmp_eq_u32_e32 vcc_lo, 0, v2
	s_delay_alu instid0(VALU_DEP_2)
	v_cndmask_b32_e32 v17, 0x7f800001, v16, vcc_lo
; %bb.8298:                             ;   in Loop: Header=BB4_8282 Depth=2
	s_or_b32 exec_lo, exec_lo, s11
.LBB4_8299:                             ;   in Loop: Header=BB4_8282 Depth=2
	s_delay_alu instid0(SALU_CYCLE_1)
	s_or_b32 exec_lo, exec_lo, s10
.LBB4_8300:                             ;   in Loop: Header=BB4_8282 Depth=2
	s_delay_alu instid0(SALU_CYCLE_1) | instskip(NEXT) | instid1(VALU_DEP_1)
	s_or_b32 exec_lo, exec_lo, s7
	v_dual_mul_f32 v16, s28, v17 :: v_dual_mov_b32 v21, v37
                                        ; implicit-def: $vgpr56
	s_mov_b32 s7, exec_lo
	s_delay_alu instid0(VALU_DEP_1) | instskip(SKIP_1) | instid1(VALU_DEP_2)
	v_and_b32_e32 v20, 0x7f800000, v16
	v_and_b32_e32 v36, 0x7fffff, v16
	v_cmpx_ne_u64_e32 0x7f800000, v[20:21]
	s_xor_b32 s10, exec_lo, s7
	s_cbranch_execz .LBB4_8318
; %bb.8301:                             ;   in Loop: Header=BB4_8282 Depth=2
	v_dual_mov_b32 v21, v37 :: v_dual_lshrrev_b32 v2, 24, v16
	v_and_b32_e32 v20, 0x7fffffff, v16
                                        ; implicit-def: $vgpr56
	s_mov_b32 s7, exec_lo
	s_delay_alu instid0(VALU_DEP_2) | instskip(NEXT) | instid1(VALU_DEP_2)
	v_and_b32_e32 v2, 0x80, v2
	v_cmpx_gt_u64_e32 0x47600001, v[20:21]
	s_xor_b32 s11, exec_lo, s7
	s_cbranch_execz .LBB4_8315
; %bb.8302:                             ;   in Loop: Header=BB4_8282 Depth=2
	v_mov_b32_e32 v56, 0
	s_mov_b32 s29, exec_lo
	v_cmpx_ne_u32_e32 0, v16
	s_cbranch_execz .LBB4_8314
; %bb.8303:                             ;   in Loop: Header=BB4_8282 Depth=2
	v_bfe_u32 v20, v16, 23, 8
	v_or_b32_e32 v24, 0x800000, v36
	s_delay_alu instid0(VALU_DEP_2) | instskip(SKIP_1) | instid1(VALU_DEP_2)
	v_dual_mov_b32 v25, v37 :: v_dual_sub_nc_u32 v16, 0x71, v20
	v_cmp_gt_u32_e32 vcc_lo, 0x72, v20
	v_cndmask_b32_e32 v16, 0, v16, vcc_lo
	v_cmp_eq_u32_e32 vcc_lo, 0, v20
	s_delay_alu instid0(VALU_DEP_2) | instskip(NEXT) | instid1(VALU_DEP_1)
	v_cndmask_b32_e64 v21, v16, 0x70, vcc_lo
	v_dual_cndmask_b32 v24, v24, v36, vcc_lo :: v_dual_add_nc_u32 v16, 21, v21
	v_add_nc_u32_e32 v31, 20, v21
	s_delay_alu instid0(VALU_DEP_2) | instskip(NEXT) | instid1(VALU_DEP_2)
	v_lshlrev_b64_e64 v[16:17], v16, -1
	v_lshlrev_b64_e64 v[68:69], v31, 1
	s_delay_alu instid0(VALU_DEP_2) | instskip(NEXT) | instid1(VALU_DEP_3)
	v_bfi_b32 v71, v17, 0, 0
	v_bfi_b32 v70, v16, 0, v24
	v_lshrrev_b64 v[16:17], v21, v[24:25]
	s_delay_alu instid0(VALU_DEP_2) | instskip(NEXT) | instid1(VALU_DEP_2)
	v_cmp_eq_u64_e64 s7, v[70:71], v[68:69]
	v_mov_b64_e32 v[68:69], v[16:17]
	s_and_saveexec_b32 s40, s7
; %bb.8304:                             ;   in Loop: Header=BB4_8282 Depth=2
	v_bfe_u32 v24, v16, 21, 1
	v_mov_b32_e32 v25, v37
	s_delay_alu instid0(VALU_DEP_1) | instskip(NEXT) | instid1(VALU_DEP_1)
	v_add_nc_u64_e32 v[24:25], v[16:17], v[24:25]
	v_add_nc_u64_e32 v[68:69], -1, v[24:25]
; %bb.8305:                             ;   in Loop: Header=BB4_8282 Depth=2
	s_or_b32 exec_lo, exec_lo, s40
	v_add_nc_u32_e32 v17, 0xffffff81, v20
	v_lshrrev_b32_e32 v20, 23, v16
	s_mov_b32 s7, exec_lo
	s_delay_alu instid0(VALU_DEP_2) | instskip(NEXT) | instid1(VALU_DEP_1)
	v_cndmask_b32_e64 v17, v17, 0xffffff82, vcc_lo
	v_add3_u32 v21, v21, v17, v20
	v_and_b32_e32 v17, 0x1fffff, v68
                                        ; implicit-def: $vgpr20
	s_delay_alu instid0(VALU_DEP_1) | instskip(NEXT) | instid1(VALU_DEP_1)
	v_dual_add_nc_u32 v68, 14, v21 :: v_dual_add_nc_u32 v36, v17, v16
                                        ; implicit-def: $vgpr16_vgpr17
	v_cmpx_ne_u32_e32 0, v68
	s_xor_b32 s7, exec_lo, s7
; %bb.8306:                             ;   in Loop: Header=BB4_8282 Depth=2
	s_delay_alu instid0(VALU_DEP_2) | instskip(SKIP_1) | instid1(VALU_DEP_1)
	v_cmp_lt_u64_e32 vcc_lo, 0xffffff, v[36:37]
	v_add_nc_u32_e32 v16, 15, v21
	v_cndmask_b32_e32 v20, v68, v16, vcc_lo
	v_cndmask_b32_e64 v16, 0, 1, vcc_lo
	s_delay_alu instid0(VALU_DEP_1)
	v_lshrrev_b64 v[16:17], v16, v[36:37]
; %bb.8307:                             ;   in Loop: Header=BB4_8282 Depth=2
	s_and_not1_saveexec_b32 s7, s7
; %bb.8308:                             ;   in Loop: Header=BB4_8282 Depth=2
	v_mov_b64_e32 v[16:17], v[36:37]
	v_bfe_u32 v20, v36, 23, 1
; %bb.8309:                             ;   in Loop: Header=BB4_8282 Depth=2
	s_or_b32 exec_lo, exec_lo, s7
	s_delay_alu instid0(VALU_DEP_2) | instskip(NEXT) | instid1(VALU_DEP_2)
	v_lshrrev_b64 v[16:17], 21, v[16:17]
	v_cmp_gt_i32_e32 vcc_lo, 32, v20
	v_cmp_ne_u32_e64 s7, 0, v20
                                        ; implicit-def: $vgpr56
	s_delay_alu instid0(VALU_DEP_3) | instskip(NEXT) | instid1(VALU_DEP_1)
	v_dual_cndmask_b32 v17, 0, v17 :: v_dual_cndmask_b32 v16, 3, v16
	v_cmp_ne_u64_e32 vcc_lo, 0, v[16:17]
	s_or_b32 s7, s7, vcc_lo
	s_delay_alu instid0(SALU_CYCLE_1) | instskip(NEXT) | instid1(SALU_CYCLE_1)
	s_and_saveexec_b32 s40, s7
	s_xor_b32 s7, exec_lo, s40
; %bb.8310:                             ;   in Loop: Header=BB4_8282 Depth=2
	v_min_i32_e32 v17, 31, v20
	s_delay_alu instid0(VALU_DEP_1) | instskip(NEXT) | instid1(VALU_DEP_1)
	v_lshl_or_b32 v2, v17, 2, v2
	v_and_or_b32 v56, v16, 3, v2
                                        ; implicit-def: $vgpr2
; %bb.8311:                             ;   in Loop: Header=BB4_8282 Depth=2
	s_and_not1_saveexec_b32 s7, s7
; %bb.8312:                             ;   in Loop: Header=BB4_8282 Depth=2
	v_mov_b32_e32 v56, v2
; %bb.8313:                             ;   in Loop: Header=BB4_8282 Depth=2
	s_or_b32 exec_lo, exec_lo, s7
.LBB4_8314:                             ;   in Loop: Header=BB4_8282 Depth=2
	s_delay_alu instid0(SALU_CYCLE_1)
	s_or_b32 exec_lo, exec_lo, s29
                                        ; implicit-def: $vgpr2
.LBB4_8315:                             ;   in Loop: Header=BB4_8282 Depth=2
	s_and_not1_saveexec_b32 s7, s11
; %bb.8316:                             ;   in Loop: Header=BB4_8282 Depth=2
	v_or_b32_e32 v56, 0x7b, v2
; %bb.8317:                             ;   in Loop: Header=BB4_8282 Depth=2
	s_or_b32 exec_lo, exec_lo, s7
                                        ; implicit-def: $vgpr16
.LBB4_8318:                             ;   in Loop: Header=BB4_8282 Depth=2
	s_and_not1_saveexec_b32 s7, s10
	s_cbranch_execz .LBB4_8324
; %bb.8319:                             ;   in Loop: Header=BB4_8282 Depth=2
	s_mov_b32 s10, exec_lo
                                        ; implicit-def: $vgpr56
	v_cmpx_ne_u64_e32 0, v[36:37]
	s_xor_b32 s10, exec_lo, s10
; %bb.8320:                             ;   in Loop: Header=BB4_8282 Depth=2
	v_lshrrev_b32_e32 v2, 24, v16
                                        ; implicit-def: $vgpr16
	s_delay_alu instid0(VALU_DEP_1)
	v_or_b32_e32 v56, 0x7f, v2
; %bb.8321:                             ;   in Loop: Header=BB4_8282 Depth=2
	s_and_not1_saveexec_b32 s10, s10
; %bb.8322:                             ;   in Loop: Header=BB4_8282 Depth=2
	v_cmp_lt_i32_e32 vcc_lo, -1, v16
	v_cndmask_b32_e64 v56, -4, 0x7c, vcc_lo
; %bb.8323:                             ;   in Loop: Header=BB4_8282 Depth=2
	s_or_b32 exec_lo, exec_lo, s10
.LBB4_8324:                             ;   in Loop: Header=BB4_8282 Depth=2
	s_delay_alu instid0(SALU_CYCLE_1)
	s_or_b32 exec_lo, exec_lo, s7
	flat_load_i8 v16, v[10:11] offset:32 th:TH_LOAD_NT
	v_mov_b32_e32 v17, 0
	s_mov_b32 s7, exec_lo
	s_wait_loadcnt_dscnt 0x0
	v_cmpx_ne_u16_e32 0, v16
	s_cbranch_execz .LBB4_8334
; %bb.8325:                             ;   in Loop: Header=BB4_8282 Depth=2
	v_bfrev_b32_e32 v17, 1
	s_mov_b32 s10, exec_lo
	v_cmpx_ne_u16_e32 0xff80, v16
	s_cbranch_execz .LBB4_8333
; %bb.8326:                             ;   in Loop: Header=BB4_8282 Depth=2
	v_and_b32_e32 v17, 0x7c, v16
	v_and_b32_e32 v2, 3, v16
	s_delay_alu instid0(VALU_DEP_2) | instskip(SKIP_1) | instid1(SALU_CYCLE_1)
	v_cmp_ne_u32_e32 vcc_lo, 0x7c, v17
                                        ; implicit-def: $vgpr17
	s_and_saveexec_b32 s11, vcc_lo
	s_xor_b32 s11, exec_lo, s11
	s_cbranch_execz .LBB4_8330
; %bb.8327:                             ;   in Loop: Header=BB4_8282 Depth=2
	v_and_b32_e32 v17, 0xff, v16
	s_mov_b32 s29, exec_lo
	s_delay_alu instid0(VALU_DEP_1) | instskip(NEXT) | instid1(VALU_DEP_1)
	v_bfe_u32 v17, v17, 2, 5
	v_cmpx_eq_u32_e32 0, v17
; %bb.8328:                             ;   in Loop: Header=BB4_8282 Depth=2
	v_clz_i32_u32_e32 v2, v2
	v_mov_b32_e32 v17, v37
	s_delay_alu instid0(VALU_DEP_2) | instskip(NEXT) | instid1(VALU_DEP_1)
	v_min_u32_e32 v2, 32, v2
	v_subrev_nc_u32_e32 v20, 29, v2
	s_delay_alu instid0(VALU_DEP_1) | instskip(NEXT) | instid1(VALU_DEP_1)
	v_lshlrev_b64_e32 v[20:21], v20, v[16:17]
	v_dual_sub_nc_u32 v17, 30, v2 :: v_dual_bitop2_b32 v2, 3, v20 bitop3:0x40
; %bb.8329:                             ;   in Loop: Header=BB4_8282 Depth=2
	s_or_b32 exec_lo, exec_lo, s29
	v_bfe_i32 v16, v16, 0, 16
	s_delay_alu instid0(VALU_DEP_1) | instskip(NEXT) | instid1(VALU_DEP_1)
	v_and_b32_e32 v16, 0x80000000, v16
	v_lshl_add_u32 v16, v17, 23, v16
	s_delay_alu instid0(VALU_DEP_1) | instskip(NEXT) | instid1(VALU_DEP_1)
	v_lshl_or_b32 v2, v2, 21, v16
                                        ; implicit-def: $vgpr16
	v_add_nc_u32_e32 v17, 0x38000000, v2
                                        ; implicit-def: $vgpr2
.LBB4_8330:                             ;   in Loop: Header=BB4_8282 Depth=2
	s_and_not1_saveexec_b32 s11, s11
; %bb.8331:                             ;   in Loop: Header=BB4_8282 Depth=2
	v_cmp_lt_i16_e32 vcc_lo, -1, v16
	v_cndmask_b32_e32 v16, 0xff800000, v109, vcc_lo
	v_cmp_eq_u32_e32 vcc_lo, 0, v2
	s_delay_alu instid0(VALU_DEP_2)
	v_cndmask_b32_e32 v17, 0x7f800001, v16, vcc_lo
; %bb.8332:                             ;   in Loop: Header=BB4_8282 Depth=2
	s_or_b32 exec_lo, exec_lo, s11
.LBB4_8333:                             ;   in Loop: Header=BB4_8282 Depth=2
	s_delay_alu instid0(SALU_CYCLE_1)
	s_or_b32 exec_lo, exec_lo, s10
.LBB4_8334:                             ;   in Loop: Header=BB4_8282 Depth=2
	s_delay_alu instid0(SALU_CYCLE_1) | instskip(NEXT) | instid1(VALU_DEP_1)
	s_or_b32 exec_lo, exec_lo, s7
	v_dual_mul_f32 v16, s28, v17 :: v_dual_mov_b32 v21, v37
                                        ; implicit-def: $vgpr44
	s_mov_b32 s7, exec_lo
	s_delay_alu instid0(VALU_DEP_1) | instskip(SKIP_1) | instid1(VALU_DEP_2)
	v_and_b32_e32 v20, 0x7f800000, v16
	v_and_b32_e32 v36, 0x7fffff, v16
	v_cmpx_ne_u64_e32 0x7f800000, v[20:21]
	s_xor_b32 s10, exec_lo, s7
	s_cbranch_execz .LBB4_8352
; %bb.8335:                             ;   in Loop: Header=BB4_8282 Depth=2
	v_dual_mov_b32 v21, v37 :: v_dual_lshrrev_b32 v2, 24, v16
	v_and_b32_e32 v20, 0x7fffffff, v16
                                        ; implicit-def: $vgpr44
	s_mov_b32 s7, exec_lo
	s_delay_alu instid0(VALU_DEP_2) | instskip(NEXT) | instid1(VALU_DEP_2)
	v_and_b32_e32 v2, 0x80, v2
	v_cmpx_gt_u64_e32 0x47600001, v[20:21]
	s_xor_b32 s11, exec_lo, s7
	s_cbranch_execz .LBB4_8349
; %bb.8336:                             ;   in Loop: Header=BB4_8282 Depth=2
	v_mov_b32_e32 v44, 0
	s_mov_b32 s29, exec_lo
	v_cmpx_ne_u32_e32 0, v16
	s_cbranch_execz .LBB4_8348
; %bb.8337:                             ;   in Loop: Header=BB4_8282 Depth=2
	v_bfe_u32 v20, v16, 23, 8
	v_or_b32_e32 v24, 0x800000, v36
	s_delay_alu instid0(VALU_DEP_2) | instskip(SKIP_1) | instid1(VALU_DEP_2)
	v_dual_mov_b32 v25, v37 :: v_dual_sub_nc_u32 v16, 0x71, v20
	v_cmp_gt_u32_e32 vcc_lo, 0x72, v20
	v_cndmask_b32_e32 v16, 0, v16, vcc_lo
	v_cmp_eq_u32_e32 vcc_lo, 0, v20
	s_delay_alu instid0(VALU_DEP_2) | instskip(NEXT) | instid1(VALU_DEP_1)
	v_cndmask_b32_e64 v21, v16, 0x70, vcc_lo
	v_dual_cndmask_b32 v24, v24, v36, vcc_lo :: v_dual_add_nc_u32 v16, 21, v21
	v_add_nc_u32_e32 v31, 20, v21
	s_delay_alu instid0(VALU_DEP_2) | instskip(NEXT) | instid1(VALU_DEP_2)
	v_lshlrev_b64_e64 v[16:17], v16, -1
	v_lshlrev_b64_e64 v[68:69], v31, 1
	s_delay_alu instid0(VALU_DEP_2) | instskip(NEXT) | instid1(VALU_DEP_3)
	v_bfi_b32 v71, v17, 0, 0
	v_bfi_b32 v70, v16, 0, v24
	v_lshrrev_b64 v[16:17], v21, v[24:25]
	s_delay_alu instid0(VALU_DEP_2) | instskip(NEXT) | instid1(VALU_DEP_2)
	v_cmp_eq_u64_e64 s7, v[70:71], v[68:69]
	v_mov_b64_e32 v[68:69], v[16:17]
	s_and_saveexec_b32 s40, s7
; %bb.8338:                             ;   in Loop: Header=BB4_8282 Depth=2
	v_bfe_u32 v24, v16, 21, 1
	v_mov_b32_e32 v25, v37
	s_delay_alu instid0(VALU_DEP_1) | instskip(NEXT) | instid1(VALU_DEP_1)
	v_add_nc_u64_e32 v[24:25], v[16:17], v[24:25]
	v_add_nc_u64_e32 v[68:69], -1, v[24:25]
; %bb.8339:                             ;   in Loop: Header=BB4_8282 Depth=2
	s_or_b32 exec_lo, exec_lo, s40
	v_add_nc_u32_e32 v17, 0xffffff81, v20
	v_lshrrev_b32_e32 v20, 23, v16
	s_mov_b32 s7, exec_lo
	s_delay_alu instid0(VALU_DEP_2) | instskip(NEXT) | instid1(VALU_DEP_1)
	v_cndmask_b32_e64 v17, v17, 0xffffff82, vcc_lo
	v_add3_u32 v21, v21, v17, v20
	v_and_b32_e32 v17, 0x1fffff, v68
                                        ; implicit-def: $vgpr20
	s_delay_alu instid0(VALU_DEP_1) | instskip(NEXT) | instid1(VALU_DEP_1)
	v_dual_add_nc_u32 v68, 14, v21 :: v_dual_add_nc_u32 v36, v17, v16
                                        ; implicit-def: $vgpr16_vgpr17
	v_cmpx_ne_u32_e32 0, v68
	s_xor_b32 s7, exec_lo, s7
; %bb.8340:                             ;   in Loop: Header=BB4_8282 Depth=2
	s_delay_alu instid0(VALU_DEP_2) | instskip(SKIP_1) | instid1(VALU_DEP_1)
	v_cmp_lt_u64_e32 vcc_lo, 0xffffff, v[36:37]
	v_add_nc_u32_e32 v16, 15, v21
	v_cndmask_b32_e32 v20, v68, v16, vcc_lo
	v_cndmask_b32_e64 v16, 0, 1, vcc_lo
	s_delay_alu instid0(VALU_DEP_1)
	v_lshrrev_b64 v[16:17], v16, v[36:37]
; %bb.8341:                             ;   in Loop: Header=BB4_8282 Depth=2
	s_and_not1_saveexec_b32 s7, s7
; %bb.8342:                             ;   in Loop: Header=BB4_8282 Depth=2
	v_mov_b64_e32 v[16:17], v[36:37]
	v_bfe_u32 v20, v36, 23, 1
; %bb.8343:                             ;   in Loop: Header=BB4_8282 Depth=2
	s_or_b32 exec_lo, exec_lo, s7
	s_delay_alu instid0(VALU_DEP_2) | instskip(NEXT) | instid1(VALU_DEP_2)
	v_lshrrev_b64 v[16:17], 21, v[16:17]
	v_cmp_gt_i32_e32 vcc_lo, 32, v20
	v_cmp_ne_u32_e64 s7, 0, v20
                                        ; implicit-def: $vgpr44
	s_delay_alu instid0(VALU_DEP_3) | instskip(NEXT) | instid1(VALU_DEP_1)
	v_dual_cndmask_b32 v17, 0, v17 :: v_dual_cndmask_b32 v16, 3, v16
	v_cmp_ne_u64_e32 vcc_lo, 0, v[16:17]
	s_or_b32 s7, s7, vcc_lo
	s_delay_alu instid0(SALU_CYCLE_1) | instskip(NEXT) | instid1(SALU_CYCLE_1)
	s_and_saveexec_b32 s40, s7
	s_xor_b32 s7, exec_lo, s40
; %bb.8344:                             ;   in Loop: Header=BB4_8282 Depth=2
	v_min_i32_e32 v17, 31, v20
	s_delay_alu instid0(VALU_DEP_1) | instskip(NEXT) | instid1(VALU_DEP_1)
	v_lshl_or_b32 v2, v17, 2, v2
	v_and_or_b32 v44, v16, 3, v2
                                        ; implicit-def: $vgpr2
; %bb.8345:                             ;   in Loop: Header=BB4_8282 Depth=2
	s_and_not1_saveexec_b32 s7, s7
; %bb.8346:                             ;   in Loop: Header=BB4_8282 Depth=2
	v_mov_b32_e32 v44, v2
; %bb.8347:                             ;   in Loop: Header=BB4_8282 Depth=2
	s_or_b32 exec_lo, exec_lo, s7
.LBB4_8348:                             ;   in Loop: Header=BB4_8282 Depth=2
	s_delay_alu instid0(SALU_CYCLE_1)
	s_or_b32 exec_lo, exec_lo, s29
                                        ; implicit-def: $vgpr2
.LBB4_8349:                             ;   in Loop: Header=BB4_8282 Depth=2
	s_and_not1_saveexec_b32 s7, s11
; %bb.8350:                             ;   in Loop: Header=BB4_8282 Depth=2
	v_or_b32_e32 v44, 0x7b, v2
; %bb.8351:                             ;   in Loop: Header=BB4_8282 Depth=2
	s_or_b32 exec_lo, exec_lo, s7
                                        ; implicit-def: $vgpr16
.LBB4_8352:                             ;   in Loop: Header=BB4_8282 Depth=2
	s_and_not1_saveexec_b32 s7, s10
	s_cbranch_execz .LBB4_8358
; %bb.8353:                             ;   in Loop: Header=BB4_8282 Depth=2
	s_mov_b32 s10, exec_lo
                                        ; implicit-def: $vgpr44
	v_cmpx_ne_u64_e32 0, v[36:37]
	s_xor_b32 s10, exec_lo, s10
; %bb.8354:                             ;   in Loop: Header=BB4_8282 Depth=2
	v_lshrrev_b32_e32 v2, 24, v16
                                        ; implicit-def: $vgpr16
	s_delay_alu instid0(VALU_DEP_1)
	v_or_b32_e32 v44, 0x7f, v2
; %bb.8355:                             ;   in Loop: Header=BB4_8282 Depth=2
	s_and_not1_saveexec_b32 s10, s10
; %bb.8356:                             ;   in Loop: Header=BB4_8282 Depth=2
	v_cmp_lt_i32_e32 vcc_lo, -1, v16
	v_cndmask_b32_e64 v44, -4, 0x7c, vcc_lo
; %bb.8357:                             ;   in Loop: Header=BB4_8282 Depth=2
	s_or_b32 exec_lo, exec_lo, s10
.LBB4_8358:                             ;   in Loop: Header=BB4_8282 Depth=2
	s_delay_alu instid0(SALU_CYCLE_1)
	s_or_b32 exec_lo, exec_lo, s7
	flat_load_i8 v16, v[10:11] offset:64 th:TH_LOAD_NT
	v_mov_b32_e32 v17, 0
	s_mov_b32 s7, exec_lo
	s_wait_loadcnt_dscnt 0x0
	v_cmpx_ne_u16_e32 0, v16
	s_cbranch_execz .LBB4_8368
; %bb.8359:                             ;   in Loop: Header=BB4_8282 Depth=2
	v_bfrev_b32_e32 v17, 1
	s_mov_b32 s10, exec_lo
	v_cmpx_ne_u16_e32 0xff80, v16
	s_cbranch_execz .LBB4_8367
; %bb.8360:                             ;   in Loop: Header=BB4_8282 Depth=2
	v_and_b32_e32 v17, 0x7c, v16
	v_and_b32_e32 v2, 3, v16
	s_delay_alu instid0(VALU_DEP_2) | instskip(SKIP_1) | instid1(SALU_CYCLE_1)
	v_cmp_ne_u32_e32 vcc_lo, 0x7c, v17
                                        ; implicit-def: $vgpr17
	s_and_saveexec_b32 s11, vcc_lo
	s_xor_b32 s11, exec_lo, s11
	s_cbranch_execz .LBB4_8364
; %bb.8361:                             ;   in Loop: Header=BB4_8282 Depth=2
	v_and_b32_e32 v17, 0xff, v16
	s_mov_b32 s29, exec_lo
	s_delay_alu instid0(VALU_DEP_1) | instskip(NEXT) | instid1(VALU_DEP_1)
	v_bfe_u32 v17, v17, 2, 5
	v_cmpx_eq_u32_e32 0, v17
; %bb.8362:                             ;   in Loop: Header=BB4_8282 Depth=2
	v_clz_i32_u32_e32 v2, v2
	v_mov_b32_e32 v17, v37
	s_delay_alu instid0(VALU_DEP_2) | instskip(NEXT) | instid1(VALU_DEP_1)
	v_min_u32_e32 v2, 32, v2
	v_subrev_nc_u32_e32 v20, 29, v2
	s_delay_alu instid0(VALU_DEP_1) | instskip(NEXT) | instid1(VALU_DEP_1)
	v_lshlrev_b64_e32 v[20:21], v20, v[16:17]
	v_dual_sub_nc_u32 v17, 30, v2 :: v_dual_bitop2_b32 v2, 3, v20 bitop3:0x40
; %bb.8363:                             ;   in Loop: Header=BB4_8282 Depth=2
	s_or_b32 exec_lo, exec_lo, s29
	v_bfe_i32 v16, v16, 0, 16
	s_delay_alu instid0(VALU_DEP_1) | instskip(NEXT) | instid1(VALU_DEP_1)
	v_and_b32_e32 v16, 0x80000000, v16
	v_lshl_add_u32 v16, v17, 23, v16
	s_delay_alu instid0(VALU_DEP_1) | instskip(NEXT) | instid1(VALU_DEP_1)
	v_lshl_or_b32 v2, v2, 21, v16
                                        ; implicit-def: $vgpr16
	v_add_nc_u32_e32 v17, 0x38000000, v2
                                        ; implicit-def: $vgpr2
.LBB4_8364:                             ;   in Loop: Header=BB4_8282 Depth=2
	s_and_not1_saveexec_b32 s11, s11
; %bb.8365:                             ;   in Loop: Header=BB4_8282 Depth=2
	v_cmp_lt_i16_e32 vcc_lo, -1, v16
	v_cndmask_b32_e32 v16, 0xff800000, v109, vcc_lo
	v_cmp_eq_u32_e32 vcc_lo, 0, v2
	s_delay_alu instid0(VALU_DEP_2)
	v_cndmask_b32_e32 v17, 0x7f800001, v16, vcc_lo
; %bb.8366:                             ;   in Loop: Header=BB4_8282 Depth=2
	s_or_b32 exec_lo, exec_lo, s11
.LBB4_8367:                             ;   in Loop: Header=BB4_8282 Depth=2
	s_delay_alu instid0(SALU_CYCLE_1)
	s_or_b32 exec_lo, exec_lo, s10
.LBB4_8368:                             ;   in Loop: Header=BB4_8282 Depth=2
	s_delay_alu instid0(SALU_CYCLE_1) | instskip(NEXT) | instid1(VALU_DEP_1)
	s_or_b32 exec_lo, exec_lo, s7
	v_dual_mul_f32 v16, s28, v17 :: v_dual_mov_b32 v21, v37
                                        ; implicit-def: $vgpr42
	s_mov_b32 s7, exec_lo
	s_delay_alu instid0(VALU_DEP_1) | instskip(SKIP_1) | instid1(VALU_DEP_2)
	v_and_b32_e32 v20, 0x7f800000, v16
	v_and_b32_e32 v36, 0x7fffff, v16
	v_cmpx_ne_u64_e32 0x7f800000, v[20:21]
	s_xor_b32 s10, exec_lo, s7
	s_cbranch_execz .LBB4_8386
; %bb.8369:                             ;   in Loop: Header=BB4_8282 Depth=2
	v_dual_mov_b32 v21, v37 :: v_dual_lshrrev_b32 v2, 24, v16
	v_and_b32_e32 v20, 0x7fffffff, v16
                                        ; implicit-def: $vgpr42
	s_mov_b32 s7, exec_lo
	s_delay_alu instid0(VALU_DEP_2) | instskip(NEXT) | instid1(VALU_DEP_2)
	v_and_b32_e32 v2, 0x80, v2
	v_cmpx_gt_u64_e32 0x47600001, v[20:21]
	s_xor_b32 s11, exec_lo, s7
	s_cbranch_execz .LBB4_8383
; %bb.8370:                             ;   in Loop: Header=BB4_8282 Depth=2
	v_mov_b32_e32 v42, 0
	s_mov_b32 s29, exec_lo
	v_cmpx_ne_u32_e32 0, v16
	s_cbranch_execz .LBB4_8382
; %bb.8371:                             ;   in Loop: Header=BB4_8282 Depth=2
	v_bfe_u32 v20, v16, 23, 8
	v_or_b32_e32 v24, 0x800000, v36
	s_delay_alu instid0(VALU_DEP_2) | instskip(SKIP_1) | instid1(VALU_DEP_2)
	v_dual_mov_b32 v25, v37 :: v_dual_sub_nc_u32 v16, 0x71, v20
	v_cmp_gt_u32_e32 vcc_lo, 0x72, v20
	v_cndmask_b32_e32 v16, 0, v16, vcc_lo
	v_cmp_eq_u32_e32 vcc_lo, 0, v20
	s_delay_alu instid0(VALU_DEP_2) | instskip(NEXT) | instid1(VALU_DEP_1)
	v_cndmask_b32_e64 v21, v16, 0x70, vcc_lo
	v_dual_cndmask_b32 v24, v24, v36, vcc_lo :: v_dual_add_nc_u32 v16, 21, v21
	v_add_nc_u32_e32 v31, 20, v21
	s_delay_alu instid0(VALU_DEP_2) | instskip(NEXT) | instid1(VALU_DEP_2)
	v_lshlrev_b64_e64 v[16:17], v16, -1
	v_lshlrev_b64_e64 v[68:69], v31, 1
	s_delay_alu instid0(VALU_DEP_2) | instskip(NEXT) | instid1(VALU_DEP_3)
	v_bfi_b32 v71, v17, 0, 0
	v_bfi_b32 v70, v16, 0, v24
	v_lshrrev_b64 v[16:17], v21, v[24:25]
	s_delay_alu instid0(VALU_DEP_2) | instskip(NEXT) | instid1(VALU_DEP_2)
	v_cmp_eq_u64_e64 s7, v[70:71], v[68:69]
	v_mov_b64_e32 v[68:69], v[16:17]
	s_and_saveexec_b32 s40, s7
; %bb.8372:                             ;   in Loop: Header=BB4_8282 Depth=2
	v_bfe_u32 v24, v16, 21, 1
	v_mov_b32_e32 v25, v37
	s_delay_alu instid0(VALU_DEP_1) | instskip(NEXT) | instid1(VALU_DEP_1)
	v_add_nc_u64_e32 v[24:25], v[16:17], v[24:25]
	v_add_nc_u64_e32 v[68:69], -1, v[24:25]
; %bb.8373:                             ;   in Loop: Header=BB4_8282 Depth=2
	s_or_b32 exec_lo, exec_lo, s40
	v_add_nc_u32_e32 v17, 0xffffff81, v20
	v_lshrrev_b32_e32 v20, 23, v16
	s_mov_b32 s7, exec_lo
	s_delay_alu instid0(VALU_DEP_2) | instskip(NEXT) | instid1(VALU_DEP_1)
	v_cndmask_b32_e64 v17, v17, 0xffffff82, vcc_lo
	v_add3_u32 v21, v21, v17, v20
	v_and_b32_e32 v17, 0x1fffff, v68
                                        ; implicit-def: $vgpr20
	s_delay_alu instid0(VALU_DEP_1) | instskip(NEXT) | instid1(VALU_DEP_1)
	v_dual_add_nc_u32 v68, 14, v21 :: v_dual_add_nc_u32 v36, v17, v16
                                        ; implicit-def: $vgpr16_vgpr17
	v_cmpx_ne_u32_e32 0, v68
	s_xor_b32 s7, exec_lo, s7
; %bb.8374:                             ;   in Loop: Header=BB4_8282 Depth=2
	s_delay_alu instid0(VALU_DEP_2) | instskip(SKIP_1) | instid1(VALU_DEP_1)
	v_cmp_lt_u64_e32 vcc_lo, 0xffffff, v[36:37]
	v_add_nc_u32_e32 v16, 15, v21
	v_cndmask_b32_e32 v20, v68, v16, vcc_lo
	v_cndmask_b32_e64 v16, 0, 1, vcc_lo
	s_delay_alu instid0(VALU_DEP_1)
	v_lshrrev_b64 v[16:17], v16, v[36:37]
; %bb.8375:                             ;   in Loop: Header=BB4_8282 Depth=2
	s_and_not1_saveexec_b32 s7, s7
; %bb.8376:                             ;   in Loop: Header=BB4_8282 Depth=2
	v_mov_b64_e32 v[16:17], v[36:37]
	v_bfe_u32 v20, v36, 23, 1
; %bb.8377:                             ;   in Loop: Header=BB4_8282 Depth=2
	s_or_b32 exec_lo, exec_lo, s7
	s_delay_alu instid0(VALU_DEP_2) | instskip(NEXT) | instid1(VALU_DEP_2)
	v_lshrrev_b64 v[16:17], 21, v[16:17]
	v_cmp_gt_i32_e32 vcc_lo, 32, v20
	v_cmp_ne_u32_e64 s7, 0, v20
                                        ; implicit-def: $vgpr42
	s_delay_alu instid0(VALU_DEP_3) | instskip(NEXT) | instid1(VALU_DEP_1)
	v_dual_cndmask_b32 v17, 0, v17 :: v_dual_cndmask_b32 v16, 3, v16
	v_cmp_ne_u64_e32 vcc_lo, 0, v[16:17]
	s_or_b32 s7, s7, vcc_lo
	s_delay_alu instid0(SALU_CYCLE_1) | instskip(NEXT) | instid1(SALU_CYCLE_1)
	s_and_saveexec_b32 s40, s7
	s_xor_b32 s7, exec_lo, s40
; %bb.8378:                             ;   in Loop: Header=BB4_8282 Depth=2
	v_min_i32_e32 v17, 31, v20
	s_delay_alu instid0(VALU_DEP_1) | instskip(NEXT) | instid1(VALU_DEP_1)
	v_lshl_or_b32 v2, v17, 2, v2
	v_and_or_b32 v42, v16, 3, v2
                                        ; implicit-def: $vgpr2
; %bb.8379:                             ;   in Loop: Header=BB4_8282 Depth=2
	s_and_not1_saveexec_b32 s7, s7
; %bb.8380:                             ;   in Loop: Header=BB4_8282 Depth=2
	v_mov_b32_e32 v42, v2
; %bb.8381:                             ;   in Loop: Header=BB4_8282 Depth=2
	s_or_b32 exec_lo, exec_lo, s7
.LBB4_8382:                             ;   in Loop: Header=BB4_8282 Depth=2
	s_delay_alu instid0(SALU_CYCLE_1)
	s_or_b32 exec_lo, exec_lo, s29
                                        ; implicit-def: $vgpr2
.LBB4_8383:                             ;   in Loop: Header=BB4_8282 Depth=2
	s_and_not1_saveexec_b32 s7, s11
; %bb.8384:                             ;   in Loop: Header=BB4_8282 Depth=2
	v_or_b32_e32 v42, 0x7b, v2
; %bb.8385:                             ;   in Loop: Header=BB4_8282 Depth=2
	s_or_b32 exec_lo, exec_lo, s7
                                        ; implicit-def: $vgpr16
.LBB4_8386:                             ;   in Loop: Header=BB4_8282 Depth=2
	s_and_not1_saveexec_b32 s7, s10
	s_cbranch_execz .LBB4_8392
; %bb.8387:                             ;   in Loop: Header=BB4_8282 Depth=2
	s_mov_b32 s10, exec_lo
                                        ; implicit-def: $vgpr42
	v_cmpx_ne_u64_e32 0, v[36:37]
	s_xor_b32 s10, exec_lo, s10
; %bb.8388:                             ;   in Loop: Header=BB4_8282 Depth=2
	v_lshrrev_b32_e32 v2, 24, v16
                                        ; implicit-def: $vgpr16
	s_delay_alu instid0(VALU_DEP_1)
	v_or_b32_e32 v42, 0x7f, v2
; %bb.8389:                             ;   in Loop: Header=BB4_8282 Depth=2
	s_and_not1_saveexec_b32 s10, s10
; %bb.8390:                             ;   in Loop: Header=BB4_8282 Depth=2
	v_cmp_lt_i32_e32 vcc_lo, -1, v16
	v_cndmask_b32_e64 v42, -4, 0x7c, vcc_lo
; %bb.8391:                             ;   in Loop: Header=BB4_8282 Depth=2
	s_or_b32 exec_lo, exec_lo, s10
.LBB4_8392:                             ;   in Loop: Header=BB4_8282 Depth=2
	s_delay_alu instid0(SALU_CYCLE_1)
	s_or_b32 exec_lo, exec_lo, s7
	flat_load_i8 v16, v[10:11] offset:96 th:TH_LOAD_NT
	v_mov_b32_e32 v17, 0
	s_mov_b32 s7, exec_lo
	s_wait_loadcnt_dscnt 0x0
	v_cmpx_ne_u16_e32 0, v16
	s_cbranch_execz .LBB4_8402
; %bb.8393:                             ;   in Loop: Header=BB4_8282 Depth=2
	v_bfrev_b32_e32 v17, 1
	s_mov_b32 s10, exec_lo
	v_cmpx_ne_u16_e32 0xff80, v16
	s_cbranch_execz .LBB4_8401
; %bb.8394:                             ;   in Loop: Header=BB4_8282 Depth=2
	v_and_b32_e32 v17, 0x7c, v16
	v_and_b32_e32 v2, 3, v16
	s_delay_alu instid0(VALU_DEP_2) | instskip(SKIP_1) | instid1(SALU_CYCLE_1)
	v_cmp_ne_u32_e32 vcc_lo, 0x7c, v17
                                        ; implicit-def: $vgpr17
	s_and_saveexec_b32 s11, vcc_lo
	s_xor_b32 s11, exec_lo, s11
	s_cbranch_execz .LBB4_8398
; %bb.8395:                             ;   in Loop: Header=BB4_8282 Depth=2
	v_and_b32_e32 v17, 0xff, v16
	s_mov_b32 s29, exec_lo
	s_delay_alu instid0(VALU_DEP_1) | instskip(NEXT) | instid1(VALU_DEP_1)
	v_bfe_u32 v17, v17, 2, 5
	v_cmpx_eq_u32_e32 0, v17
; %bb.8396:                             ;   in Loop: Header=BB4_8282 Depth=2
	v_clz_i32_u32_e32 v2, v2
	v_mov_b32_e32 v17, v37
	s_delay_alu instid0(VALU_DEP_2) | instskip(NEXT) | instid1(VALU_DEP_1)
	v_min_u32_e32 v2, 32, v2
	v_subrev_nc_u32_e32 v20, 29, v2
	s_delay_alu instid0(VALU_DEP_1) | instskip(NEXT) | instid1(VALU_DEP_1)
	v_lshlrev_b64_e32 v[20:21], v20, v[16:17]
	v_dual_sub_nc_u32 v17, 30, v2 :: v_dual_bitop2_b32 v2, 3, v20 bitop3:0x40
; %bb.8397:                             ;   in Loop: Header=BB4_8282 Depth=2
	s_or_b32 exec_lo, exec_lo, s29
	v_bfe_i32 v16, v16, 0, 16
	s_delay_alu instid0(VALU_DEP_1) | instskip(NEXT) | instid1(VALU_DEP_1)
	v_and_b32_e32 v16, 0x80000000, v16
	v_lshl_add_u32 v16, v17, 23, v16
	s_delay_alu instid0(VALU_DEP_1) | instskip(NEXT) | instid1(VALU_DEP_1)
	v_lshl_or_b32 v2, v2, 21, v16
                                        ; implicit-def: $vgpr16
	v_add_nc_u32_e32 v17, 0x38000000, v2
                                        ; implicit-def: $vgpr2
.LBB4_8398:                             ;   in Loop: Header=BB4_8282 Depth=2
	s_and_not1_saveexec_b32 s11, s11
; %bb.8399:                             ;   in Loop: Header=BB4_8282 Depth=2
	v_cmp_lt_i16_e32 vcc_lo, -1, v16
	v_cndmask_b32_e32 v16, 0xff800000, v109, vcc_lo
	v_cmp_eq_u32_e32 vcc_lo, 0, v2
	s_delay_alu instid0(VALU_DEP_2)
	v_cndmask_b32_e32 v17, 0x7f800001, v16, vcc_lo
; %bb.8400:                             ;   in Loop: Header=BB4_8282 Depth=2
	s_or_b32 exec_lo, exec_lo, s11
.LBB4_8401:                             ;   in Loop: Header=BB4_8282 Depth=2
	s_delay_alu instid0(SALU_CYCLE_1)
	s_or_b32 exec_lo, exec_lo, s10
.LBB4_8402:                             ;   in Loop: Header=BB4_8282 Depth=2
	s_delay_alu instid0(SALU_CYCLE_1) | instskip(NEXT) | instid1(VALU_DEP_1)
	s_or_b32 exec_lo, exec_lo, s7
	v_dual_mul_f32 v16, s28, v17 :: v_dual_mov_b32 v21, v37
                                        ; implicit-def: $vgpr40
	s_mov_b32 s7, exec_lo
	s_delay_alu instid0(VALU_DEP_1) | instskip(SKIP_1) | instid1(VALU_DEP_2)
	v_and_b32_e32 v20, 0x7f800000, v16
	v_and_b32_e32 v36, 0x7fffff, v16
	v_cmpx_ne_u64_e32 0x7f800000, v[20:21]
	s_xor_b32 s10, exec_lo, s7
	s_cbranch_execz .LBB4_8420
; %bb.8403:                             ;   in Loop: Header=BB4_8282 Depth=2
	v_dual_mov_b32 v21, v37 :: v_dual_lshrrev_b32 v2, 24, v16
	v_and_b32_e32 v20, 0x7fffffff, v16
                                        ; implicit-def: $vgpr40
	s_mov_b32 s7, exec_lo
	s_delay_alu instid0(VALU_DEP_2) | instskip(NEXT) | instid1(VALU_DEP_2)
	v_and_b32_e32 v2, 0x80, v2
	v_cmpx_gt_u64_e32 0x47600001, v[20:21]
	s_xor_b32 s11, exec_lo, s7
	s_cbranch_execz .LBB4_8417
; %bb.8404:                             ;   in Loop: Header=BB4_8282 Depth=2
	v_mov_b32_e32 v40, 0
	s_mov_b32 s29, exec_lo
	v_cmpx_ne_u32_e32 0, v16
	s_cbranch_execz .LBB4_8416
; %bb.8405:                             ;   in Loop: Header=BB4_8282 Depth=2
	v_bfe_u32 v20, v16, 23, 8
	v_or_b32_e32 v24, 0x800000, v36
	s_delay_alu instid0(VALU_DEP_2) | instskip(SKIP_1) | instid1(VALU_DEP_2)
	v_dual_mov_b32 v25, v37 :: v_dual_sub_nc_u32 v16, 0x71, v20
	v_cmp_gt_u32_e32 vcc_lo, 0x72, v20
	v_cndmask_b32_e32 v16, 0, v16, vcc_lo
	v_cmp_eq_u32_e32 vcc_lo, 0, v20
	s_delay_alu instid0(VALU_DEP_2) | instskip(NEXT) | instid1(VALU_DEP_1)
	v_cndmask_b32_e64 v21, v16, 0x70, vcc_lo
	v_dual_cndmask_b32 v24, v24, v36, vcc_lo :: v_dual_add_nc_u32 v16, 21, v21
	v_add_nc_u32_e32 v31, 20, v21
	s_delay_alu instid0(VALU_DEP_2) | instskip(NEXT) | instid1(VALU_DEP_2)
	v_lshlrev_b64_e64 v[16:17], v16, -1
	v_lshlrev_b64_e64 v[68:69], v31, 1
	s_delay_alu instid0(VALU_DEP_2) | instskip(NEXT) | instid1(VALU_DEP_3)
	v_bfi_b32 v71, v17, 0, 0
	v_bfi_b32 v70, v16, 0, v24
	v_lshrrev_b64 v[16:17], v21, v[24:25]
	s_delay_alu instid0(VALU_DEP_2) | instskip(NEXT) | instid1(VALU_DEP_2)
	v_cmp_eq_u64_e64 s7, v[70:71], v[68:69]
	v_mov_b64_e32 v[68:69], v[16:17]
	s_and_saveexec_b32 s40, s7
; %bb.8406:                             ;   in Loop: Header=BB4_8282 Depth=2
	v_bfe_u32 v24, v16, 21, 1
	v_mov_b32_e32 v25, v37
	s_delay_alu instid0(VALU_DEP_1) | instskip(NEXT) | instid1(VALU_DEP_1)
	v_add_nc_u64_e32 v[24:25], v[16:17], v[24:25]
	v_add_nc_u64_e32 v[68:69], -1, v[24:25]
; %bb.8407:                             ;   in Loop: Header=BB4_8282 Depth=2
	s_or_b32 exec_lo, exec_lo, s40
	v_add_nc_u32_e32 v17, 0xffffff81, v20
	v_lshrrev_b32_e32 v20, 23, v16
	s_mov_b32 s7, exec_lo
	s_delay_alu instid0(VALU_DEP_2) | instskip(NEXT) | instid1(VALU_DEP_1)
	v_cndmask_b32_e64 v17, v17, 0xffffff82, vcc_lo
	v_add3_u32 v21, v21, v17, v20
	v_and_b32_e32 v17, 0x1fffff, v68
                                        ; implicit-def: $vgpr20
	s_delay_alu instid0(VALU_DEP_1) | instskip(NEXT) | instid1(VALU_DEP_1)
	v_dual_add_nc_u32 v68, 14, v21 :: v_dual_add_nc_u32 v36, v17, v16
                                        ; implicit-def: $vgpr16_vgpr17
	v_cmpx_ne_u32_e32 0, v68
	s_xor_b32 s7, exec_lo, s7
; %bb.8408:                             ;   in Loop: Header=BB4_8282 Depth=2
	s_delay_alu instid0(VALU_DEP_2) | instskip(SKIP_1) | instid1(VALU_DEP_1)
	v_cmp_lt_u64_e32 vcc_lo, 0xffffff, v[36:37]
	v_add_nc_u32_e32 v16, 15, v21
	v_cndmask_b32_e32 v20, v68, v16, vcc_lo
	v_cndmask_b32_e64 v16, 0, 1, vcc_lo
	s_delay_alu instid0(VALU_DEP_1)
	v_lshrrev_b64 v[16:17], v16, v[36:37]
; %bb.8409:                             ;   in Loop: Header=BB4_8282 Depth=2
	s_and_not1_saveexec_b32 s7, s7
; %bb.8410:                             ;   in Loop: Header=BB4_8282 Depth=2
	v_mov_b64_e32 v[16:17], v[36:37]
	v_bfe_u32 v20, v36, 23, 1
; %bb.8411:                             ;   in Loop: Header=BB4_8282 Depth=2
	s_or_b32 exec_lo, exec_lo, s7
	s_delay_alu instid0(VALU_DEP_2) | instskip(NEXT) | instid1(VALU_DEP_2)
	v_lshrrev_b64 v[16:17], 21, v[16:17]
	v_cmp_gt_i32_e32 vcc_lo, 32, v20
	v_cmp_ne_u32_e64 s7, 0, v20
                                        ; implicit-def: $vgpr40
	s_delay_alu instid0(VALU_DEP_3) | instskip(NEXT) | instid1(VALU_DEP_1)
	v_dual_cndmask_b32 v17, 0, v17 :: v_dual_cndmask_b32 v16, 3, v16
	v_cmp_ne_u64_e32 vcc_lo, 0, v[16:17]
	s_or_b32 s7, s7, vcc_lo
	s_delay_alu instid0(SALU_CYCLE_1) | instskip(NEXT) | instid1(SALU_CYCLE_1)
	s_and_saveexec_b32 s40, s7
	s_xor_b32 s7, exec_lo, s40
; %bb.8412:                             ;   in Loop: Header=BB4_8282 Depth=2
	v_min_i32_e32 v17, 31, v20
	s_delay_alu instid0(VALU_DEP_1) | instskip(NEXT) | instid1(VALU_DEP_1)
	v_lshl_or_b32 v2, v17, 2, v2
	v_and_or_b32 v40, v16, 3, v2
                                        ; implicit-def: $vgpr2
; %bb.8413:                             ;   in Loop: Header=BB4_8282 Depth=2
	s_and_not1_saveexec_b32 s7, s7
; %bb.8414:                             ;   in Loop: Header=BB4_8282 Depth=2
	v_mov_b32_e32 v40, v2
; %bb.8415:                             ;   in Loop: Header=BB4_8282 Depth=2
	s_or_b32 exec_lo, exec_lo, s7
.LBB4_8416:                             ;   in Loop: Header=BB4_8282 Depth=2
	s_delay_alu instid0(SALU_CYCLE_1)
	s_or_b32 exec_lo, exec_lo, s29
                                        ; implicit-def: $vgpr2
.LBB4_8417:                             ;   in Loop: Header=BB4_8282 Depth=2
	s_and_not1_saveexec_b32 s7, s11
; %bb.8418:                             ;   in Loop: Header=BB4_8282 Depth=2
	v_or_b32_e32 v40, 0x7b, v2
; %bb.8419:                             ;   in Loop: Header=BB4_8282 Depth=2
	s_or_b32 exec_lo, exec_lo, s7
                                        ; implicit-def: $vgpr16
.LBB4_8420:                             ;   in Loop: Header=BB4_8282 Depth=2
	s_and_not1_saveexec_b32 s7, s10
	s_cbranch_execz .LBB4_8426
; %bb.8421:                             ;   in Loop: Header=BB4_8282 Depth=2
	s_mov_b32 s10, exec_lo
                                        ; implicit-def: $vgpr40
	v_cmpx_ne_u64_e32 0, v[36:37]
	s_xor_b32 s10, exec_lo, s10
; %bb.8422:                             ;   in Loop: Header=BB4_8282 Depth=2
	v_lshrrev_b32_e32 v2, 24, v16
                                        ; implicit-def: $vgpr16
	s_delay_alu instid0(VALU_DEP_1)
	v_or_b32_e32 v40, 0x7f, v2
; %bb.8423:                             ;   in Loop: Header=BB4_8282 Depth=2
	s_and_not1_saveexec_b32 s10, s10
; %bb.8424:                             ;   in Loop: Header=BB4_8282 Depth=2
	v_cmp_lt_i32_e32 vcc_lo, -1, v16
	v_cndmask_b32_e64 v40, -4, 0x7c, vcc_lo
; %bb.8425:                             ;   in Loop: Header=BB4_8282 Depth=2
	s_or_b32 exec_lo, exec_lo, s10
.LBB4_8426:                             ;   in Loop: Header=BB4_8282 Depth=2
	s_delay_alu instid0(SALU_CYCLE_1)
	s_or_b32 exec_lo, exec_lo, s7
	flat_load_i8 v16, v[10:11] offset:128 th:TH_LOAD_NT
	v_mov_b32_e32 v17, 0
	s_mov_b32 s7, exec_lo
	s_wait_loadcnt_dscnt 0x0
	v_cmpx_ne_u16_e32 0, v16
	s_cbranch_execz .LBB4_8436
; %bb.8427:                             ;   in Loop: Header=BB4_8282 Depth=2
	v_bfrev_b32_e32 v17, 1
	s_mov_b32 s10, exec_lo
	v_cmpx_ne_u16_e32 0xff80, v16
	s_cbranch_execz .LBB4_8435
; %bb.8428:                             ;   in Loop: Header=BB4_8282 Depth=2
	v_and_b32_e32 v17, 0x7c, v16
	v_and_b32_e32 v2, 3, v16
	s_delay_alu instid0(VALU_DEP_2) | instskip(SKIP_1) | instid1(SALU_CYCLE_1)
	v_cmp_ne_u32_e32 vcc_lo, 0x7c, v17
                                        ; implicit-def: $vgpr17
	s_and_saveexec_b32 s11, vcc_lo
	s_xor_b32 s11, exec_lo, s11
	s_cbranch_execz .LBB4_8432
; %bb.8429:                             ;   in Loop: Header=BB4_8282 Depth=2
	v_and_b32_e32 v17, 0xff, v16
	s_mov_b32 s29, exec_lo
	s_delay_alu instid0(VALU_DEP_1) | instskip(NEXT) | instid1(VALU_DEP_1)
	v_bfe_u32 v17, v17, 2, 5
	v_cmpx_eq_u32_e32 0, v17
; %bb.8430:                             ;   in Loop: Header=BB4_8282 Depth=2
	v_clz_i32_u32_e32 v2, v2
	v_mov_b32_e32 v17, v37
	s_delay_alu instid0(VALU_DEP_2) | instskip(NEXT) | instid1(VALU_DEP_1)
	v_min_u32_e32 v2, 32, v2
	v_subrev_nc_u32_e32 v20, 29, v2
	s_delay_alu instid0(VALU_DEP_1) | instskip(NEXT) | instid1(VALU_DEP_1)
	v_lshlrev_b64_e32 v[20:21], v20, v[16:17]
	v_dual_sub_nc_u32 v17, 30, v2 :: v_dual_bitop2_b32 v2, 3, v20 bitop3:0x40
; %bb.8431:                             ;   in Loop: Header=BB4_8282 Depth=2
	s_or_b32 exec_lo, exec_lo, s29
	v_bfe_i32 v16, v16, 0, 16
	s_delay_alu instid0(VALU_DEP_1) | instskip(NEXT) | instid1(VALU_DEP_1)
	v_and_b32_e32 v16, 0x80000000, v16
	v_lshl_add_u32 v16, v17, 23, v16
	s_delay_alu instid0(VALU_DEP_1) | instskip(NEXT) | instid1(VALU_DEP_1)
	v_lshl_or_b32 v2, v2, 21, v16
                                        ; implicit-def: $vgpr16
	v_add_nc_u32_e32 v17, 0x38000000, v2
                                        ; implicit-def: $vgpr2
.LBB4_8432:                             ;   in Loop: Header=BB4_8282 Depth=2
	s_and_not1_saveexec_b32 s11, s11
; %bb.8433:                             ;   in Loop: Header=BB4_8282 Depth=2
	v_cmp_lt_i16_e32 vcc_lo, -1, v16
	v_cndmask_b32_e32 v16, 0xff800000, v109, vcc_lo
	v_cmp_eq_u32_e32 vcc_lo, 0, v2
	s_delay_alu instid0(VALU_DEP_2)
	v_cndmask_b32_e32 v17, 0x7f800001, v16, vcc_lo
; %bb.8434:                             ;   in Loop: Header=BB4_8282 Depth=2
	s_or_b32 exec_lo, exec_lo, s11
.LBB4_8435:                             ;   in Loop: Header=BB4_8282 Depth=2
	s_delay_alu instid0(SALU_CYCLE_1)
	s_or_b32 exec_lo, exec_lo, s10
.LBB4_8436:                             ;   in Loop: Header=BB4_8282 Depth=2
	s_delay_alu instid0(SALU_CYCLE_1) | instskip(NEXT) | instid1(VALU_DEP_1)
	s_or_b32 exec_lo, exec_lo, s7
	v_dual_mul_f32 v16, s28, v17 :: v_dual_mov_b32 v21, v37
                                        ; implicit-def: $vgpr118
	s_mov_b32 s7, exec_lo
	s_delay_alu instid0(VALU_DEP_1) | instskip(SKIP_1) | instid1(VALU_DEP_2)
	v_and_b32_e32 v20, 0x7f800000, v16
	v_and_b32_e32 v36, 0x7fffff, v16
	v_cmpx_ne_u64_e32 0x7f800000, v[20:21]
	s_xor_b32 s10, exec_lo, s7
	s_cbranch_execz .LBB4_8454
; %bb.8437:                             ;   in Loop: Header=BB4_8282 Depth=2
	v_dual_mov_b32 v21, v37 :: v_dual_lshrrev_b32 v2, 24, v16
	v_and_b32_e32 v20, 0x7fffffff, v16
                                        ; implicit-def: $vgpr118
	s_mov_b32 s7, exec_lo
	s_delay_alu instid0(VALU_DEP_2) | instskip(NEXT) | instid1(VALU_DEP_2)
	v_and_b32_e32 v2, 0x80, v2
	v_cmpx_gt_u64_e32 0x47600001, v[20:21]
	s_xor_b32 s11, exec_lo, s7
	s_cbranch_execz .LBB4_8451
; %bb.8438:                             ;   in Loop: Header=BB4_8282 Depth=2
	v_mov_b32_e32 v118, 0
	s_mov_b32 s29, exec_lo
	v_cmpx_ne_u32_e32 0, v16
	s_cbranch_execz .LBB4_8450
; %bb.8439:                             ;   in Loop: Header=BB4_8282 Depth=2
	v_bfe_u32 v20, v16, 23, 8
	v_or_b32_e32 v24, 0x800000, v36
	s_delay_alu instid0(VALU_DEP_2) | instskip(SKIP_1) | instid1(VALU_DEP_2)
	v_dual_mov_b32 v25, v37 :: v_dual_sub_nc_u32 v16, 0x71, v20
	v_cmp_gt_u32_e32 vcc_lo, 0x72, v20
	v_cndmask_b32_e32 v16, 0, v16, vcc_lo
	v_cmp_eq_u32_e32 vcc_lo, 0, v20
	s_delay_alu instid0(VALU_DEP_2) | instskip(NEXT) | instid1(VALU_DEP_1)
	v_cndmask_b32_e64 v21, v16, 0x70, vcc_lo
	v_dual_cndmask_b32 v24, v24, v36, vcc_lo :: v_dual_add_nc_u32 v16, 21, v21
	v_add_nc_u32_e32 v31, 20, v21
	s_delay_alu instid0(VALU_DEP_2) | instskip(NEXT) | instid1(VALU_DEP_2)
	v_lshlrev_b64_e64 v[16:17], v16, -1
	v_lshlrev_b64_e64 v[68:69], v31, 1
	s_delay_alu instid0(VALU_DEP_2) | instskip(NEXT) | instid1(VALU_DEP_3)
	v_bfi_b32 v71, v17, 0, 0
	v_bfi_b32 v70, v16, 0, v24
	v_lshrrev_b64 v[16:17], v21, v[24:25]
	s_delay_alu instid0(VALU_DEP_2) | instskip(NEXT) | instid1(VALU_DEP_2)
	v_cmp_eq_u64_e64 s7, v[70:71], v[68:69]
	v_mov_b64_e32 v[68:69], v[16:17]
	s_and_saveexec_b32 s40, s7
; %bb.8440:                             ;   in Loop: Header=BB4_8282 Depth=2
	v_bfe_u32 v24, v16, 21, 1
	v_mov_b32_e32 v25, v37
	s_delay_alu instid0(VALU_DEP_1) | instskip(NEXT) | instid1(VALU_DEP_1)
	v_add_nc_u64_e32 v[24:25], v[16:17], v[24:25]
	v_add_nc_u64_e32 v[68:69], -1, v[24:25]
; %bb.8441:                             ;   in Loop: Header=BB4_8282 Depth=2
	s_or_b32 exec_lo, exec_lo, s40
	v_add_nc_u32_e32 v17, 0xffffff81, v20
	v_lshrrev_b32_e32 v20, 23, v16
	s_mov_b32 s7, exec_lo
	s_delay_alu instid0(VALU_DEP_2) | instskip(NEXT) | instid1(VALU_DEP_1)
	v_cndmask_b32_e64 v17, v17, 0xffffff82, vcc_lo
	v_add3_u32 v21, v21, v17, v20
	v_and_b32_e32 v17, 0x1fffff, v68
                                        ; implicit-def: $vgpr20
	s_delay_alu instid0(VALU_DEP_1) | instskip(NEXT) | instid1(VALU_DEP_1)
	v_dual_add_nc_u32 v68, 14, v21 :: v_dual_add_nc_u32 v36, v17, v16
                                        ; implicit-def: $vgpr16_vgpr17
	v_cmpx_ne_u32_e32 0, v68
	s_xor_b32 s7, exec_lo, s7
; %bb.8442:                             ;   in Loop: Header=BB4_8282 Depth=2
	s_delay_alu instid0(VALU_DEP_2) | instskip(SKIP_1) | instid1(VALU_DEP_1)
	v_cmp_lt_u64_e32 vcc_lo, 0xffffff, v[36:37]
	v_add_nc_u32_e32 v16, 15, v21
	v_cndmask_b32_e32 v20, v68, v16, vcc_lo
	v_cndmask_b32_e64 v16, 0, 1, vcc_lo
	s_delay_alu instid0(VALU_DEP_1)
	v_lshrrev_b64 v[16:17], v16, v[36:37]
; %bb.8443:                             ;   in Loop: Header=BB4_8282 Depth=2
	s_and_not1_saveexec_b32 s7, s7
; %bb.8444:                             ;   in Loop: Header=BB4_8282 Depth=2
	v_mov_b64_e32 v[16:17], v[36:37]
	v_bfe_u32 v20, v36, 23, 1
; %bb.8445:                             ;   in Loop: Header=BB4_8282 Depth=2
	s_or_b32 exec_lo, exec_lo, s7
	s_delay_alu instid0(VALU_DEP_2) | instskip(NEXT) | instid1(VALU_DEP_2)
	v_lshrrev_b64 v[16:17], 21, v[16:17]
	v_cmp_gt_i32_e32 vcc_lo, 32, v20
	v_cmp_ne_u32_e64 s7, 0, v20
                                        ; implicit-def: $vgpr118
	s_delay_alu instid0(VALU_DEP_3) | instskip(NEXT) | instid1(VALU_DEP_1)
	v_dual_cndmask_b32 v17, 0, v17 :: v_dual_cndmask_b32 v16, 3, v16
	v_cmp_ne_u64_e32 vcc_lo, 0, v[16:17]
	s_or_b32 s7, s7, vcc_lo
	s_delay_alu instid0(SALU_CYCLE_1) | instskip(NEXT) | instid1(SALU_CYCLE_1)
	s_and_saveexec_b32 s40, s7
	s_xor_b32 s7, exec_lo, s40
; %bb.8446:                             ;   in Loop: Header=BB4_8282 Depth=2
	v_min_i32_e32 v17, 31, v20
	s_delay_alu instid0(VALU_DEP_1) | instskip(NEXT) | instid1(VALU_DEP_1)
	v_lshl_or_b32 v2, v17, 2, v2
	v_and_or_b32 v118, v16, 3, v2
                                        ; implicit-def: $vgpr2
; %bb.8447:                             ;   in Loop: Header=BB4_8282 Depth=2
	s_and_not1_saveexec_b32 s7, s7
; %bb.8448:                             ;   in Loop: Header=BB4_8282 Depth=2
	v_mov_b32_e32 v118, v2
; %bb.8449:                             ;   in Loop: Header=BB4_8282 Depth=2
	s_or_b32 exec_lo, exec_lo, s7
.LBB4_8450:                             ;   in Loop: Header=BB4_8282 Depth=2
	s_delay_alu instid0(SALU_CYCLE_1)
	s_or_b32 exec_lo, exec_lo, s29
                                        ; implicit-def: $vgpr2
.LBB4_8451:                             ;   in Loop: Header=BB4_8282 Depth=2
	s_and_not1_saveexec_b32 s7, s11
; %bb.8452:                             ;   in Loop: Header=BB4_8282 Depth=2
	v_or_b32_e32 v118, 0x7b, v2
; %bb.8453:                             ;   in Loop: Header=BB4_8282 Depth=2
	s_or_b32 exec_lo, exec_lo, s7
                                        ; implicit-def: $vgpr16
.LBB4_8454:                             ;   in Loop: Header=BB4_8282 Depth=2
	s_and_not1_saveexec_b32 s7, s10
	s_cbranch_execz .LBB4_8460
; %bb.8455:                             ;   in Loop: Header=BB4_8282 Depth=2
	s_mov_b32 s10, exec_lo
                                        ; implicit-def: $vgpr118
	v_cmpx_ne_u64_e32 0, v[36:37]
	s_xor_b32 s10, exec_lo, s10
; %bb.8456:                             ;   in Loop: Header=BB4_8282 Depth=2
	v_lshrrev_b32_e32 v2, 24, v16
                                        ; implicit-def: $vgpr16
	s_delay_alu instid0(VALU_DEP_1)
	v_or_b32_e32 v118, 0x7f, v2
; %bb.8457:                             ;   in Loop: Header=BB4_8282 Depth=2
	s_and_not1_saveexec_b32 s10, s10
; %bb.8458:                             ;   in Loop: Header=BB4_8282 Depth=2
	v_cmp_lt_i32_e32 vcc_lo, -1, v16
	v_cndmask_b32_e64 v118, -4, 0x7c, vcc_lo
; %bb.8459:                             ;   in Loop: Header=BB4_8282 Depth=2
	s_or_b32 exec_lo, exec_lo, s10
.LBB4_8460:                             ;   in Loop: Header=BB4_8282 Depth=2
	s_delay_alu instid0(SALU_CYCLE_1)
	s_or_b32 exec_lo, exec_lo, s7
	flat_load_i8 v16, v[10:11] offset:160 th:TH_LOAD_NT
	v_mov_b32_e32 v17, 0
	s_mov_b32 s7, exec_lo
	s_wait_loadcnt_dscnt 0x0
	v_cmpx_ne_u16_e32 0, v16
	s_cbranch_execz .LBB4_8470
; %bb.8461:                             ;   in Loop: Header=BB4_8282 Depth=2
	v_bfrev_b32_e32 v17, 1
	s_mov_b32 s10, exec_lo
	v_cmpx_ne_u16_e32 0xff80, v16
	s_cbranch_execz .LBB4_8469
; %bb.8462:                             ;   in Loop: Header=BB4_8282 Depth=2
	v_and_b32_e32 v17, 0x7c, v16
	v_and_b32_e32 v2, 3, v16
	s_delay_alu instid0(VALU_DEP_2) | instskip(SKIP_1) | instid1(SALU_CYCLE_1)
	v_cmp_ne_u32_e32 vcc_lo, 0x7c, v17
                                        ; implicit-def: $vgpr17
	s_and_saveexec_b32 s11, vcc_lo
	s_xor_b32 s11, exec_lo, s11
	s_cbranch_execz .LBB4_8466
; %bb.8463:                             ;   in Loop: Header=BB4_8282 Depth=2
	v_and_b32_e32 v17, 0xff, v16
	s_mov_b32 s29, exec_lo
	s_delay_alu instid0(VALU_DEP_1) | instskip(NEXT) | instid1(VALU_DEP_1)
	v_bfe_u32 v17, v17, 2, 5
	v_cmpx_eq_u32_e32 0, v17
; %bb.8464:                             ;   in Loop: Header=BB4_8282 Depth=2
	v_clz_i32_u32_e32 v2, v2
	v_mov_b32_e32 v17, v37
	s_delay_alu instid0(VALU_DEP_2) | instskip(NEXT) | instid1(VALU_DEP_1)
	v_min_u32_e32 v2, 32, v2
	v_subrev_nc_u32_e32 v20, 29, v2
	s_delay_alu instid0(VALU_DEP_1) | instskip(NEXT) | instid1(VALU_DEP_1)
	v_lshlrev_b64_e32 v[20:21], v20, v[16:17]
	v_dual_sub_nc_u32 v17, 30, v2 :: v_dual_bitop2_b32 v2, 3, v20 bitop3:0x40
; %bb.8465:                             ;   in Loop: Header=BB4_8282 Depth=2
	s_or_b32 exec_lo, exec_lo, s29
	v_bfe_i32 v16, v16, 0, 16
	s_delay_alu instid0(VALU_DEP_1) | instskip(NEXT) | instid1(VALU_DEP_1)
	v_and_b32_e32 v16, 0x80000000, v16
	v_lshl_add_u32 v16, v17, 23, v16
	s_delay_alu instid0(VALU_DEP_1) | instskip(NEXT) | instid1(VALU_DEP_1)
	v_lshl_or_b32 v2, v2, 21, v16
                                        ; implicit-def: $vgpr16
	v_add_nc_u32_e32 v17, 0x38000000, v2
                                        ; implicit-def: $vgpr2
.LBB4_8466:                             ;   in Loop: Header=BB4_8282 Depth=2
	s_and_not1_saveexec_b32 s11, s11
; %bb.8467:                             ;   in Loop: Header=BB4_8282 Depth=2
	v_cmp_lt_i16_e32 vcc_lo, -1, v16
	v_cndmask_b32_e32 v16, 0xff800000, v109, vcc_lo
	v_cmp_eq_u32_e32 vcc_lo, 0, v2
	s_delay_alu instid0(VALU_DEP_2)
	v_cndmask_b32_e32 v17, 0x7f800001, v16, vcc_lo
; %bb.8468:                             ;   in Loop: Header=BB4_8282 Depth=2
	s_or_b32 exec_lo, exec_lo, s11
.LBB4_8469:                             ;   in Loop: Header=BB4_8282 Depth=2
	s_delay_alu instid0(SALU_CYCLE_1)
	s_or_b32 exec_lo, exec_lo, s10
.LBB4_8470:                             ;   in Loop: Header=BB4_8282 Depth=2
	s_delay_alu instid0(SALU_CYCLE_1) | instskip(NEXT) | instid1(VALU_DEP_1)
	s_or_b32 exec_lo, exec_lo, s7
	v_dual_mul_f32 v16, s28, v17 :: v_dual_mov_b32 v21, v37
                                        ; implicit-def: $vgpr116
	s_mov_b32 s7, exec_lo
	s_delay_alu instid0(VALU_DEP_1) | instskip(SKIP_1) | instid1(VALU_DEP_2)
	v_and_b32_e32 v20, 0x7f800000, v16
	v_and_b32_e32 v36, 0x7fffff, v16
	v_cmpx_ne_u64_e32 0x7f800000, v[20:21]
	s_xor_b32 s10, exec_lo, s7
	s_cbranch_execz .LBB4_8488
; %bb.8471:                             ;   in Loop: Header=BB4_8282 Depth=2
	v_dual_mov_b32 v21, v37 :: v_dual_lshrrev_b32 v2, 24, v16
	v_and_b32_e32 v20, 0x7fffffff, v16
                                        ; implicit-def: $vgpr116
	s_mov_b32 s7, exec_lo
	s_delay_alu instid0(VALU_DEP_2) | instskip(NEXT) | instid1(VALU_DEP_2)
	v_and_b32_e32 v2, 0x80, v2
	v_cmpx_gt_u64_e32 0x47600001, v[20:21]
	s_xor_b32 s11, exec_lo, s7
	s_cbranch_execz .LBB4_8485
; %bb.8472:                             ;   in Loop: Header=BB4_8282 Depth=2
	v_mov_b32_e32 v116, 0
	s_mov_b32 s29, exec_lo
	v_cmpx_ne_u32_e32 0, v16
	s_cbranch_execz .LBB4_8484
; %bb.8473:                             ;   in Loop: Header=BB4_8282 Depth=2
	v_bfe_u32 v20, v16, 23, 8
	v_or_b32_e32 v24, 0x800000, v36
	s_delay_alu instid0(VALU_DEP_2) | instskip(SKIP_1) | instid1(VALU_DEP_2)
	v_dual_mov_b32 v25, v37 :: v_dual_sub_nc_u32 v16, 0x71, v20
	v_cmp_gt_u32_e32 vcc_lo, 0x72, v20
	v_cndmask_b32_e32 v16, 0, v16, vcc_lo
	v_cmp_eq_u32_e32 vcc_lo, 0, v20
	s_delay_alu instid0(VALU_DEP_2) | instskip(NEXT) | instid1(VALU_DEP_1)
	v_cndmask_b32_e64 v21, v16, 0x70, vcc_lo
	v_dual_cndmask_b32 v24, v24, v36, vcc_lo :: v_dual_add_nc_u32 v16, 21, v21
	v_add_nc_u32_e32 v31, 20, v21
	s_delay_alu instid0(VALU_DEP_2) | instskip(NEXT) | instid1(VALU_DEP_2)
	v_lshlrev_b64_e64 v[16:17], v16, -1
	v_lshlrev_b64_e64 v[68:69], v31, 1
	s_delay_alu instid0(VALU_DEP_2) | instskip(NEXT) | instid1(VALU_DEP_3)
	v_bfi_b32 v71, v17, 0, 0
	v_bfi_b32 v70, v16, 0, v24
	v_lshrrev_b64 v[16:17], v21, v[24:25]
	s_delay_alu instid0(VALU_DEP_2) | instskip(NEXT) | instid1(VALU_DEP_2)
	v_cmp_eq_u64_e64 s7, v[70:71], v[68:69]
	v_mov_b64_e32 v[68:69], v[16:17]
	s_and_saveexec_b32 s40, s7
; %bb.8474:                             ;   in Loop: Header=BB4_8282 Depth=2
	v_bfe_u32 v24, v16, 21, 1
	v_mov_b32_e32 v25, v37
	s_delay_alu instid0(VALU_DEP_1) | instskip(NEXT) | instid1(VALU_DEP_1)
	v_add_nc_u64_e32 v[24:25], v[16:17], v[24:25]
	v_add_nc_u64_e32 v[68:69], -1, v[24:25]
; %bb.8475:                             ;   in Loop: Header=BB4_8282 Depth=2
	s_or_b32 exec_lo, exec_lo, s40
	v_add_nc_u32_e32 v17, 0xffffff81, v20
	v_lshrrev_b32_e32 v20, 23, v16
	s_mov_b32 s7, exec_lo
	s_delay_alu instid0(VALU_DEP_2) | instskip(NEXT) | instid1(VALU_DEP_1)
	v_cndmask_b32_e64 v17, v17, 0xffffff82, vcc_lo
	v_add3_u32 v21, v21, v17, v20
	v_and_b32_e32 v17, 0x1fffff, v68
                                        ; implicit-def: $vgpr20
	s_delay_alu instid0(VALU_DEP_1) | instskip(NEXT) | instid1(VALU_DEP_1)
	v_dual_add_nc_u32 v68, 14, v21 :: v_dual_add_nc_u32 v36, v17, v16
                                        ; implicit-def: $vgpr16_vgpr17
	v_cmpx_ne_u32_e32 0, v68
	s_xor_b32 s7, exec_lo, s7
; %bb.8476:                             ;   in Loop: Header=BB4_8282 Depth=2
	s_delay_alu instid0(VALU_DEP_2) | instskip(SKIP_1) | instid1(VALU_DEP_1)
	v_cmp_lt_u64_e32 vcc_lo, 0xffffff, v[36:37]
	v_add_nc_u32_e32 v16, 15, v21
	v_cndmask_b32_e32 v20, v68, v16, vcc_lo
	v_cndmask_b32_e64 v16, 0, 1, vcc_lo
	s_delay_alu instid0(VALU_DEP_1)
	v_lshrrev_b64 v[16:17], v16, v[36:37]
; %bb.8477:                             ;   in Loop: Header=BB4_8282 Depth=2
	s_and_not1_saveexec_b32 s7, s7
; %bb.8478:                             ;   in Loop: Header=BB4_8282 Depth=2
	v_mov_b64_e32 v[16:17], v[36:37]
	v_bfe_u32 v20, v36, 23, 1
; %bb.8479:                             ;   in Loop: Header=BB4_8282 Depth=2
	s_or_b32 exec_lo, exec_lo, s7
	s_delay_alu instid0(VALU_DEP_2) | instskip(NEXT) | instid1(VALU_DEP_2)
	v_lshrrev_b64 v[16:17], 21, v[16:17]
	v_cmp_gt_i32_e32 vcc_lo, 32, v20
	v_cmp_ne_u32_e64 s7, 0, v20
                                        ; implicit-def: $vgpr116
	s_delay_alu instid0(VALU_DEP_3) | instskip(NEXT) | instid1(VALU_DEP_1)
	v_dual_cndmask_b32 v17, 0, v17 :: v_dual_cndmask_b32 v16, 3, v16
	v_cmp_ne_u64_e32 vcc_lo, 0, v[16:17]
	s_or_b32 s7, s7, vcc_lo
	s_delay_alu instid0(SALU_CYCLE_1) | instskip(NEXT) | instid1(SALU_CYCLE_1)
	s_and_saveexec_b32 s40, s7
	s_xor_b32 s7, exec_lo, s40
; %bb.8480:                             ;   in Loop: Header=BB4_8282 Depth=2
	v_min_i32_e32 v17, 31, v20
	s_delay_alu instid0(VALU_DEP_1) | instskip(NEXT) | instid1(VALU_DEP_1)
	v_lshl_or_b32 v2, v17, 2, v2
	v_and_or_b32 v116, v16, 3, v2
                                        ; implicit-def: $vgpr2
; %bb.8481:                             ;   in Loop: Header=BB4_8282 Depth=2
	s_and_not1_saveexec_b32 s7, s7
; %bb.8482:                             ;   in Loop: Header=BB4_8282 Depth=2
	v_mov_b32_e32 v116, v2
; %bb.8483:                             ;   in Loop: Header=BB4_8282 Depth=2
	s_or_b32 exec_lo, exec_lo, s7
.LBB4_8484:                             ;   in Loop: Header=BB4_8282 Depth=2
	s_delay_alu instid0(SALU_CYCLE_1)
	s_or_b32 exec_lo, exec_lo, s29
                                        ; implicit-def: $vgpr2
.LBB4_8485:                             ;   in Loop: Header=BB4_8282 Depth=2
	s_and_not1_saveexec_b32 s7, s11
; %bb.8486:                             ;   in Loop: Header=BB4_8282 Depth=2
	v_or_b32_e32 v116, 0x7b, v2
; %bb.8487:                             ;   in Loop: Header=BB4_8282 Depth=2
	s_or_b32 exec_lo, exec_lo, s7
                                        ; implicit-def: $vgpr16
.LBB4_8488:                             ;   in Loop: Header=BB4_8282 Depth=2
	s_and_not1_saveexec_b32 s7, s10
	s_cbranch_execz .LBB4_8494
; %bb.8489:                             ;   in Loop: Header=BB4_8282 Depth=2
	s_mov_b32 s10, exec_lo
                                        ; implicit-def: $vgpr116
	v_cmpx_ne_u64_e32 0, v[36:37]
	s_xor_b32 s10, exec_lo, s10
; %bb.8490:                             ;   in Loop: Header=BB4_8282 Depth=2
	v_lshrrev_b32_e32 v2, 24, v16
                                        ; implicit-def: $vgpr16
	s_delay_alu instid0(VALU_DEP_1)
	v_or_b32_e32 v116, 0x7f, v2
; %bb.8491:                             ;   in Loop: Header=BB4_8282 Depth=2
	s_and_not1_saveexec_b32 s10, s10
; %bb.8492:                             ;   in Loop: Header=BB4_8282 Depth=2
	v_cmp_lt_i32_e32 vcc_lo, -1, v16
	v_cndmask_b32_e64 v116, -4, 0x7c, vcc_lo
; %bb.8493:                             ;   in Loop: Header=BB4_8282 Depth=2
	s_or_b32 exec_lo, exec_lo, s10
.LBB4_8494:                             ;   in Loop: Header=BB4_8282 Depth=2
	s_delay_alu instid0(SALU_CYCLE_1)
	s_or_b32 exec_lo, exec_lo, s7
	flat_load_i8 v16, v[10:11] offset:192 th:TH_LOAD_NT
	v_mov_b32_e32 v17, 0
	s_mov_b32 s7, exec_lo
	s_wait_loadcnt_dscnt 0x0
	v_cmpx_ne_u16_e32 0, v16
	s_cbranch_execz .LBB4_8504
; %bb.8495:                             ;   in Loop: Header=BB4_8282 Depth=2
	v_bfrev_b32_e32 v17, 1
	s_mov_b32 s10, exec_lo
	v_cmpx_ne_u16_e32 0xff80, v16
	s_cbranch_execz .LBB4_8503
; %bb.8496:                             ;   in Loop: Header=BB4_8282 Depth=2
	v_and_b32_e32 v17, 0x7c, v16
	v_and_b32_e32 v2, 3, v16
	s_delay_alu instid0(VALU_DEP_2) | instskip(SKIP_1) | instid1(SALU_CYCLE_1)
	v_cmp_ne_u32_e32 vcc_lo, 0x7c, v17
                                        ; implicit-def: $vgpr17
	s_and_saveexec_b32 s11, vcc_lo
	s_xor_b32 s11, exec_lo, s11
	s_cbranch_execz .LBB4_8500
; %bb.8497:                             ;   in Loop: Header=BB4_8282 Depth=2
	v_and_b32_e32 v17, 0xff, v16
	s_mov_b32 s29, exec_lo
	s_delay_alu instid0(VALU_DEP_1) | instskip(NEXT) | instid1(VALU_DEP_1)
	v_bfe_u32 v17, v17, 2, 5
	v_cmpx_eq_u32_e32 0, v17
; %bb.8498:                             ;   in Loop: Header=BB4_8282 Depth=2
	v_clz_i32_u32_e32 v2, v2
	v_mov_b32_e32 v17, v37
	s_delay_alu instid0(VALU_DEP_2) | instskip(NEXT) | instid1(VALU_DEP_1)
	v_min_u32_e32 v2, 32, v2
	v_subrev_nc_u32_e32 v20, 29, v2
	s_delay_alu instid0(VALU_DEP_1) | instskip(NEXT) | instid1(VALU_DEP_1)
	v_lshlrev_b64_e32 v[20:21], v20, v[16:17]
	v_dual_sub_nc_u32 v17, 30, v2 :: v_dual_bitop2_b32 v2, 3, v20 bitop3:0x40
; %bb.8499:                             ;   in Loop: Header=BB4_8282 Depth=2
	s_or_b32 exec_lo, exec_lo, s29
	v_bfe_i32 v16, v16, 0, 16
	s_delay_alu instid0(VALU_DEP_1) | instskip(NEXT) | instid1(VALU_DEP_1)
	v_and_b32_e32 v16, 0x80000000, v16
	v_lshl_add_u32 v16, v17, 23, v16
	s_delay_alu instid0(VALU_DEP_1) | instskip(NEXT) | instid1(VALU_DEP_1)
	v_lshl_or_b32 v2, v2, 21, v16
                                        ; implicit-def: $vgpr16
	v_add_nc_u32_e32 v17, 0x38000000, v2
                                        ; implicit-def: $vgpr2
.LBB4_8500:                             ;   in Loop: Header=BB4_8282 Depth=2
	s_and_not1_saveexec_b32 s11, s11
; %bb.8501:                             ;   in Loop: Header=BB4_8282 Depth=2
	v_cmp_lt_i16_e32 vcc_lo, -1, v16
	v_cndmask_b32_e32 v16, 0xff800000, v109, vcc_lo
	v_cmp_eq_u32_e32 vcc_lo, 0, v2
	s_delay_alu instid0(VALU_DEP_2)
	v_cndmask_b32_e32 v17, 0x7f800001, v16, vcc_lo
; %bb.8502:                             ;   in Loop: Header=BB4_8282 Depth=2
	s_or_b32 exec_lo, exec_lo, s11
.LBB4_8503:                             ;   in Loop: Header=BB4_8282 Depth=2
	s_delay_alu instid0(SALU_CYCLE_1)
	s_or_b32 exec_lo, exec_lo, s10
.LBB4_8504:                             ;   in Loop: Header=BB4_8282 Depth=2
	s_delay_alu instid0(SALU_CYCLE_1) | instskip(NEXT) | instid1(VALU_DEP_1)
	s_or_b32 exec_lo, exec_lo, s7
	v_dual_mul_f32 v16, s28, v17 :: v_dual_mov_b32 v21, v37
                                        ; implicit-def: $vgpr112
	s_mov_b32 s7, exec_lo
	s_delay_alu instid0(VALU_DEP_1) | instskip(SKIP_1) | instid1(VALU_DEP_2)
	v_and_b32_e32 v20, 0x7f800000, v16
	v_and_b32_e32 v36, 0x7fffff, v16
	v_cmpx_ne_u64_e32 0x7f800000, v[20:21]
	s_xor_b32 s10, exec_lo, s7
	s_cbranch_execz .LBB4_8522
; %bb.8505:                             ;   in Loop: Header=BB4_8282 Depth=2
	v_dual_mov_b32 v21, v37 :: v_dual_lshrrev_b32 v2, 24, v16
	v_and_b32_e32 v20, 0x7fffffff, v16
                                        ; implicit-def: $vgpr112
	s_mov_b32 s7, exec_lo
	s_delay_alu instid0(VALU_DEP_2) | instskip(NEXT) | instid1(VALU_DEP_2)
	v_and_b32_e32 v2, 0x80, v2
	v_cmpx_gt_u64_e32 0x47600001, v[20:21]
	s_xor_b32 s11, exec_lo, s7
	s_cbranch_execz .LBB4_8519
; %bb.8506:                             ;   in Loop: Header=BB4_8282 Depth=2
	v_mov_b32_e32 v112, 0
	s_mov_b32 s29, exec_lo
	v_cmpx_ne_u32_e32 0, v16
	s_cbranch_execz .LBB4_8518
; %bb.8507:                             ;   in Loop: Header=BB4_8282 Depth=2
	v_bfe_u32 v20, v16, 23, 8
	v_or_b32_e32 v24, 0x800000, v36
	s_delay_alu instid0(VALU_DEP_2) | instskip(SKIP_1) | instid1(VALU_DEP_2)
	v_dual_mov_b32 v25, v37 :: v_dual_sub_nc_u32 v16, 0x71, v20
	v_cmp_gt_u32_e32 vcc_lo, 0x72, v20
	v_cndmask_b32_e32 v16, 0, v16, vcc_lo
	v_cmp_eq_u32_e32 vcc_lo, 0, v20
	s_delay_alu instid0(VALU_DEP_2) | instskip(NEXT) | instid1(VALU_DEP_1)
	v_cndmask_b32_e64 v21, v16, 0x70, vcc_lo
	v_dual_cndmask_b32 v24, v24, v36, vcc_lo :: v_dual_add_nc_u32 v16, 21, v21
	v_add_nc_u32_e32 v31, 20, v21
	s_delay_alu instid0(VALU_DEP_2) | instskip(NEXT) | instid1(VALU_DEP_2)
	v_lshlrev_b64_e64 v[16:17], v16, -1
	v_lshlrev_b64_e64 v[68:69], v31, 1
	s_delay_alu instid0(VALU_DEP_2) | instskip(NEXT) | instid1(VALU_DEP_3)
	v_bfi_b32 v71, v17, 0, 0
	v_bfi_b32 v70, v16, 0, v24
	v_lshrrev_b64 v[16:17], v21, v[24:25]
	s_delay_alu instid0(VALU_DEP_2) | instskip(NEXT) | instid1(VALU_DEP_2)
	v_cmp_eq_u64_e64 s7, v[70:71], v[68:69]
	v_mov_b64_e32 v[68:69], v[16:17]
	s_and_saveexec_b32 s40, s7
; %bb.8508:                             ;   in Loop: Header=BB4_8282 Depth=2
	v_bfe_u32 v24, v16, 21, 1
	v_mov_b32_e32 v25, v37
	s_delay_alu instid0(VALU_DEP_1) | instskip(NEXT) | instid1(VALU_DEP_1)
	v_add_nc_u64_e32 v[24:25], v[16:17], v[24:25]
	v_add_nc_u64_e32 v[68:69], -1, v[24:25]
; %bb.8509:                             ;   in Loop: Header=BB4_8282 Depth=2
	s_or_b32 exec_lo, exec_lo, s40
	v_add_nc_u32_e32 v17, 0xffffff81, v20
	v_lshrrev_b32_e32 v20, 23, v16
	s_mov_b32 s7, exec_lo
	s_delay_alu instid0(VALU_DEP_2) | instskip(NEXT) | instid1(VALU_DEP_1)
	v_cndmask_b32_e64 v17, v17, 0xffffff82, vcc_lo
	v_add3_u32 v21, v21, v17, v20
	v_and_b32_e32 v17, 0x1fffff, v68
                                        ; implicit-def: $vgpr20
	s_delay_alu instid0(VALU_DEP_1) | instskip(NEXT) | instid1(VALU_DEP_1)
	v_dual_add_nc_u32 v68, 14, v21 :: v_dual_add_nc_u32 v36, v17, v16
                                        ; implicit-def: $vgpr16_vgpr17
	v_cmpx_ne_u32_e32 0, v68
	s_xor_b32 s7, exec_lo, s7
; %bb.8510:                             ;   in Loop: Header=BB4_8282 Depth=2
	s_delay_alu instid0(VALU_DEP_2) | instskip(SKIP_1) | instid1(VALU_DEP_1)
	v_cmp_lt_u64_e32 vcc_lo, 0xffffff, v[36:37]
	v_add_nc_u32_e32 v16, 15, v21
	v_cndmask_b32_e32 v20, v68, v16, vcc_lo
	v_cndmask_b32_e64 v16, 0, 1, vcc_lo
	s_delay_alu instid0(VALU_DEP_1)
	v_lshrrev_b64 v[16:17], v16, v[36:37]
; %bb.8511:                             ;   in Loop: Header=BB4_8282 Depth=2
	s_and_not1_saveexec_b32 s7, s7
; %bb.8512:                             ;   in Loop: Header=BB4_8282 Depth=2
	v_mov_b64_e32 v[16:17], v[36:37]
	v_bfe_u32 v20, v36, 23, 1
; %bb.8513:                             ;   in Loop: Header=BB4_8282 Depth=2
	s_or_b32 exec_lo, exec_lo, s7
	s_delay_alu instid0(VALU_DEP_2) | instskip(NEXT) | instid1(VALU_DEP_2)
	v_lshrrev_b64 v[16:17], 21, v[16:17]
	v_cmp_gt_i32_e32 vcc_lo, 32, v20
	v_cmp_ne_u32_e64 s7, 0, v20
                                        ; implicit-def: $vgpr112
	s_delay_alu instid0(VALU_DEP_3) | instskip(NEXT) | instid1(VALU_DEP_1)
	v_dual_cndmask_b32 v17, 0, v17 :: v_dual_cndmask_b32 v16, 3, v16
	v_cmp_ne_u64_e32 vcc_lo, 0, v[16:17]
	s_or_b32 s7, s7, vcc_lo
	s_delay_alu instid0(SALU_CYCLE_1) | instskip(NEXT) | instid1(SALU_CYCLE_1)
	s_and_saveexec_b32 s40, s7
	s_xor_b32 s7, exec_lo, s40
; %bb.8514:                             ;   in Loop: Header=BB4_8282 Depth=2
	v_min_i32_e32 v17, 31, v20
	s_delay_alu instid0(VALU_DEP_1) | instskip(NEXT) | instid1(VALU_DEP_1)
	v_lshl_or_b32 v2, v17, 2, v2
	v_and_or_b32 v112, v16, 3, v2
                                        ; implicit-def: $vgpr2
; %bb.8515:                             ;   in Loop: Header=BB4_8282 Depth=2
	s_and_not1_saveexec_b32 s7, s7
; %bb.8516:                             ;   in Loop: Header=BB4_8282 Depth=2
	v_mov_b32_e32 v112, v2
; %bb.8517:                             ;   in Loop: Header=BB4_8282 Depth=2
	s_or_b32 exec_lo, exec_lo, s7
.LBB4_8518:                             ;   in Loop: Header=BB4_8282 Depth=2
	s_delay_alu instid0(SALU_CYCLE_1)
	s_or_b32 exec_lo, exec_lo, s29
                                        ; implicit-def: $vgpr2
.LBB4_8519:                             ;   in Loop: Header=BB4_8282 Depth=2
	s_and_not1_saveexec_b32 s7, s11
; %bb.8520:                             ;   in Loop: Header=BB4_8282 Depth=2
	v_or_b32_e32 v112, 0x7b, v2
; %bb.8521:                             ;   in Loop: Header=BB4_8282 Depth=2
	s_or_b32 exec_lo, exec_lo, s7
                                        ; implicit-def: $vgpr16
.LBB4_8522:                             ;   in Loop: Header=BB4_8282 Depth=2
	s_and_not1_saveexec_b32 s7, s10
	s_cbranch_execz .LBB4_8528
; %bb.8523:                             ;   in Loop: Header=BB4_8282 Depth=2
	s_mov_b32 s10, exec_lo
                                        ; implicit-def: $vgpr112
	v_cmpx_ne_u64_e32 0, v[36:37]
	s_xor_b32 s10, exec_lo, s10
; %bb.8524:                             ;   in Loop: Header=BB4_8282 Depth=2
	v_lshrrev_b32_e32 v2, 24, v16
                                        ; implicit-def: $vgpr16
	s_delay_alu instid0(VALU_DEP_1)
	v_or_b32_e32 v112, 0x7f, v2
; %bb.8525:                             ;   in Loop: Header=BB4_8282 Depth=2
	s_and_not1_saveexec_b32 s10, s10
; %bb.8526:                             ;   in Loop: Header=BB4_8282 Depth=2
	v_cmp_lt_i32_e32 vcc_lo, -1, v16
	v_cndmask_b32_e64 v112, -4, 0x7c, vcc_lo
; %bb.8527:                             ;   in Loop: Header=BB4_8282 Depth=2
	s_or_b32 exec_lo, exec_lo, s10
.LBB4_8528:                             ;   in Loop: Header=BB4_8282 Depth=2
	s_delay_alu instid0(SALU_CYCLE_1)
	s_or_b32 exec_lo, exec_lo, s7
	flat_load_i8 v16, v[10:11] offset:224 th:TH_LOAD_NT
	v_mov_b32_e32 v17, 0
	s_mov_b32 s7, exec_lo
	s_wait_loadcnt_dscnt 0x0
	v_cmpx_ne_u16_e32 0, v16
	s_cbranch_execz .LBB4_8538
; %bb.8529:                             ;   in Loop: Header=BB4_8282 Depth=2
	v_bfrev_b32_e32 v17, 1
	s_mov_b32 s10, exec_lo
	v_cmpx_ne_u16_e32 0xff80, v16
	s_cbranch_execz .LBB4_8537
; %bb.8530:                             ;   in Loop: Header=BB4_8282 Depth=2
	v_and_b32_e32 v17, 0x7c, v16
	v_and_b32_e32 v2, 3, v16
	s_delay_alu instid0(VALU_DEP_2) | instskip(SKIP_1) | instid1(SALU_CYCLE_1)
	v_cmp_ne_u32_e32 vcc_lo, 0x7c, v17
                                        ; implicit-def: $vgpr17
	s_and_saveexec_b32 s11, vcc_lo
	s_xor_b32 s11, exec_lo, s11
	s_cbranch_execz .LBB4_8534
; %bb.8531:                             ;   in Loop: Header=BB4_8282 Depth=2
	v_and_b32_e32 v17, 0xff, v16
	s_mov_b32 s29, exec_lo
	s_delay_alu instid0(VALU_DEP_1) | instskip(NEXT) | instid1(VALU_DEP_1)
	v_bfe_u32 v17, v17, 2, 5
	v_cmpx_eq_u32_e32 0, v17
; %bb.8532:                             ;   in Loop: Header=BB4_8282 Depth=2
	v_clz_i32_u32_e32 v2, v2
	v_mov_b32_e32 v17, v37
	s_delay_alu instid0(VALU_DEP_2) | instskip(NEXT) | instid1(VALU_DEP_1)
	v_min_u32_e32 v2, 32, v2
	v_subrev_nc_u32_e32 v20, 29, v2
	s_delay_alu instid0(VALU_DEP_1) | instskip(NEXT) | instid1(VALU_DEP_1)
	v_lshlrev_b64_e32 v[20:21], v20, v[16:17]
	v_dual_sub_nc_u32 v17, 30, v2 :: v_dual_bitop2_b32 v2, 3, v20 bitop3:0x40
; %bb.8533:                             ;   in Loop: Header=BB4_8282 Depth=2
	s_or_b32 exec_lo, exec_lo, s29
	v_bfe_i32 v16, v16, 0, 16
	s_delay_alu instid0(VALU_DEP_1) | instskip(NEXT) | instid1(VALU_DEP_1)
	v_and_b32_e32 v16, 0x80000000, v16
	v_lshl_add_u32 v16, v17, 23, v16
	s_delay_alu instid0(VALU_DEP_1) | instskip(NEXT) | instid1(VALU_DEP_1)
	v_lshl_or_b32 v2, v2, 21, v16
                                        ; implicit-def: $vgpr16
	v_add_nc_u32_e32 v17, 0x38000000, v2
                                        ; implicit-def: $vgpr2
.LBB4_8534:                             ;   in Loop: Header=BB4_8282 Depth=2
	s_and_not1_saveexec_b32 s11, s11
; %bb.8535:                             ;   in Loop: Header=BB4_8282 Depth=2
	v_cmp_lt_i16_e32 vcc_lo, -1, v16
	v_cndmask_b32_e32 v16, 0xff800000, v109, vcc_lo
	v_cmp_eq_u32_e32 vcc_lo, 0, v2
	s_delay_alu instid0(VALU_DEP_2)
	v_cndmask_b32_e32 v17, 0x7f800001, v16, vcc_lo
; %bb.8536:                             ;   in Loop: Header=BB4_8282 Depth=2
	s_or_b32 exec_lo, exec_lo, s11
.LBB4_8537:                             ;   in Loop: Header=BB4_8282 Depth=2
	s_delay_alu instid0(SALU_CYCLE_1)
	s_or_b32 exec_lo, exec_lo, s10
.LBB4_8538:                             ;   in Loop: Header=BB4_8282 Depth=2
	s_delay_alu instid0(SALU_CYCLE_1) | instskip(NEXT) | instid1(VALU_DEP_1)
	s_or_b32 exec_lo, exec_lo, s7
	v_dual_mul_f32 v16, s28, v17 :: v_dual_mov_b32 v21, v37
                                        ; implicit-def: $vgpr102
	s_mov_b32 s7, exec_lo
	s_delay_alu instid0(VALU_DEP_1) | instskip(SKIP_1) | instid1(VALU_DEP_2)
	v_and_b32_e32 v20, 0x7f800000, v16
	v_and_b32_e32 v36, 0x7fffff, v16
	v_cmpx_ne_u64_e32 0x7f800000, v[20:21]
	s_xor_b32 s10, exec_lo, s7
	s_cbranch_execz .LBB4_8556
; %bb.8539:                             ;   in Loop: Header=BB4_8282 Depth=2
	v_dual_mov_b32 v21, v37 :: v_dual_lshrrev_b32 v2, 24, v16
	v_and_b32_e32 v20, 0x7fffffff, v16
                                        ; implicit-def: $vgpr102
	s_mov_b32 s7, exec_lo
	s_delay_alu instid0(VALU_DEP_2) | instskip(NEXT) | instid1(VALU_DEP_2)
	v_and_b32_e32 v2, 0x80, v2
	v_cmpx_gt_u64_e32 0x47600001, v[20:21]
	s_xor_b32 s11, exec_lo, s7
	s_cbranch_execz .LBB4_8553
; %bb.8540:                             ;   in Loop: Header=BB4_8282 Depth=2
	v_mov_b32_e32 v102, 0
	s_mov_b32 s29, exec_lo
	v_cmpx_ne_u32_e32 0, v16
	s_cbranch_execz .LBB4_8552
; %bb.8541:                             ;   in Loop: Header=BB4_8282 Depth=2
	v_bfe_u32 v20, v16, 23, 8
	v_or_b32_e32 v24, 0x800000, v36
	s_delay_alu instid0(VALU_DEP_2) | instskip(SKIP_1) | instid1(VALU_DEP_2)
	v_dual_mov_b32 v25, v37 :: v_dual_sub_nc_u32 v16, 0x71, v20
	v_cmp_gt_u32_e32 vcc_lo, 0x72, v20
	v_cndmask_b32_e32 v16, 0, v16, vcc_lo
	v_cmp_eq_u32_e32 vcc_lo, 0, v20
	s_delay_alu instid0(VALU_DEP_2) | instskip(NEXT) | instid1(VALU_DEP_1)
	v_cndmask_b32_e64 v21, v16, 0x70, vcc_lo
	v_dual_cndmask_b32 v24, v24, v36, vcc_lo :: v_dual_add_nc_u32 v16, 21, v21
	v_add_nc_u32_e32 v31, 20, v21
	s_delay_alu instid0(VALU_DEP_2) | instskip(NEXT) | instid1(VALU_DEP_2)
	v_lshlrev_b64_e64 v[16:17], v16, -1
	v_lshlrev_b64_e64 v[68:69], v31, 1
	s_delay_alu instid0(VALU_DEP_2) | instskip(NEXT) | instid1(VALU_DEP_3)
	v_bfi_b32 v71, v17, 0, 0
	v_bfi_b32 v70, v16, 0, v24
	v_lshrrev_b64 v[16:17], v21, v[24:25]
	s_delay_alu instid0(VALU_DEP_2) | instskip(NEXT) | instid1(VALU_DEP_2)
	v_cmp_eq_u64_e64 s7, v[70:71], v[68:69]
	v_mov_b64_e32 v[68:69], v[16:17]
	s_and_saveexec_b32 s40, s7
; %bb.8542:                             ;   in Loop: Header=BB4_8282 Depth=2
	v_bfe_u32 v24, v16, 21, 1
	v_mov_b32_e32 v25, v37
	s_delay_alu instid0(VALU_DEP_1) | instskip(NEXT) | instid1(VALU_DEP_1)
	v_add_nc_u64_e32 v[24:25], v[16:17], v[24:25]
	v_add_nc_u64_e32 v[68:69], -1, v[24:25]
; %bb.8543:                             ;   in Loop: Header=BB4_8282 Depth=2
	s_or_b32 exec_lo, exec_lo, s40
	v_add_nc_u32_e32 v17, 0xffffff81, v20
	s_delay_alu instid0(VALU_DEP_2) | instskip(SKIP_2) | instid1(VALU_DEP_3)
	v_and_b32_e32 v24, 0x1fffff, v68
	v_lshrrev_b32_e32 v20, 23, v16
	s_mov_b32 s7, exec_lo
	v_cndmask_b32_e64 v17, v17, 0xffffff82, vcc_lo
	s_delay_alu instid0(VALU_DEP_3) | instskip(NEXT) | instid1(VALU_DEP_2)
	v_add_nc_u32_e32 v36, v24, v16
	v_add3_u32 v21, v21, v17, v20
                                        ; implicit-def: $vgpr16_vgpr17
                                        ; implicit-def: $vgpr20
	s_delay_alu instid0(VALU_DEP_1) | instskip(NEXT) | instid1(VALU_DEP_1)
	v_add_nc_u32_e32 v68, 14, v21
	v_cmpx_ne_u32_e32 0, v68
	s_xor_b32 s7, exec_lo, s7
; %bb.8544:                             ;   in Loop: Header=BB4_8282 Depth=2
	v_cmp_lt_u64_e32 vcc_lo, 0xffffff, v[36:37]
	v_add_nc_u32_e32 v16, 15, v21
	s_delay_alu instid0(VALU_DEP_1) | instskip(SKIP_1) | instid1(VALU_DEP_1)
	v_cndmask_b32_e32 v20, v68, v16, vcc_lo
	v_cndmask_b32_e64 v16, 0, 1, vcc_lo
	v_lshrrev_b64 v[16:17], v16, v[36:37]
; %bb.8545:                             ;   in Loop: Header=BB4_8282 Depth=2
	s_and_not1_saveexec_b32 s7, s7
; %bb.8546:                             ;   in Loop: Header=BB4_8282 Depth=2
	v_mov_b64_e32 v[16:17], v[36:37]
	v_bfe_u32 v20, v36, 23, 1
; %bb.8547:                             ;   in Loop: Header=BB4_8282 Depth=2
	s_or_b32 exec_lo, exec_lo, s7
	s_delay_alu instid0(VALU_DEP_2) | instskip(NEXT) | instid1(VALU_DEP_2)
	v_lshrrev_b64 v[16:17], 21, v[16:17]
	v_cmp_gt_i32_e32 vcc_lo, 32, v20
	v_cmp_ne_u32_e64 s7, 0, v20
                                        ; implicit-def: $vgpr102
	s_delay_alu instid0(VALU_DEP_3) | instskip(NEXT) | instid1(VALU_DEP_1)
	v_dual_cndmask_b32 v17, 0, v17 :: v_dual_cndmask_b32 v16, 3, v16
	v_cmp_ne_u64_e32 vcc_lo, 0, v[16:17]
	s_or_b32 s7, s7, vcc_lo
	s_delay_alu instid0(SALU_CYCLE_1) | instskip(NEXT) | instid1(SALU_CYCLE_1)
	s_and_saveexec_b32 s40, s7
	s_xor_b32 s7, exec_lo, s40
; %bb.8548:                             ;   in Loop: Header=BB4_8282 Depth=2
	v_min_i32_e32 v17, 31, v20
	s_delay_alu instid0(VALU_DEP_1) | instskip(NEXT) | instid1(VALU_DEP_1)
	v_lshl_or_b32 v2, v17, 2, v2
	v_and_or_b32 v102, v16, 3, v2
                                        ; implicit-def: $vgpr2
; %bb.8549:                             ;   in Loop: Header=BB4_8282 Depth=2
	s_and_not1_saveexec_b32 s7, s7
; %bb.8550:                             ;   in Loop: Header=BB4_8282 Depth=2
	v_mov_b32_e32 v102, v2
; %bb.8551:                             ;   in Loop: Header=BB4_8282 Depth=2
	s_or_b32 exec_lo, exec_lo, s7
.LBB4_8552:                             ;   in Loop: Header=BB4_8282 Depth=2
	s_delay_alu instid0(SALU_CYCLE_1)
	s_or_b32 exec_lo, exec_lo, s29
                                        ; implicit-def: $vgpr2
.LBB4_8553:                             ;   in Loop: Header=BB4_8282 Depth=2
	s_and_not1_saveexec_b32 s7, s11
; %bb.8554:                             ;   in Loop: Header=BB4_8282 Depth=2
	v_or_b32_e32 v102, 0x7b, v2
; %bb.8555:                             ;   in Loop: Header=BB4_8282 Depth=2
	s_or_b32 exec_lo, exec_lo, s7
                                        ; implicit-def: $vgpr16
.LBB4_8556:                             ;   in Loop: Header=BB4_8282 Depth=2
	s_and_not1_saveexec_b32 s7, s10
	s_cbranch_execz .LBB4_8562
; %bb.8557:                             ;   in Loop: Header=BB4_8282 Depth=2
	s_mov_b32 s10, exec_lo
                                        ; implicit-def: $vgpr102
	v_cmpx_ne_u64_e32 0, v[36:37]
	s_xor_b32 s10, exec_lo, s10
; %bb.8558:                             ;   in Loop: Header=BB4_8282 Depth=2
	v_lshrrev_b32_e32 v2, 24, v16
                                        ; implicit-def: $vgpr16
	s_delay_alu instid0(VALU_DEP_1)
	v_or_b32_e32 v102, 0x7f, v2
; %bb.8559:                             ;   in Loop: Header=BB4_8282 Depth=2
	s_and_not1_saveexec_b32 s10, s10
; %bb.8560:                             ;   in Loop: Header=BB4_8282 Depth=2
	v_cmp_lt_i32_e32 vcc_lo, -1, v16
	v_cndmask_b32_e64 v102, -4, 0x7c, vcc_lo
; %bb.8561:                             ;   in Loop: Header=BB4_8282 Depth=2
	s_or_b32 exec_lo, exec_lo, s10
.LBB4_8562:                             ;   in Loop: Header=BB4_8282 Depth=2
	s_delay_alu instid0(SALU_CYCLE_1)
	s_or_b32 exec_lo, exec_lo, s7
	flat_load_i8 v16, v[10:11] offset:256 th:TH_LOAD_NT
	v_mov_b32_e32 v17, 0
	s_mov_b32 s7, exec_lo
	s_wait_loadcnt_dscnt 0x0
	v_cmpx_ne_u16_e32 0, v16
	s_cbranch_execz .LBB4_8572
; %bb.8563:                             ;   in Loop: Header=BB4_8282 Depth=2
	v_bfrev_b32_e32 v17, 1
	s_mov_b32 s10, exec_lo
	v_cmpx_ne_u16_e32 0xff80, v16
	s_cbranch_execz .LBB4_8571
; %bb.8564:                             ;   in Loop: Header=BB4_8282 Depth=2
	v_and_b32_e32 v17, 0x7c, v16
	v_and_b32_e32 v2, 3, v16
	s_delay_alu instid0(VALU_DEP_2) | instskip(SKIP_1) | instid1(SALU_CYCLE_1)
	v_cmp_ne_u32_e32 vcc_lo, 0x7c, v17
                                        ; implicit-def: $vgpr17
	s_and_saveexec_b32 s11, vcc_lo
	s_xor_b32 s11, exec_lo, s11
	s_cbranch_execz .LBB4_8568
; %bb.8565:                             ;   in Loop: Header=BB4_8282 Depth=2
	v_and_b32_e32 v17, 0xff, v16
	s_mov_b32 s29, exec_lo
	s_delay_alu instid0(VALU_DEP_1) | instskip(NEXT) | instid1(VALU_DEP_1)
	v_bfe_u32 v17, v17, 2, 5
	v_cmpx_eq_u32_e32 0, v17
; %bb.8566:                             ;   in Loop: Header=BB4_8282 Depth=2
	v_clz_i32_u32_e32 v2, v2
	v_mov_b32_e32 v17, v37
	s_delay_alu instid0(VALU_DEP_2) | instskip(NEXT) | instid1(VALU_DEP_1)
	v_min_u32_e32 v2, 32, v2
	v_subrev_nc_u32_e32 v20, 29, v2
	s_delay_alu instid0(VALU_DEP_1) | instskip(NEXT) | instid1(VALU_DEP_1)
	v_lshlrev_b64_e32 v[20:21], v20, v[16:17]
	v_dual_sub_nc_u32 v17, 30, v2 :: v_dual_bitop2_b32 v2, 3, v20 bitop3:0x40
; %bb.8567:                             ;   in Loop: Header=BB4_8282 Depth=2
	s_or_b32 exec_lo, exec_lo, s29
	v_bfe_i32 v16, v16, 0, 16
	s_delay_alu instid0(VALU_DEP_1) | instskip(NEXT) | instid1(VALU_DEP_1)
	v_and_b32_e32 v16, 0x80000000, v16
	v_lshl_add_u32 v16, v17, 23, v16
	s_delay_alu instid0(VALU_DEP_1) | instskip(NEXT) | instid1(VALU_DEP_1)
	v_lshl_or_b32 v2, v2, 21, v16
                                        ; implicit-def: $vgpr16
	v_add_nc_u32_e32 v17, 0x38000000, v2
                                        ; implicit-def: $vgpr2
.LBB4_8568:                             ;   in Loop: Header=BB4_8282 Depth=2
	s_and_not1_saveexec_b32 s11, s11
; %bb.8569:                             ;   in Loop: Header=BB4_8282 Depth=2
	v_cmp_lt_i16_e32 vcc_lo, -1, v16
	v_cndmask_b32_e32 v16, 0xff800000, v109, vcc_lo
	v_cmp_eq_u32_e32 vcc_lo, 0, v2
	s_delay_alu instid0(VALU_DEP_2)
	v_cndmask_b32_e32 v17, 0x7f800001, v16, vcc_lo
; %bb.8570:                             ;   in Loop: Header=BB4_8282 Depth=2
	s_or_b32 exec_lo, exec_lo, s11
.LBB4_8571:                             ;   in Loop: Header=BB4_8282 Depth=2
	s_delay_alu instid0(SALU_CYCLE_1)
	s_or_b32 exec_lo, exec_lo, s10
.LBB4_8572:                             ;   in Loop: Header=BB4_8282 Depth=2
	s_delay_alu instid0(SALU_CYCLE_1) | instskip(NEXT) | instid1(VALU_DEP_1)
	s_or_b32 exec_lo, exec_lo, s7
	v_dual_mul_f32 v16, s28, v17 :: v_dual_mov_b32 v21, v37
                                        ; implicit-def: $vgpr100
	s_mov_b32 s7, exec_lo
	s_delay_alu instid0(VALU_DEP_1) | instskip(SKIP_1) | instid1(VALU_DEP_2)
	v_and_b32_e32 v20, 0x7f800000, v16
	v_and_b32_e32 v36, 0x7fffff, v16
	v_cmpx_ne_u64_e32 0x7f800000, v[20:21]
	s_xor_b32 s10, exec_lo, s7
	s_cbranch_execz .LBB4_8590
; %bb.8573:                             ;   in Loop: Header=BB4_8282 Depth=2
	v_dual_mov_b32 v21, v37 :: v_dual_lshrrev_b32 v2, 24, v16
	v_and_b32_e32 v20, 0x7fffffff, v16
                                        ; implicit-def: $vgpr100
	s_mov_b32 s7, exec_lo
	s_delay_alu instid0(VALU_DEP_2) | instskip(NEXT) | instid1(VALU_DEP_2)
	v_and_b32_e32 v2, 0x80, v2
	v_cmpx_gt_u64_e32 0x47600001, v[20:21]
	s_xor_b32 s11, exec_lo, s7
	s_cbranch_execz .LBB4_8587
; %bb.8574:                             ;   in Loop: Header=BB4_8282 Depth=2
	v_mov_b32_e32 v100, 0
	s_mov_b32 s29, exec_lo
	v_cmpx_ne_u32_e32 0, v16
	s_cbranch_execz .LBB4_8586
; %bb.8575:                             ;   in Loop: Header=BB4_8282 Depth=2
	v_bfe_u32 v20, v16, 23, 8
	v_or_b32_e32 v24, 0x800000, v36
	s_delay_alu instid0(VALU_DEP_2) | instskip(SKIP_1) | instid1(VALU_DEP_2)
	v_dual_mov_b32 v25, v37 :: v_dual_sub_nc_u32 v16, 0x71, v20
	v_cmp_gt_u32_e32 vcc_lo, 0x72, v20
	v_cndmask_b32_e32 v16, 0, v16, vcc_lo
	v_cmp_eq_u32_e32 vcc_lo, 0, v20
	s_delay_alu instid0(VALU_DEP_2) | instskip(NEXT) | instid1(VALU_DEP_1)
	v_cndmask_b32_e64 v21, v16, 0x70, vcc_lo
	v_dual_cndmask_b32 v24, v24, v36, vcc_lo :: v_dual_add_nc_u32 v16, 21, v21
	v_add_nc_u32_e32 v31, 20, v21
	s_delay_alu instid0(VALU_DEP_2) | instskip(NEXT) | instid1(VALU_DEP_2)
	v_lshlrev_b64_e64 v[16:17], v16, -1
	v_lshlrev_b64_e64 v[68:69], v31, 1
	s_delay_alu instid0(VALU_DEP_2) | instskip(NEXT) | instid1(VALU_DEP_3)
	v_bfi_b32 v71, v17, 0, 0
	v_bfi_b32 v70, v16, 0, v24
	v_lshrrev_b64 v[16:17], v21, v[24:25]
	s_delay_alu instid0(VALU_DEP_2) | instskip(NEXT) | instid1(VALU_DEP_2)
	v_cmp_eq_u64_e64 s7, v[70:71], v[68:69]
	v_mov_b64_e32 v[68:69], v[16:17]
	s_and_saveexec_b32 s40, s7
; %bb.8576:                             ;   in Loop: Header=BB4_8282 Depth=2
	v_bfe_u32 v24, v16, 21, 1
	v_mov_b32_e32 v25, v37
	s_delay_alu instid0(VALU_DEP_1) | instskip(NEXT) | instid1(VALU_DEP_1)
	v_add_nc_u64_e32 v[24:25], v[16:17], v[24:25]
	v_add_nc_u64_e32 v[68:69], -1, v[24:25]
; %bb.8577:                             ;   in Loop: Header=BB4_8282 Depth=2
	s_or_b32 exec_lo, exec_lo, s40
	v_add_nc_u32_e32 v17, 0xffffff81, v20
	s_delay_alu instid0(VALU_DEP_2) | instskip(SKIP_2) | instid1(VALU_DEP_3)
	v_and_b32_e32 v24, 0x1fffff, v68
	v_lshrrev_b32_e32 v20, 23, v16
	s_mov_b32 s7, exec_lo
	v_cndmask_b32_e64 v17, v17, 0xffffff82, vcc_lo
	s_delay_alu instid0(VALU_DEP_3) | instskip(NEXT) | instid1(VALU_DEP_2)
	v_add_nc_u32_e32 v36, v24, v16
	v_add3_u32 v21, v21, v17, v20
                                        ; implicit-def: $vgpr16_vgpr17
                                        ; implicit-def: $vgpr20
	s_delay_alu instid0(VALU_DEP_1) | instskip(NEXT) | instid1(VALU_DEP_1)
	v_add_nc_u32_e32 v68, 14, v21
	v_cmpx_ne_u32_e32 0, v68
	s_xor_b32 s7, exec_lo, s7
; %bb.8578:                             ;   in Loop: Header=BB4_8282 Depth=2
	v_cmp_lt_u64_e32 vcc_lo, 0xffffff, v[36:37]
	v_add_nc_u32_e32 v16, 15, v21
	s_delay_alu instid0(VALU_DEP_1) | instskip(SKIP_1) | instid1(VALU_DEP_1)
	v_cndmask_b32_e32 v20, v68, v16, vcc_lo
	v_cndmask_b32_e64 v16, 0, 1, vcc_lo
	v_lshrrev_b64 v[16:17], v16, v[36:37]
; %bb.8579:                             ;   in Loop: Header=BB4_8282 Depth=2
	s_and_not1_saveexec_b32 s7, s7
; %bb.8580:                             ;   in Loop: Header=BB4_8282 Depth=2
	v_mov_b64_e32 v[16:17], v[36:37]
	v_bfe_u32 v20, v36, 23, 1
; %bb.8581:                             ;   in Loop: Header=BB4_8282 Depth=2
	s_or_b32 exec_lo, exec_lo, s7
	s_delay_alu instid0(VALU_DEP_2) | instskip(NEXT) | instid1(VALU_DEP_2)
	v_lshrrev_b64 v[16:17], 21, v[16:17]
	v_cmp_gt_i32_e32 vcc_lo, 32, v20
	v_cmp_ne_u32_e64 s7, 0, v20
                                        ; implicit-def: $vgpr100
	s_delay_alu instid0(VALU_DEP_3) | instskip(NEXT) | instid1(VALU_DEP_1)
	v_dual_cndmask_b32 v17, 0, v17 :: v_dual_cndmask_b32 v16, 3, v16
	v_cmp_ne_u64_e32 vcc_lo, 0, v[16:17]
	s_or_b32 s7, s7, vcc_lo
	s_delay_alu instid0(SALU_CYCLE_1) | instskip(NEXT) | instid1(SALU_CYCLE_1)
	s_and_saveexec_b32 s40, s7
	s_xor_b32 s7, exec_lo, s40
; %bb.8582:                             ;   in Loop: Header=BB4_8282 Depth=2
	v_min_i32_e32 v17, 31, v20
	s_delay_alu instid0(VALU_DEP_1) | instskip(NEXT) | instid1(VALU_DEP_1)
	v_lshl_or_b32 v2, v17, 2, v2
	v_and_or_b32 v100, v16, 3, v2
                                        ; implicit-def: $vgpr2
; %bb.8583:                             ;   in Loop: Header=BB4_8282 Depth=2
	s_and_not1_saveexec_b32 s7, s7
; %bb.8584:                             ;   in Loop: Header=BB4_8282 Depth=2
	v_mov_b32_e32 v100, v2
; %bb.8585:                             ;   in Loop: Header=BB4_8282 Depth=2
	s_or_b32 exec_lo, exec_lo, s7
.LBB4_8586:                             ;   in Loop: Header=BB4_8282 Depth=2
	s_delay_alu instid0(SALU_CYCLE_1)
	s_or_b32 exec_lo, exec_lo, s29
                                        ; implicit-def: $vgpr2
.LBB4_8587:                             ;   in Loop: Header=BB4_8282 Depth=2
	s_and_not1_saveexec_b32 s7, s11
; %bb.8588:                             ;   in Loop: Header=BB4_8282 Depth=2
	v_or_b32_e32 v100, 0x7b, v2
; %bb.8589:                             ;   in Loop: Header=BB4_8282 Depth=2
	s_or_b32 exec_lo, exec_lo, s7
                                        ; implicit-def: $vgpr16
.LBB4_8590:                             ;   in Loop: Header=BB4_8282 Depth=2
	s_and_not1_saveexec_b32 s7, s10
	s_cbranch_execz .LBB4_8596
; %bb.8591:                             ;   in Loop: Header=BB4_8282 Depth=2
	s_mov_b32 s10, exec_lo
                                        ; implicit-def: $vgpr100
	v_cmpx_ne_u64_e32 0, v[36:37]
	s_xor_b32 s10, exec_lo, s10
; %bb.8592:                             ;   in Loop: Header=BB4_8282 Depth=2
	v_lshrrev_b32_e32 v2, 24, v16
                                        ; implicit-def: $vgpr16
	s_delay_alu instid0(VALU_DEP_1)
	v_or_b32_e32 v100, 0x7f, v2
; %bb.8593:                             ;   in Loop: Header=BB4_8282 Depth=2
	s_and_not1_saveexec_b32 s10, s10
; %bb.8594:                             ;   in Loop: Header=BB4_8282 Depth=2
	v_cmp_lt_i32_e32 vcc_lo, -1, v16
	v_cndmask_b32_e64 v100, -4, 0x7c, vcc_lo
; %bb.8595:                             ;   in Loop: Header=BB4_8282 Depth=2
	s_or_b32 exec_lo, exec_lo, s10
.LBB4_8596:                             ;   in Loop: Header=BB4_8282 Depth=2
	s_delay_alu instid0(SALU_CYCLE_1)
	s_or_b32 exec_lo, exec_lo, s7
	flat_load_i8 v16, v[10:11] offset:288 th:TH_LOAD_NT
	v_mov_b32_e32 v17, 0
	s_mov_b32 s7, exec_lo
	s_wait_loadcnt_dscnt 0x0
	v_cmpx_ne_u16_e32 0, v16
	s_cbranch_execz .LBB4_8606
; %bb.8597:                             ;   in Loop: Header=BB4_8282 Depth=2
	v_bfrev_b32_e32 v17, 1
	s_mov_b32 s10, exec_lo
	v_cmpx_ne_u16_e32 0xff80, v16
	s_cbranch_execz .LBB4_8605
; %bb.8598:                             ;   in Loop: Header=BB4_8282 Depth=2
	v_and_b32_e32 v17, 0x7c, v16
	v_and_b32_e32 v2, 3, v16
	s_delay_alu instid0(VALU_DEP_2) | instskip(SKIP_1) | instid1(SALU_CYCLE_1)
	v_cmp_ne_u32_e32 vcc_lo, 0x7c, v17
                                        ; implicit-def: $vgpr17
	s_and_saveexec_b32 s11, vcc_lo
	s_xor_b32 s11, exec_lo, s11
	s_cbranch_execz .LBB4_8602
; %bb.8599:                             ;   in Loop: Header=BB4_8282 Depth=2
	v_and_b32_e32 v17, 0xff, v16
	s_mov_b32 s29, exec_lo
	s_delay_alu instid0(VALU_DEP_1) | instskip(NEXT) | instid1(VALU_DEP_1)
	v_bfe_u32 v17, v17, 2, 5
	v_cmpx_eq_u32_e32 0, v17
; %bb.8600:                             ;   in Loop: Header=BB4_8282 Depth=2
	v_clz_i32_u32_e32 v2, v2
	v_mov_b32_e32 v17, v37
	s_delay_alu instid0(VALU_DEP_2) | instskip(NEXT) | instid1(VALU_DEP_1)
	v_min_u32_e32 v2, 32, v2
	v_subrev_nc_u32_e32 v20, 29, v2
	s_delay_alu instid0(VALU_DEP_1) | instskip(NEXT) | instid1(VALU_DEP_1)
	v_lshlrev_b64_e32 v[20:21], v20, v[16:17]
	v_dual_sub_nc_u32 v17, 30, v2 :: v_dual_bitop2_b32 v2, 3, v20 bitop3:0x40
; %bb.8601:                             ;   in Loop: Header=BB4_8282 Depth=2
	s_or_b32 exec_lo, exec_lo, s29
	v_bfe_i32 v16, v16, 0, 16
	s_delay_alu instid0(VALU_DEP_1) | instskip(NEXT) | instid1(VALU_DEP_1)
	v_and_b32_e32 v16, 0x80000000, v16
	v_lshl_add_u32 v16, v17, 23, v16
	s_delay_alu instid0(VALU_DEP_1) | instskip(NEXT) | instid1(VALU_DEP_1)
	v_lshl_or_b32 v2, v2, 21, v16
                                        ; implicit-def: $vgpr16
	v_add_nc_u32_e32 v17, 0x38000000, v2
                                        ; implicit-def: $vgpr2
.LBB4_8602:                             ;   in Loop: Header=BB4_8282 Depth=2
	s_and_not1_saveexec_b32 s11, s11
; %bb.8603:                             ;   in Loop: Header=BB4_8282 Depth=2
	v_cmp_lt_i16_e32 vcc_lo, -1, v16
	v_cndmask_b32_e32 v16, 0xff800000, v109, vcc_lo
	v_cmp_eq_u32_e32 vcc_lo, 0, v2
	s_delay_alu instid0(VALU_DEP_2)
	v_cndmask_b32_e32 v17, 0x7f800001, v16, vcc_lo
; %bb.8604:                             ;   in Loop: Header=BB4_8282 Depth=2
	s_or_b32 exec_lo, exec_lo, s11
.LBB4_8605:                             ;   in Loop: Header=BB4_8282 Depth=2
	s_delay_alu instid0(SALU_CYCLE_1)
	s_or_b32 exec_lo, exec_lo, s10
.LBB4_8606:                             ;   in Loop: Header=BB4_8282 Depth=2
	s_delay_alu instid0(SALU_CYCLE_1) | instskip(NEXT) | instid1(VALU_DEP_1)
	s_or_b32 exec_lo, exec_lo, s7
	v_dual_mul_f32 v16, s28, v17 :: v_dual_mov_b32 v21, v37
                                        ; implicit-def: $vgpr98
	s_mov_b32 s7, exec_lo
	s_delay_alu instid0(VALU_DEP_1) | instskip(SKIP_1) | instid1(VALU_DEP_2)
	v_and_b32_e32 v20, 0x7f800000, v16
	v_and_b32_e32 v36, 0x7fffff, v16
	v_cmpx_ne_u64_e32 0x7f800000, v[20:21]
	s_xor_b32 s10, exec_lo, s7
	s_cbranch_execz .LBB4_8624
; %bb.8607:                             ;   in Loop: Header=BB4_8282 Depth=2
	v_dual_mov_b32 v21, v37 :: v_dual_lshrrev_b32 v2, 24, v16
	v_and_b32_e32 v20, 0x7fffffff, v16
                                        ; implicit-def: $vgpr98
	s_mov_b32 s7, exec_lo
	s_delay_alu instid0(VALU_DEP_2) | instskip(NEXT) | instid1(VALU_DEP_2)
	v_and_b32_e32 v2, 0x80, v2
	v_cmpx_gt_u64_e32 0x47600001, v[20:21]
	s_xor_b32 s11, exec_lo, s7
	s_cbranch_execz .LBB4_8621
; %bb.8608:                             ;   in Loop: Header=BB4_8282 Depth=2
	v_mov_b32_e32 v98, 0
	s_mov_b32 s29, exec_lo
	v_cmpx_ne_u32_e32 0, v16
	s_cbranch_execz .LBB4_8620
; %bb.8609:                             ;   in Loop: Header=BB4_8282 Depth=2
	v_bfe_u32 v20, v16, 23, 8
	v_or_b32_e32 v24, 0x800000, v36
	s_delay_alu instid0(VALU_DEP_2) | instskip(SKIP_1) | instid1(VALU_DEP_2)
	v_dual_mov_b32 v25, v37 :: v_dual_sub_nc_u32 v16, 0x71, v20
	v_cmp_gt_u32_e32 vcc_lo, 0x72, v20
	v_cndmask_b32_e32 v16, 0, v16, vcc_lo
	v_cmp_eq_u32_e32 vcc_lo, 0, v20
	s_delay_alu instid0(VALU_DEP_2) | instskip(NEXT) | instid1(VALU_DEP_1)
	v_cndmask_b32_e64 v21, v16, 0x70, vcc_lo
	v_dual_cndmask_b32 v24, v24, v36, vcc_lo :: v_dual_add_nc_u32 v16, 21, v21
	v_add_nc_u32_e32 v31, 20, v21
	s_delay_alu instid0(VALU_DEP_2) | instskip(NEXT) | instid1(VALU_DEP_2)
	v_lshlrev_b64_e64 v[16:17], v16, -1
	v_lshlrev_b64_e64 v[68:69], v31, 1
	s_delay_alu instid0(VALU_DEP_2) | instskip(NEXT) | instid1(VALU_DEP_3)
	v_bfi_b32 v71, v17, 0, 0
	v_bfi_b32 v70, v16, 0, v24
	v_lshrrev_b64 v[16:17], v21, v[24:25]
	s_delay_alu instid0(VALU_DEP_2) | instskip(NEXT) | instid1(VALU_DEP_2)
	v_cmp_eq_u64_e64 s7, v[70:71], v[68:69]
	v_mov_b64_e32 v[68:69], v[16:17]
	s_and_saveexec_b32 s40, s7
; %bb.8610:                             ;   in Loop: Header=BB4_8282 Depth=2
	v_bfe_u32 v24, v16, 21, 1
	v_mov_b32_e32 v25, v37
	s_delay_alu instid0(VALU_DEP_1) | instskip(NEXT) | instid1(VALU_DEP_1)
	v_add_nc_u64_e32 v[24:25], v[16:17], v[24:25]
	v_add_nc_u64_e32 v[68:69], -1, v[24:25]
; %bb.8611:                             ;   in Loop: Header=BB4_8282 Depth=2
	s_or_b32 exec_lo, exec_lo, s40
	v_add_nc_u32_e32 v17, 0xffffff81, v20
	s_delay_alu instid0(VALU_DEP_2) | instskip(SKIP_2) | instid1(VALU_DEP_3)
	v_and_b32_e32 v24, 0x1fffff, v68
	v_lshrrev_b32_e32 v20, 23, v16
	s_mov_b32 s7, exec_lo
	v_cndmask_b32_e64 v17, v17, 0xffffff82, vcc_lo
	s_delay_alu instid0(VALU_DEP_3) | instskip(NEXT) | instid1(VALU_DEP_2)
	v_add_nc_u32_e32 v36, v24, v16
	v_add3_u32 v21, v21, v17, v20
                                        ; implicit-def: $vgpr16_vgpr17
                                        ; implicit-def: $vgpr20
	s_delay_alu instid0(VALU_DEP_1) | instskip(NEXT) | instid1(VALU_DEP_1)
	v_add_nc_u32_e32 v68, 14, v21
	v_cmpx_ne_u32_e32 0, v68
	s_xor_b32 s7, exec_lo, s7
; %bb.8612:                             ;   in Loop: Header=BB4_8282 Depth=2
	v_cmp_lt_u64_e32 vcc_lo, 0xffffff, v[36:37]
	v_add_nc_u32_e32 v16, 15, v21
	s_delay_alu instid0(VALU_DEP_1) | instskip(SKIP_1) | instid1(VALU_DEP_1)
	v_cndmask_b32_e32 v20, v68, v16, vcc_lo
	v_cndmask_b32_e64 v16, 0, 1, vcc_lo
	v_lshrrev_b64 v[16:17], v16, v[36:37]
; %bb.8613:                             ;   in Loop: Header=BB4_8282 Depth=2
	s_and_not1_saveexec_b32 s7, s7
; %bb.8614:                             ;   in Loop: Header=BB4_8282 Depth=2
	v_mov_b64_e32 v[16:17], v[36:37]
	v_bfe_u32 v20, v36, 23, 1
; %bb.8615:                             ;   in Loop: Header=BB4_8282 Depth=2
	s_or_b32 exec_lo, exec_lo, s7
	s_delay_alu instid0(VALU_DEP_2) | instskip(NEXT) | instid1(VALU_DEP_2)
	v_lshrrev_b64 v[16:17], 21, v[16:17]
	v_cmp_gt_i32_e32 vcc_lo, 32, v20
	v_cmp_ne_u32_e64 s7, 0, v20
                                        ; implicit-def: $vgpr98
	s_delay_alu instid0(VALU_DEP_3) | instskip(NEXT) | instid1(VALU_DEP_1)
	v_dual_cndmask_b32 v17, 0, v17 :: v_dual_cndmask_b32 v16, 3, v16
	v_cmp_ne_u64_e32 vcc_lo, 0, v[16:17]
	s_or_b32 s7, s7, vcc_lo
	s_delay_alu instid0(SALU_CYCLE_1) | instskip(NEXT) | instid1(SALU_CYCLE_1)
	s_and_saveexec_b32 s40, s7
	s_xor_b32 s7, exec_lo, s40
; %bb.8616:                             ;   in Loop: Header=BB4_8282 Depth=2
	v_min_i32_e32 v17, 31, v20
	s_delay_alu instid0(VALU_DEP_1) | instskip(NEXT) | instid1(VALU_DEP_1)
	v_lshl_or_b32 v2, v17, 2, v2
	v_and_or_b32 v98, v16, 3, v2
                                        ; implicit-def: $vgpr2
; %bb.8617:                             ;   in Loop: Header=BB4_8282 Depth=2
	s_and_not1_saveexec_b32 s7, s7
; %bb.8618:                             ;   in Loop: Header=BB4_8282 Depth=2
	v_mov_b32_e32 v98, v2
; %bb.8619:                             ;   in Loop: Header=BB4_8282 Depth=2
	s_or_b32 exec_lo, exec_lo, s7
.LBB4_8620:                             ;   in Loop: Header=BB4_8282 Depth=2
	s_delay_alu instid0(SALU_CYCLE_1)
	s_or_b32 exec_lo, exec_lo, s29
                                        ; implicit-def: $vgpr2
.LBB4_8621:                             ;   in Loop: Header=BB4_8282 Depth=2
	s_and_not1_saveexec_b32 s7, s11
; %bb.8622:                             ;   in Loop: Header=BB4_8282 Depth=2
	v_or_b32_e32 v98, 0x7b, v2
; %bb.8623:                             ;   in Loop: Header=BB4_8282 Depth=2
	s_or_b32 exec_lo, exec_lo, s7
                                        ; implicit-def: $vgpr16
.LBB4_8624:                             ;   in Loop: Header=BB4_8282 Depth=2
	s_and_not1_saveexec_b32 s7, s10
	s_cbranch_execz .LBB4_8630
; %bb.8625:                             ;   in Loop: Header=BB4_8282 Depth=2
	s_mov_b32 s10, exec_lo
                                        ; implicit-def: $vgpr98
	v_cmpx_ne_u64_e32 0, v[36:37]
	s_xor_b32 s10, exec_lo, s10
; %bb.8626:                             ;   in Loop: Header=BB4_8282 Depth=2
	v_lshrrev_b32_e32 v2, 24, v16
                                        ; implicit-def: $vgpr16
	s_delay_alu instid0(VALU_DEP_1)
	v_or_b32_e32 v98, 0x7f, v2
; %bb.8627:                             ;   in Loop: Header=BB4_8282 Depth=2
	s_and_not1_saveexec_b32 s10, s10
; %bb.8628:                             ;   in Loop: Header=BB4_8282 Depth=2
	v_cmp_lt_i32_e32 vcc_lo, -1, v16
	v_cndmask_b32_e64 v98, -4, 0x7c, vcc_lo
; %bb.8629:                             ;   in Loop: Header=BB4_8282 Depth=2
	s_or_b32 exec_lo, exec_lo, s10
.LBB4_8630:                             ;   in Loop: Header=BB4_8282 Depth=2
	s_delay_alu instid0(SALU_CYCLE_1)
	s_or_b32 exec_lo, exec_lo, s7
	flat_load_i8 v16, v[10:11] offset:320 th:TH_LOAD_NT
	v_mov_b32_e32 v17, 0
	s_mov_b32 s7, exec_lo
	s_wait_loadcnt_dscnt 0x0
	v_cmpx_ne_u16_e32 0, v16
	s_cbranch_execz .LBB4_8640
; %bb.8631:                             ;   in Loop: Header=BB4_8282 Depth=2
	v_bfrev_b32_e32 v17, 1
	s_mov_b32 s10, exec_lo
	v_cmpx_ne_u16_e32 0xff80, v16
	s_cbranch_execz .LBB4_8639
; %bb.8632:                             ;   in Loop: Header=BB4_8282 Depth=2
	v_and_b32_e32 v17, 0x7c, v16
	v_and_b32_e32 v2, 3, v16
	s_delay_alu instid0(VALU_DEP_2) | instskip(SKIP_1) | instid1(SALU_CYCLE_1)
	v_cmp_ne_u32_e32 vcc_lo, 0x7c, v17
                                        ; implicit-def: $vgpr17
	s_and_saveexec_b32 s11, vcc_lo
	s_xor_b32 s11, exec_lo, s11
	s_cbranch_execz .LBB4_8636
; %bb.8633:                             ;   in Loop: Header=BB4_8282 Depth=2
	v_and_b32_e32 v17, 0xff, v16
	s_mov_b32 s29, exec_lo
	s_delay_alu instid0(VALU_DEP_1) | instskip(NEXT) | instid1(VALU_DEP_1)
	v_bfe_u32 v17, v17, 2, 5
	v_cmpx_eq_u32_e32 0, v17
; %bb.8634:                             ;   in Loop: Header=BB4_8282 Depth=2
	v_clz_i32_u32_e32 v2, v2
	v_mov_b32_e32 v17, v37
	s_delay_alu instid0(VALU_DEP_2) | instskip(NEXT) | instid1(VALU_DEP_1)
	v_min_u32_e32 v2, 32, v2
	v_subrev_nc_u32_e32 v20, 29, v2
	s_delay_alu instid0(VALU_DEP_1) | instskip(NEXT) | instid1(VALU_DEP_1)
	v_lshlrev_b64_e32 v[20:21], v20, v[16:17]
	v_dual_sub_nc_u32 v17, 30, v2 :: v_dual_bitop2_b32 v2, 3, v20 bitop3:0x40
; %bb.8635:                             ;   in Loop: Header=BB4_8282 Depth=2
	s_or_b32 exec_lo, exec_lo, s29
	v_bfe_i32 v16, v16, 0, 16
	s_delay_alu instid0(VALU_DEP_1) | instskip(NEXT) | instid1(VALU_DEP_1)
	v_and_b32_e32 v16, 0x80000000, v16
	v_lshl_add_u32 v16, v17, 23, v16
	s_delay_alu instid0(VALU_DEP_1) | instskip(NEXT) | instid1(VALU_DEP_1)
	v_lshl_or_b32 v2, v2, 21, v16
                                        ; implicit-def: $vgpr16
	v_add_nc_u32_e32 v17, 0x38000000, v2
                                        ; implicit-def: $vgpr2
.LBB4_8636:                             ;   in Loop: Header=BB4_8282 Depth=2
	s_and_not1_saveexec_b32 s11, s11
; %bb.8637:                             ;   in Loop: Header=BB4_8282 Depth=2
	v_cmp_lt_i16_e32 vcc_lo, -1, v16
	v_cndmask_b32_e32 v16, 0xff800000, v109, vcc_lo
	v_cmp_eq_u32_e32 vcc_lo, 0, v2
	s_delay_alu instid0(VALU_DEP_2)
	v_cndmask_b32_e32 v17, 0x7f800001, v16, vcc_lo
; %bb.8638:                             ;   in Loop: Header=BB4_8282 Depth=2
	s_or_b32 exec_lo, exec_lo, s11
.LBB4_8639:                             ;   in Loop: Header=BB4_8282 Depth=2
	s_delay_alu instid0(SALU_CYCLE_1)
	s_or_b32 exec_lo, exec_lo, s10
.LBB4_8640:                             ;   in Loop: Header=BB4_8282 Depth=2
	s_delay_alu instid0(SALU_CYCLE_1) | instskip(NEXT) | instid1(VALU_DEP_1)
	s_or_b32 exec_lo, exec_lo, s7
	v_dual_mul_f32 v16, s28, v17 :: v_dual_mov_b32 v21, v37
                                        ; implicit-def: $vgpr86
	s_mov_b32 s7, exec_lo
	s_delay_alu instid0(VALU_DEP_1) | instskip(SKIP_1) | instid1(VALU_DEP_2)
	v_and_b32_e32 v20, 0x7f800000, v16
	v_and_b32_e32 v36, 0x7fffff, v16
	v_cmpx_ne_u64_e32 0x7f800000, v[20:21]
	s_xor_b32 s10, exec_lo, s7
	s_cbranch_execz .LBB4_8658
; %bb.8641:                             ;   in Loop: Header=BB4_8282 Depth=2
	v_dual_mov_b32 v21, v37 :: v_dual_lshrrev_b32 v2, 24, v16
	v_and_b32_e32 v20, 0x7fffffff, v16
                                        ; implicit-def: $vgpr86
	s_mov_b32 s7, exec_lo
	s_delay_alu instid0(VALU_DEP_2) | instskip(NEXT) | instid1(VALU_DEP_2)
	v_and_b32_e32 v2, 0x80, v2
	v_cmpx_gt_u64_e32 0x47600001, v[20:21]
	s_xor_b32 s11, exec_lo, s7
	s_cbranch_execz .LBB4_8655
; %bb.8642:                             ;   in Loop: Header=BB4_8282 Depth=2
	v_mov_b32_e32 v86, 0
	s_mov_b32 s29, exec_lo
	v_cmpx_ne_u32_e32 0, v16
	s_cbranch_execz .LBB4_8654
; %bb.8643:                             ;   in Loop: Header=BB4_8282 Depth=2
	v_bfe_u32 v20, v16, 23, 8
	v_or_b32_e32 v24, 0x800000, v36
	s_delay_alu instid0(VALU_DEP_2) | instskip(SKIP_1) | instid1(VALU_DEP_2)
	v_dual_mov_b32 v25, v37 :: v_dual_sub_nc_u32 v16, 0x71, v20
	v_cmp_gt_u32_e32 vcc_lo, 0x72, v20
	v_cndmask_b32_e32 v16, 0, v16, vcc_lo
	v_cmp_eq_u32_e32 vcc_lo, 0, v20
	s_delay_alu instid0(VALU_DEP_2) | instskip(NEXT) | instid1(VALU_DEP_1)
	v_cndmask_b32_e64 v21, v16, 0x70, vcc_lo
	v_dual_cndmask_b32 v24, v24, v36, vcc_lo :: v_dual_add_nc_u32 v16, 21, v21
	v_add_nc_u32_e32 v31, 20, v21
	s_delay_alu instid0(VALU_DEP_2) | instskip(NEXT) | instid1(VALU_DEP_2)
	v_lshlrev_b64_e64 v[16:17], v16, -1
	v_lshlrev_b64_e64 v[68:69], v31, 1
	s_delay_alu instid0(VALU_DEP_2) | instskip(NEXT) | instid1(VALU_DEP_3)
	v_bfi_b32 v71, v17, 0, 0
	v_bfi_b32 v70, v16, 0, v24
	v_lshrrev_b64 v[16:17], v21, v[24:25]
	s_delay_alu instid0(VALU_DEP_2) | instskip(NEXT) | instid1(VALU_DEP_2)
	v_cmp_eq_u64_e64 s7, v[70:71], v[68:69]
	v_mov_b64_e32 v[68:69], v[16:17]
	s_and_saveexec_b32 s40, s7
; %bb.8644:                             ;   in Loop: Header=BB4_8282 Depth=2
	v_bfe_u32 v24, v16, 21, 1
	v_mov_b32_e32 v25, v37
	s_delay_alu instid0(VALU_DEP_1) | instskip(NEXT) | instid1(VALU_DEP_1)
	v_add_nc_u64_e32 v[24:25], v[16:17], v[24:25]
	v_add_nc_u64_e32 v[68:69], -1, v[24:25]
; %bb.8645:                             ;   in Loop: Header=BB4_8282 Depth=2
	s_or_b32 exec_lo, exec_lo, s40
	v_add_nc_u32_e32 v17, 0xffffff81, v20
	s_delay_alu instid0(VALU_DEP_2) | instskip(SKIP_2) | instid1(VALU_DEP_3)
	v_and_b32_e32 v24, 0x1fffff, v68
	v_lshrrev_b32_e32 v20, 23, v16
	s_mov_b32 s7, exec_lo
	v_cndmask_b32_e64 v17, v17, 0xffffff82, vcc_lo
	s_delay_alu instid0(VALU_DEP_3) | instskip(NEXT) | instid1(VALU_DEP_2)
	v_add_nc_u32_e32 v36, v24, v16
	v_add3_u32 v21, v21, v17, v20
                                        ; implicit-def: $vgpr16_vgpr17
                                        ; implicit-def: $vgpr20
	s_delay_alu instid0(VALU_DEP_1) | instskip(NEXT) | instid1(VALU_DEP_1)
	v_add_nc_u32_e32 v68, 14, v21
	v_cmpx_ne_u32_e32 0, v68
	s_xor_b32 s7, exec_lo, s7
; %bb.8646:                             ;   in Loop: Header=BB4_8282 Depth=2
	v_cmp_lt_u64_e32 vcc_lo, 0xffffff, v[36:37]
	v_add_nc_u32_e32 v16, 15, v21
	s_delay_alu instid0(VALU_DEP_1) | instskip(SKIP_1) | instid1(VALU_DEP_1)
	v_cndmask_b32_e32 v20, v68, v16, vcc_lo
	v_cndmask_b32_e64 v16, 0, 1, vcc_lo
	v_lshrrev_b64 v[16:17], v16, v[36:37]
; %bb.8647:                             ;   in Loop: Header=BB4_8282 Depth=2
	s_and_not1_saveexec_b32 s7, s7
; %bb.8648:                             ;   in Loop: Header=BB4_8282 Depth=2
	v_mov_b64_e32 v[16:17], v[36:37]
	v_bfe_u32 v20, v36, 23, 1
; %bb.8649:                             ;   in Loop: Header=BB4_8282 Depth=2
	s_or_b32 exec_lo, exec_lo, s7
	s_delay_alu instid0(VALU_DEP_2) | instskip(NEXT) | instid1(VALU_DEP_2)
	v_lshrrev_b64 v[16:17], 21, v[16:17]
	v_cmp_gt_i32_e32 vcc_lo, 32, v20
	v_cmp_ne_u32_e64 s7, 0, v20
                                        ; implicit-def: $vgpr86
	s_delay_alu instid0(VALU_DEP_3) | instskip(NEXT) | instid1(VALU_DEP_1)
	v_dual_cndmask_b32 v17, 0, v17 :: v_dual_cndmask_b32 v16, 3, v16
	v_cmp_ne_u64_e32 vcc_lo, 0, v[16:17]
	s_or_b32 s7, s7, vcc_lo
	s_delay_alu instid0(SALU_CYCLE_1) | instskip(NEXT) | instid1(SALU_CYCLE_1)
	s_and_saveexec_b32 s40, s7
	s_xor_b32 s7, exec_lo, s40
; %bb.8650:                             ;   in Loop: Header=BB4_8282 Depth=2
	v_min_i32_e32 v17, 31, v20
	s_delay_alu instid0(VALU_DEP_1) | instskip(NEXT) | instid1(VALU_DEP_1)
	v_lshl_or_b32 v2, v17, 2, v2
	v_and_or_b32 v86, v16, 3, v2
                                        ; implicit-def: $vgpr2
; %bb.8651:                             ;   in Loop: Header=BB4_8282 Depth=2
	s_and_not1_saveexec_b32 s7, s7
; %bb.8652:                             ;   in Loop: Header=BB4_8282 Depth=2
	v_mov_b32_e32 v86, v2
; %bb.8653:                             ;   in Loop: Header=BB4_8282 Depth=2
	s_or_b32 exec_lo, exec_lo, s7
.LBB4_8654:                             ;   in Loop: Header=BB4_8282 Depth=2
	s_delay_alu instid0(SALU_CYCLE_1)
	s_or_b32 exec_lo, exec_lo, s29
                                        ; implicit-def: $vgpr2
.LBB4_8655:                             ;   in Loop: Header=BB4_8282 Depth=2
	s_and_not1_saveexec_b32 s7, s11
; %bb.8656:                             ;   in Loop: Header=BB4_8282 Depth=2
	v_or_b32_e32 v86, 0x7b, v2
; %bb.8657:                             ;   in Loop: Header=BB4_8282 Depth=2
	s_or_b32 exec_lo, exec_lo, s7
                                        ; implicit-def: $vgpr16
.LBB4_8658:                             ;   in Loop: Header=BB4_8282 Depth=2
	s_and_not1_saveexec_b32 s7, s10
	s_cbranch_execz .LBB4_8664
; %bb.8659:                             ;   in Loop: Header=BB4_8282 Depth=2
	s_mov_b32 s10, exec_lo
                                        ; implicit-def: $vgpr86
	v_cmpx_ne_u64_e32 0, v[36:37]
	s_xor_b32 s10, exec_lo, s10
; %bb.8660:                             ;   in Loop: Header=BB4_8282 Depth=2
	v_lshrrev_b32_e32 v2, 24, v16
                                        ; implicit-def: $vgpr16
	s_delay_alu instid0(VALU_DEP_1)
	v_or_b32_e32 v86, 0x7f, v2
; %bb.8661:                             ;   in Loop: Header=BB4_8282 Depth=2
	s_and_not1_saveexec_b32 s10, s10
; %bb.8662:                             ;   in Loop: Header=BB4_8282 Depth=2
	v_cmp_lt_i32_e32 vcc_lo, -1, v16
	v_cndmask_b32_e64 v86, -4, 0x7c, vcc_lo
; %bb.8663:                             ;   in Loop: Header=BB4_8282 Depth=2
	s_or_b32 exec_lo, exec_lo, s10
.LBB4_8664:                             ;   in Loop: Header=BB4_8282 Depth=2
	s_delay_alu instid0(SALU_CYCLE_1)
	s_or_b32 exec_lo, exec_lo, s7
	flat_load_i8 v16, v[10:11] offset:352 th:TH_LOAD_NT
	v_mov_b32_e32 v17, 0
	s_mov_b32 s7, exec_lo
	s_wait_loadcnt_dscnt 0x0
	v_cmpx_ne_u16_e32 0, v16
	s_cbranch_execz .LBB4_8674
; %bb.8665:                             ;   in Loop: Header=BB4_8282 Depth=2
	v_bfrev_b32_e32 v17, 1
	s_mov_b32 s10, exec_lo
	v_cmpx_ne_u16_e32 0xff80, v16
	s_cbranch_execz .LBB4_8673
; %bb.8666:                             ;   in Loop: Header=BB4_8282 Depth=2
	v_and_b32_e32 v17, 0x7c, v16
	v_and_b32_e32 v2, 3, v16
	s_delay_alu instid0(VALU_DEP_2) | instskip(SKIP_1) | instid1(SALU_CYCLE_1)
	v_cmp_ne_u32_e32 vcc_lo, 0x7c, v17
                                        ; implicit-def: $vgpr17
	s_and_saveexec_b32 s11, vcc_lo
	s_xor_b32 s11, exec_lo, s11
	s_cbranch_execz .LBB4_8670
; %bb.8667:                             ;   in Loop: Header=BB4_8282 Depth=2
	v_and_b32_e32 v17, 0xff, v16
	s_mov_b32 s29, exec_lo
	s_delay_alu instid0(VALU_DEP_1) | instskip(NEXT) | instid1(VALU_DEP_1)
	v_bfe_u32 v17, v17, 2, 5
	v_cmpx_eq_u32_e32 0, v17
; %bb.8668:                             ;   in Loop: Header=BB4_8282 Depth=2
	v_clz_i32_u32_e32 v2, v2
	v_mov_b32_e32 v17, v37
	s_delay_alu instid0(VALU_DEP_2) | instskip(NEXT) | instid1(VALU_DEP_1)
	v_min_u32_e32 v2, 32, v2
	v_subrev_nc_u32_e32 v20, 29, v2
	s_delay_alu instid0(VALU_DEP_1) | instskip(NEXT) | instid1(VALU_DEP_1)
	v_lshlrev_b64_e32 v[20:21], v20, v[16:17]
	v_dual_sub_nc_u32 v17, 30, v2 :: v_dual_bitop2_b32 v2, 3, v20 bitop3:0x40
; %bb.8669:                             ;   in Loop: Header=BB4_8282 Depth=2
	s_or_b32 exec_lo, exec_lo, s29
	v_bfe_i32 v16, v16, 0, 16
	s_delay_alu instid0(VALU_DEP_1) | instskip(NEXT) | instid1(VALU_DEP_1)
	v_and_b32_e32 v16, 0x80000000, v16
	v_lshl_add_u32 v16, v17, 23, v16
	s_delay_alu instid0(VALU_DEP_1) | instskip(NEXT) | instid1(VALU_DEP_1)
	v_lshl_or_b32 v2, v2, 21, v16
                                        ; implicit-def: $vgpr16
	v_add_nc_u32_e32 v17, 0x38000000, v2
                                        ; implicit-def: $vgpr2
.LBB4_8670:                             ;   in Loop: Header=BB4_8282 Depth=2
	s_and_not1_saveexec_b32 s11, s11
; %bb.8671:                             ;   in Loop: Header=BB4_8282 Depth=2
	v_cmp_lt_i16_e32 vcc_lo, -1, v16
	v_cndmask_b32_e32 v16, 0xff800000, v109, vcc_lo
	v_cmp_eq_u32_e32 vcc_lo, 0, v2
	s_delay_alu instid0(VALU_DEP_2)
	v_cndmask_b32_e32 v17, 0x7f800001, v16, vcc_lo
; %bb.8672:                             ;   in Loop: Header=BB4_8282 Depth=2
	s_or_b32 exec_lo, exec_lo, s11
.LBB4_8673:                             ;   in Loop: Header=BB4_8282 Depth=2
	s_delay_alu instid0(SALU_CYCLE_1)
	s_or_b32 exec_lo, exec_lo, s10
.LBB4_8674:                             ;   in Loop: Header=BB4_8282 Depth=2
	s_delay_alu instid0(SALU_CYCLE_1) | instskip(NEXT) | instid1(VALU_DEP_1)
	s_or_b32 exec_lo, exec_lo, s7
	v_dual_mul_f32 v16, s28, v17 :: v_dual_mov_b32 v21, v37
                                        ; implicit-def: $vgpr84
	s_mov_b32 s7, exec_lo
	s_delay_alu instid0(VALU_DEP_1) | instskip(SKIP_1) | instid1(VALU_DEP_2)
	v_and_b32_e32 v20, 0x7f800000, v16
	v_and_b32_e32 v36, 0x7fffff, v16
	v_cmpx_ne_u64_e32 0x7f800000, v[20:21]
	s_xor_b32 s10, exec_lo, s7
	s_cbranch_execz .LBB4_8692
; %bb.8675:                             ;   in Loop: Header=BB4_8282 Depth=2
	v_dual_mov_b32 v21, v37 :: v_dual_lshrrev_b32 v2, 24, v16
	v_and_b32_e32 v20, 0x7fffffff, v16
                                        ; implicit-def: $vgpr84
	s_mov_b32 s7, exec_lo
	s_delay_alu instid0(VALU_DEP_2) | instskip(NEXT) | instid1(VALU_DEP_2)
	v_and_b32_e32 v2, 0x80, v2
	v_cmpx_gt_u64_e32 0x47600001, v[20:21]
	s_xor_b32 s11, exec_lo, s7
	s_cbranch_execz .LBB4_8689
; %bb.8676:                             ;   in Loop: Header=BB4_8282 Depth=2
	v_mov_b32_e32 v84, 0
	s_mov_b32 s29, exec_lo
	v_cmpx_ne_u32_e32 0, v16
	s_cbranch_execz .LBB4_8688
; %bb.8677:                             ;   in Loop: Header=BB4_8282 Depth=2
	v_bfe_u32 v20, v16, 23, 8
	v_or_b32_e32 v24, 0x800000, v36
	s_delay_alu instid0(VALU_DEP_2) | instskip(SKIP_1) | instid1(VALU_DEP_2)
	v_dual_mov_b32 v25, v37 :: v_dual_sub_nc_u32 v16, 0x71, v20
	v_cmp_gt_u32_e32 vcc_lo, 0x72, v20
	v_cndmask_b32_e32 v16, 0, v16, vcc_lo
	v_cmp_eq_u32_e32 vcc_lo, 0, v20
	s_delay_alu instid0(VALU_DEP_2) | instskip(NEXT) | instid1(VALU_DEP_1)
	v_cndmask_b32_e64 v21, v16, 0x70, vcc_lo
	v_dual_cndmask_b32 v24, v24, v36, vcc_lo :: v_dual_add_nc_u32 v16, 21, v21
	v_add_nc_u32_e32 v31, 20, v21
	s_delay_alu instid0(VALU_DEP_2) | instskip(NEXT) | instid1(VALU_DEP_2)
	v_lshlrev_b64_e64 v[16:17], v16, -1
	v_lshlrev_b64_e64 v[68:69], v31, 1
	s_delay_alu instid0(VALU_DEP_2) | instskip(NEXT) | instid1(VALU_DEP_3)
	v_bfi_b32 v71, v17, 0, 0
	v_bfi_b32 v70, v16, 0, v24
	v_lshrrev_b64 v[16:17], v21, v[24:25]
	s_delay_alu instid0(VALU_DEP_2) | instskip(NEXT) | instid1(VALU_DEP_2)
	v_cmp_eq_u64_e64 s7, v[70:71], v[68:69]
	v_mov_b64_e32 v[68:69], v[16:17]
	s_and_saveexec_b32 s40, s7
; %bb.8678:                             ;   in Loop: Header=BB4_8282 Depth=2
	v_bfe_u32 v24, v16, 21, 1
	v_mov_b32_e32 v25, v37
	s_delay_alu instid0(VALU_DEP_1) | instskip(NEXT) | instid1(VALU_DEP_1)
	v_add_nc_u64_e32 v[24:25], v[16:17], v[24:25]
	v_add_nc_u64_e32 v[68:69], -1, v[24:25]
; %bb.8679:                             ;   in Loop: Header=BB4_8282 Depth=2
	s_or_b32 exec_lo, exec_lo, s40
	v_add_nc_u32_e32 v17, 0xffffff81, v20
	s_delay_alu instid0(VALU_DEP_2) | instskip(SKIP_2) | instid1(VALU_DEP_3)
	v_and_b32_e32 v24, 0x1fffff, v68
	v_lshrrev_b32_e32 v20, 23, v16
	s_mov_b32 s7, exec_lo
	v_cndmask_b32_e64 v17, v17, 0xffffff82, vcc_lo
	s_delay_alu instid0(VALU_DEP_3) | instskip(NEXT) | instid1(VALU_DEP_2)
	v_add_nc_u32_e32 v36, v24, v16
	v_add3_u32 v21, v21, v17, v20
                                        ; implicit-def: $vgpr16_vgpr17
                                        ; implicit-def: $vgpr20
	s_delay_alu instid0(VALU_DEP_1) | instskip(NEXT) | instid1(VALU_DEP_1)
	v_add_nc_u32_e32 v68, 14, v21
	v_cmpx_ne_u32_e32 0, v68
	s_xor_b32 s7, exec_lo, s7
; %bb.8680:                             ;   in Loop: Header=BB4_8282 Depth=2
	v_cmp_lt_u64_e32 vcc_lo, 0xffffff, v[36:37]
	v_add_nc_u32_e32 v16, 15, v21
	s_delay_alu instid0(VALU_DEP_1) | instskip(SKIP_1) | instid1(VALU_DEP_1)
	v_cndmask_b32_e32 v20, v68, v16, vcc_lo
	v_cndmask_b32_e64 v16, 0, 1, vcc_lo
	v_lshrrev_b64 v[16:17], v16, v[36:37]
; %bb.8681:                             ;   in Loop: Header=BB4_8282 Depth=2
	s_and_not1_saveexec_b32 s7, s7
; %bb.8682:                             ;   in Loop: Header=BB4_8282 Depth=2
	v_mov_b64_e32 v[16:17], v[36:37]
	v_bfe_u32 v20, v36, 23, 1
; %bb.8683:                             ;   in Loop: Header=BB4_8282 Depth=2
	s_or_b32 exec_lo, exec_lo, s7
	s_delay_alu instid0(VALU_DEP_2) | instskip(NEXT) | instid1(VALU_DEP_2)
	v_lshrrev_b64 v[16:17], 21, v[16:17]
	v_cmp_gt_i32_e32 vcc_lo, 32, v20
	v_cmp_ne_u32_e64 s7, 0, v20
                                        ; implicit-def: $vgpr84
	s_delay_alu instid0(VALU_DEP_3) | instskip(NEXT) | instid1(VALU_DEP_1)
	v_dual_cndmask_b32 v17, 0, v17 :: v_dual_cndmask_b32 v16, 3, v16
	v_cmp_ne_u64_e32 vcc_lo, 0, v[16:17]
	s_or_b32 s7, s7, vcc_lo
	s_delay_alu instid0(SALU_CYCLE_1) | instskip(NEXT) | instid1(SALU_CYCLE_1)
	s_and_saveexec_b32 s40, s7
	s_xor_b32 s7, exec_lo, s40
; %bb.8684:                             ;   in Loop: Header=BB4_8282 Depth=2
	v_min_i32_e32 v17, 31, v20
	s_delay_alu instid0(VALU_DEP_1) | instskip(NEXT) | instid1(VALU_DEP_1)
	v_lshl_or_b32 v2, v17, 2, v2
	v_and_or_b32 v84, v16, 3, v2
                                        ; implicit-def: $vgpr2
; %bb.8685:                             ;   in Loop: Header=BB4_8282 Depth=2
	s_and_not1_saveexec_b32 s7, s7
; %bb.8686:                             ;   in Loop: Header=BB4_8282 Depth=2
	v_mov_b32_e32 v84, v2
; %bb.8687:                             ;   in Loop: Header=BB4_8282 Depth=2
	s_or_b32 exec_lo, exec_lo, s7
.LBB4_8688:                             ;   in Loop: Header=BB4_8282 Depth=2
	s_delay_alu instid0(SALU_CYCLE_1)
	s_or_b32 exec_lo, exec_lo, s29
                                        ; implicit-def: $vgpr2
.LBB4_8689:                             ;   in Loop: Header=BB4_8282 Depth=2
	s_and_not1_saveexec_b32 s7, s11
; %bb.8690:                             ;   in Loop: Header=BB4_8282 Depth=2
	v_or_b32_e32 v84, 0x7b, v2
; %bb.8691:                             ;   in Loop: Header=BB4_8282 Depth=2
	s_or_b32 exec_lo, exec_lo, s7
                                        ; implicit-def: $vgpr16
.LBB4_8692:                             ;   in Loop: Header=BB4_8282 Depth=2
	s_and_not1_saveexec_b32 s7, s10
	s_cbranch_execz .LBB4_8698
; %bb.8693:                             ;   in Loop: Header=BB4_8282 Depth=2
	s_mov_b32 s10, exec_lo
                                        ; implicit-def: $vgpr84
	v_cmpx_ne_u64_e32 0, v[36:37]
	s_xor_b32 s10, exec_lo, s10
; %bb.8694:                             ;   in Loop: Header=BB4_8282 Depth=2
	v_lshrrev_b32_e32 v2, 24, v16
                                        ; implicit-def: $vgpr16
	s_delay_alu instid0(VALU_DEP_1)
	v_or_b32_e32 v84, 0x7f, v2
; %bb.8695:                             ;   in Loop: Header=BB4_8282 Depth=2
	s_and_not1_saveexec_b32 s10, s10
; %bb.8696:                             ;   in Loop: Header=BB4_8282 Depth=2
	v_cmp_lt_i32_e32 vcc_lo, -1, v16
	v_cndmask_b32_e64 v84, -4, 0x7c, vcc_lo
; %bb.8697:                             ;   in Loop: Header=BB4_8282 Depth=2
	s_or_b32 exec_lo, exec_lo, s10
.LBB4_8698:                             ;   in Loop: Header=BB4_8282 Depth=2
	s_delay_alu instid0(SALU_CYCLE_1)
	s_or_b32 exec_lo, exec_lo, s7
	flat_load_i8 v16, v[10:11] offset:384 th:TH_LOAD_NT
	v_mov_b32_e32 v17, 0
	s_mov_b32 s7, exec_lo
	s_wait_loadcnt_dscnt 0x0
	v_cmpx_ne_u16_e32 0, v16
	s_cbranch_execz .LBB4_8708
; %bb.8699:                             ;   in Loop: Header=BB4_8282 Depth=2
	v_bfrev_b32_e32 v17, 1
	s_mov_b32 s10, exec_lo
	v_cmpx_ne_u16_e32 0xff80, v16
	s_cbranch_execz .LBB4_8707
; %bb.8700:                             ;   in Loop: Header=BB4_8282 Depth=2
	v_and_b32_e32 v17, 0x7c, v16
	v_and_b32_e32 v2, 3, v16
	s_delay_alu instid0(VALU_DEP_2) | instskip(SKIP_1) | instid1(SALU_CYCLE_1)
	v_cmp_ne_u32_e32 vcc_lo, 0x7c, v17
                                        ; implicit-def: $vgpr17
	s_and_saveexec_b32 s11, vcc_lo
	s_xor_b32 s11, exec_lo, s11
	s_cbranch_execz .LBB4_8704
; %bb.8701:                             ;   in Loop: Header=BB4_8282 Depth=2
	v_and_b32_e32 v17, 0xff, v16
	s_mov_b32 s29, exec_lo
	s_delay_alu instid0(VALU_DEP_1) | instskip(NEXT) | instid1(VALU_DEP_1)
	v_bfe_u32 v17, v17, 2, 5
	v_cmpx_eq_u32_e32 0, v17
; %bb.8702:                             ;   in Loop: Header=BB4_8282 Depth=2
	v_clz_i32_u32_e32 v2, v2
	v_mov_b32_e32 v17, v37
	s_delay_alu instid0(VALU_DEP_2) | instskip(NEXT) | instid1(VALU_DEP_1)
	v_min_u32_e32 v2, 32, v2
	v_subrev_nc_u32_e32 v20, 29, v2
	s_delay_alu instid0(VALU_DEP_1) | instskip(NEXT) | instid1(VALU_DEP_1)
	v_lshlrev_b64_e32 v[20:21], v20, v[16:17]
	v_dual_sub_nc_u32 v17, 30, v2 :: v_dual_bitop2_b32 v2, 3, v20 bitop3:0x40
; %bb.8703:                             ;   in Loop: Header=BB4_8282 Depth=2
	s_or_b32 exec_lo, exec_lo, s29
	v_bfe_i32 v16, v16, 0, 16
	s_delay_alu instid0(VALU_DEP_1) | instskip(NEXT) | instid1(VALU_DEP_1)
	v_and_b32_e32 v16, 0x80000000, v16
	v_lshl_add_u32 v16, v17, 23, v16
	s_delay_alu instid0(VALU_DEP_1) | instskip(NEXT) | instid1(VALU_DEP_1)
	v_lshl_or_b32 v2, v2, 21, v16
                                        ; implicit-def: $vgpr16
	v_add_nc_u32_e32 v17, 0x38000000, v2
                                        ; implicit-def: $vgpr2
.LBB4_8704:                             ;   in Loop: Header=BB4_8282 Depth=2
	s_and_not1_saveexec_b32 s11, s11
; %bb.8705:                             ;   in Loop: Header=BB4_8282 Depth=2
	v_cmp_lt_i16_e32 vcc_lo, -1, v16
	v_cndmask_b32_e32 v16, 0xff800000, v109, vcc_lo
	v_cmp_eq_u32_e32 vcc_lo, 0, v2
	s_delay_alu instid0(VALU_DEP_2)
	v_cndmask_b32_e32 v17, 0x7f800001, v16, vcc_lo
; %bb.8706:                             ;   in Loop: Header=BB4_8282 Depth=2
	s_or_b32 exec_lo, exec_lo, s11
.LBB4_8707:                             ;   in Loop: Header=BB4_8282 Depth=2
	s_delay_alu instid0(SALU_CYCLE_1)
	s_or_b32 exec_lo, exec_lo, s10
.LBB4_8708:                             ;   in Loop: Header=BB4_8282 Depth=2
	s_delay_alu instid0(SALU_CYCLE_1) | instskip(NEXT) | instid1(VALU_DEP_1)
	s_or_b32 exec_lo, exec_lo, s7
	v_dual_mul_f32 v16, s28, v17 :: v_dual_mov_b32 v21, v37
                                        ; implicit-def: $vgpr82
	s_mov_b32 s7, exec_lo
	s_delay_alu instid0(VALU_DEP_1) | instskip(SKIP_1) | instid1(VALU_DEP_2)
	v_and_b32_e32 v20, 0x7f800000, v16
	v_and_b32_e32 v36, 0x7fffff, v16
	v_cmpx_ne_u64_e32 0x7f800000, v[20:21]
	s_xor_b32 s10, exec_lo, s7
	s_cbranch_execz .LBB4_8726
; %bb.8709:                             ;   in Loop: Header=BB4_8282 Depth=2
	v_dual_mov_b32 v21, v37 :: v_dual_lshrrev_b32 v2, 24, v16
	v_and_b32_e32 v20, 0x7fffffff, v16
                                        ; implicit-def: $vgpr82
	s_mov_b32 s7, exec_lo
	s_delay_alu instid0(VALU_DEP_2) | instskip(NEXT) | instid1(VALU_DEP_2)
	v_and_b32_e32 v2, 0x80, v2
	v_cmpx_gt_u64_e32 0x47600001, v[20:21]
	s_xor_b32 s11, exec_lo, s7
	s_cbranch_execz .LBB4_8723
; %bb.8710:                             ;   in Loop: Header=BB4_8282 Depth=2
	v_mov_b32_e32 v82, 0
	s_mov_b32 s29, exec_lo
	v_cmpx_ne_u32_e32 0, v16
	s_cbranch_execz .LBB4_8722
; %bb.8711:                             ;   in Loop: Header=BB4_8282 Depth=2
	v_bfe_u32 v20, v16, 23, 8
	v_or_b32_e32 v24, 0x800000, v36
	s_delay_alu instid0(VALU_DEP_2) | instskip(SKIP_1) | instid1(VALU_DEP_2)
	v_dual_mov_b32 v25, v37 :: v_dual_sub_nc_u32 v16, 0x71, v20
	v_cmp_gt_u32_e32 vcc_lo, 0x72, v20
	v_cndmask_b32_e32 v16, 0, v16, vcc_lo
	v_cmp_eq_u32_e32 vcc_lo, 0, v20
	s_delay_alu instid0(VALU_DEP_2) | instskip(NEXT) | instid1(VALU_DEP_1)
	v_cndmask_b32_e64 v21, v16, 0x70, vcc_lo
	v_dual_cndmask_b32 v24, v24, v36, vcc_lo :: v_dual_add_nc_u32 v16, 21, v21
	v_add_nc_u32_e32 v31, 20, v21
	s_delay_alu instid0(VALU_DEP_2) | instskip(NEXT) | instid1(VALU_DEP_2)
	v_lshlrev_b64_e64 v[16:17], v16, -1
	v_lshlrev_b64_e64 v[68:69], v31, 1
	s_delay_alu instid0(VALU_DEP_2) | instskip(NEXT) | instid1(VALU_DEP_3)
	v_bfi_b32 v71, v17, 0, 0
	v_bfi_b32 v70, v16, 0, v24
	v_lshrrev_b64 v[16:17], v21, v[24:25]
	s_delay_alu instid0(VALU_DEP_2) | instskip(NEXT) | instid1(VALU_DEP_2)
	v_cmp_eq_u64_e64 s7, v[70:71], v[68:69]
	v_mov_b64_e32 v[68:69], v[16:17]
	s_and_saveexec_b32 s40, s7
; %bb.8712:                             ;   in Loop: Header=BB4_8282 Depth=2
	v_bfe_u32 v24, v16, 21, 1
	v_mov_b32_e32 v25, v37
	s_delay_alu instid0(VALU_DEP_1) | instskip(NEXT) | instid1(VALU_DEP_1)
	v_add_nc_u64_e32 v[24:25], v[16:17], v[24:25]
	v_add_nc_u64_e32 v[68:69], -1, v[24:25]
; %bb.8713:                             ;   in Loop: Header=BB4_8282 Depth=2
	s_or_b32 exec_lo, exec_lo, s40
	v_add_nc_u32_e32 v17, 0xffffff81, v20
	s_delay_alu instid0(VALU_DEP_2) | instskip(SKIP_2) | instid1(VALU_DEP_3)
	v_and_b32_e32 v24, 0x1fffff, v68
	v_lshrrev_b32_e32 v20, 23, v16
	s_mov_b32 s7, exec_lo
	v_cndmask_b32_e64 v17, v17, 0xffffff82, vcc_lo
	s_delay_alu instid0(VALU_DEP_3) | instskip(NEXT) | instid1(VALU_DEP_2)
	v_add_nc_u32_e32 v36, v24, v16
	v_add3_u32 v21, v21, v17, v20
                                        ; implicit-def: $vgpr16_vgpr17
                                        ; implicit-def: $vgpr20
	s_delay_alu instid0(VALU_DEP_1) | instskip(NEXT) | instid1(VALU_DEP_1)
	v_add_nc_u32_e32 v68, 14, v21
	v_cmpx_ne_u32_e32 0, v68
	s_xor_b32 s7, exec_lo, s7
; %bb.8714:                             ;   in Loop: Header=BB4_8282 Depth=2
	v_cmp_lt_u64_e32 vcc_lo, 0xffffff, v[36:37]
	v_add_nc_u32_e32 v16, 15, v21
	s_delay_alu instid0(VALU_DEP_1) | instskip(SKIP_1) | instid1(VALU_DEP_1)
	v_cndmask_b32_e32 v20, v68, v16, vcc_lo
	v_cndmask_b32_e64 v16, 0, 1, vcc_lo
	v_lshrrev_b64 v[16:17], v16, v[36:37]
; %bb.8715:                             ;   in Loop: Header=BB4_8282 Depth=2
	s_and_not1_saveexec_b32 s7, s7
; %bb.8716:                             ;   in Loop: Header=BB4_8282 Depth=2
	v_mov_b64_e32 v[16:17], v[36:37]
	v_bfe_u32 v20, v36, 23, 1
; %bb.8717:                             ;   in Loop: Header=BB4_8282 Depth=2
	s_or_b32 exec_lo, exec_lo, s7
	s_delay_alu instid0(VALU_DEP_2) | instskip(NEXT) | instid1(VALU_DEP_2)
	v_lshrrev_b64 v[16:17], 21, v[16:17]
	v_cmp_gt_i32_e32 vcc_lo, 32, v20
	v_cmp_ne_u32_e64 s7, 0, v20
                                        ; implicit-def: $vgpr82
	s_delay_alu instid0(VALU_DEP_3) | instskip(NEXT) | instid1(VALU_DEP_1)
	v_dual_cndmask_b32 v17, 0, v17 :: v_dual_cndmask_b32 v16, 3, v16
	v_cmp_ne_u64_e32 vcc_lo, 0, v[16:17]
	s_or_b32 s7, s7, vcc_lo
	s_delay_alu instid0(SALU_CYCLE_1) | instskip(NEXT) | instid1(SALU_CYCLE_1)
	s_and_saveexec_b32 s40, s7
	s_xor_b32 s7, exec_lo, s40
; %bb.8718:                             ;   in Loop: Header=BB4_8282 Depth=2
	v_min_i32_e32 v17, 31, v20
	s_delay_alu instid0(VALU_DEP_1) | instskip(NEXT) | instid1(VALU_DEP_1)
	v_lshl_or_b32 v2, v17, 2, v2
	v_and_or_b32 v82, v16, 3, v2
                                        ; implicit-def: $vgpr2
; %bb.8719:                             ;   in Loop: Header=BB4_8282 Depth=2
	s_and_not1_saveexec_b32 s7, s7
; %bb.8720:                             ;   in Loop: Header=BB4_8282 Depth=2
	v_mov_b32_e32 v82, v2
; %bb.8721:                             ;   in Loop: Header=BB4_8282 Depth=2
	s_or_b32 exec_lo, exec_lo, s7
.LBB4_8722:                             ;   in Loop: Header=BB4_8282 Depth=2
	s_delay_alu instid0(SALU_CYCLE_1)
	s_or_b32 exec_lo, exec_lo, s29
                                        ; implicit-def: $vgpr2
.LBB4_8723:                             ;   in Loop: Header=BB4_8282 Depth=2
	s_and_not1_saveexec_b32 s7, s11
; %bb.8724:                             ;   in Loop: Header=BB4_8282 Depth=2
	v_or_b32_e32 v82, 0x7b, v2
; %bb.8725:                             ;   in Loop: Header=BB4_8282 Depth=2
	s_or_b32 exec_lo, exec_lo, s7
                                        ; implicit-def: $vgpr16
.LBB4_8726:                             ;   in Loop: Header=BB4_8282 Depth=2
	s_and_not1_saveexec_b32 s7, s10
	s_cbranch_execz .LBB4_8732
; %bb.8727:                             ;   in Loop: Header=BB4_8282 Depth=2
	s_mov_b32 s10, exec_lo
                                        ; implicit-def: $vgpr82
	v_cmpx_ne_u64_e32 0, v[36:37]
	s_xor_b32 s10, exec_lo, s10
; %bb.8728:                             ;   in Loop: Header=BB4_8282 Depth=2
	v_lshrrev_b32_e32 v2, 24, v16
                                        ; implicit-def: $vgpr16
	s_delay_alu instid0(VALU_DEP_1)
	v_or_b32_e32 v82, 0x7f, v2
; %bb.8729:                             ;   in Loop: Header=BB4_8282 Depth=2
	s_and_not1_saveexec_b32 s10, s10
; %bb.8730:                             ;   in Loop: Header=BB4_8282 Depth=2
	v_cmp_lt_i32_e32 vcc_lo, -1, v16
	v_cndmask_b32_e64 v82, -4, 0x7c, vcc_lo
; %bb.8731:                             ;   in Loop: Header=BB4_8282 Depth=2
	s_or_b32 exec_lo, exec_lo, s10
.LBB4_8732:                             ;   in Loop: Header=BB4_8282 Depth=2
	s_delay_alu instid0(SALU_CYCLE_1)
	s_or_b32 exec_lo, exec_lo, s7
	flat_load_i8 v16, v[10:11] offset:416 th:TH_LOAD_NT
	v_mov_b32_e32 v17, 0
	s_mov_b32 s7, exec_lo
	s_wait_loadcnt_dscnt 0x0
	v_cmpx_ne_u16_e32 0, v16
	s_cbranch_execz .LBB4_8742
; %bb.8733:                             ;   in Loop: Header=BB4_8282 Depth=2
	v_bfrev_b32_e32 v17, 1
	s_mov_b32 s10, exec_lo
	v_cmpx_ne_u16_e32 0xff80, v16
	s_cbranch_execz .LBB4_8741
; %bb.8734:                             ;   in Loop: Header=BB4_8282 Depth=2
	v_and_b32_e32 v17, 0x7c, v16
	v_and_b32_e32 v2, 3, v16
	s_delay_alu instid0(VALU_DEP_2) | instskip(SKIP_1) | instid1(SALU_CYCLE_1)
	v_cmp_ne_u32_e32 vcc_lo, 0x7c, v17
                                        ; implicit-def: $vgpr17
	s_and_saveexec_b32 s11, vcc_lo
	s_xor_b32 s11, exec_lo, s11
	s_cbranch_execz .LBB4_8738
; %bb.8735:                             ;   in Loop: Header=BB4_8282 Depth=2
	v_and_b32_e32 v17, 0xff, v16
	s_mov_b32 s29, exec_lo
	s_delay_alu instid0(VALU_DEP_1) | instskip(NEXT) | instid1(VALU_DEP_1)
	v_bfe_u32 v17, v17, 2, 5
	v_cmpx_eq_u32_e32 0, v17
; %bb.8736:                             ;   in Loop: Header=BB4_8282 Depth=2
	v_clz_i32_u32_e32 v2, v2
	v_mov_b32_e32 v17, v37
	s_delay_alu instid0(VALU_DEP_2) | instskip(NEXT) | instid1(VALU_DEP_1)
	v_min_u32_e32 v2, 32, v2
	v_subrev_nc_u32_e32 v20, 29, v2
	s_delay_alu instid0(VALU_DEP_1) | instskip(NEXT) | instid1(VALU_DEP_1)
	v_lshlrev_b64_e32 v[20:21], v20, v[16:17]
	v_dual_sub_nc_u32 v17, 30, v2 :: v_dual_bitop2_b32 v2, 3, v20 bitop3:0x40
; %bb.8737:                             ;   in Loop: Header=BB4_8282 Depth=2
	s_or_b32 exec_lo, exec_lo, s29
	v_bfe_i32 v16, v16, 0, 16
	s_delay_alu instid0(VALU_DEP_1) | instskip(NEXT) | instid1(VALU_DEP_1)
	v_and_b32_e32 v16, 0x80000000, v16
	v_lshl_add_u32 v16, v17, 23, v16
	s_delay_alu instid0(VALU_DEP_1) | instskip(NEXT) | instid1(VALU_DEP_1)
	v_lshl_or_b32 v2, v2, 21, v16
                                        ; implicit-def: $vgpr16
	v_add_nc_u32_e32 v17, 0x38000000, v2
                                        ; implicit-def: $vgpr2
.LBB4_8738:                             ;   in Loop: Header=BB4_8282 Depth=2
	s_and_not1_saveexec_b32 s11, s11
; %bb.8739:                             ;   in Loop: Header=BB4_8282 Depth=2
	v_cmp_lt_i16_e32 vcc_lo, -1, v16
	v_cndmask_b32_e32 v16, 0xff800000, v109, vcc_lo
	v_cmp_eq_u32_e32 vcc_lo, 0, v2
	s_delay_alu instid0(VALU_DEP_2)
	v_cndmask_b32_e32 v17, 0x7f800001, v16, vcc_lo
; %bb.8740:                             ;   in Loop: Header=BB4_8282 Depth=2
	s_or_b32 exec_lo, exec_lo, s11
.LBB4_8741:                             ;   in Loop: Header=BB4_8282 Depth=2
	s_delay_alu instid0(SALU_CYCLE_1)
	s_or_b32 exec_lo, exec_lo, s10
.LBB4_8742:                             ;   in Loop: Header=BB4_8282 Depth=2
	s_delay_alu instid0(SALU_CYCLE_1) | instskip(NEXT) | instid1(VALU_DEP_1)
	s_or_b32 exec_lo, exec_lo, s7
	v_dual_mul_f32 v16, s28, v17 :: v_dual_mov_b32 v21, v37
                                        ; implicit-def: $vgpr80
	s_mov_b32 s7, exec_lo
	s_delay_alu instid0(VALU_DEP_1) | instskip(SKIP_1) | instid1(VALU_DEP_2)
	v_and_b32_e32 v20, 0x7f800000, v16
	v_and_b32_e32 v36, 0x7fffff, v16
	v_cmpx_ne_u64_e32 0x7f800000, v[20:21]
	s_xor_b32 s10, exec_lo, s7
	s_cbranch_execz .LBB4_8760
; %bb.8743:                             ;   in Loop: Header=BB4_8282 Depth=2
	v_dual_mov_b32 v21, v37 :: v_dual_lshrrev_b32 v2, 24, v16
	v_and_b32_e32 v20, 0x7fffffff, v16
                                        ; implicit-def: $vgpr80
	s_mov_b32 s7, exec_lo
	s_delay_alu instid0(VALU_DEP_2) | instskip(NEXT) | instid1(VALU_DEP_2)
	v_and_b32_e32 v2, 0x80, v2
	v_cmpx_gt_u64_e32 0x47600001, v[20:21]
	s_xor_b32 s11, exec_lo, s7
	s_cbranch_execz .LBB4_8757
; %bb.8744:                             ;   in Loop: Header=BB4_8282 Depth=2
	v_mov_b32_e32 v80, 0
	s_mov_b32 s29, exec_lo
	v_cmpx_ne_u32_e32 0, v16
	s_cbranch_execz .LBB4_8756
; %bb.8745:                             ;   in Loop: Header=BB4_8282 Depth=2
	v_bfe_u32 v20, v16, 23, 8
	v_or_b32_e32 v24, 0x800000, v36
	s_delay_alu instid0(VALU_DEP_2) | instskip(SKIP_1) | instid1(VALU_DEP_2)
	v_dual_mov_b32 v25, v37 :: v_dual_sub_nc_u32 v16, 0x71, v20
	v_cmp_gt_u32_e32 vcc_lo, 0x72, v20
	v_cndmask_b32_e32 v16, 0, v16, vcc_lo
	v_cmp_eq_u32_e32 vcc_lo, 0, v20
	s_delay_alu instid0(VALU_DEP_2) | instskip(NEXT) | instid1(VALU_DEP_1)
	v_cndmask_b32_e64 v21, v16, 0x70, vcc_lo
	v_dual_cndmask_b32 v24, v24, v36, vcc_lo :: v_dual_add_nc_u32 v16, 21, v21
	v_add_nc_u32_e32 v31, 20, v21
	s_delay_alu instid0(VALU_DEP_2) | instskip(NEXT) | instid1(VALU_DEP_2)
	v_lshlrev_b64_e64 v[16:17], v16, -1
	v_lshlrev_b64_e64 v[68:69], v31, 1
	s_delay_alu instid0(VALU_DEP_2) | instskip(NEXT) | instid1(VALU_DEP_3)
	v_bfi_b32 v71, v17, 0, 0
	v_bfi_b32 v70, v16, 0, v24
	v_lshrrev_b64 v[16:17], v21, v[24:25]
	s_delay_alu instid0(VALU_DEP_2) | instskip(NEXT) | instid1(VALU_DEP_2)
	v_cmp_eq_u64_e64 s7, v[70:71], v[68:69]
	v_mov_b64_e32 v[68:69], v[16:17]
	s_and_saveexec_b32 s40, s7
; %bb.8746:                             ;   in Loop: Header=BB4_8282 Depth=2
	v_bfe_u32 v24, v16, 21, 1
	v_mov_b32_e32 v25, v37
	s_delay_alu instid0(VALU_DEP_1) | instskip(NEXT) | instid1(VALU_DEP_1)
	v_add_nc_u64_e32 v[24:25], v[16:17], v[24:25]
	v_add_nc_u64_e32 v[68:69], -1, v[24:25]
; %bb.8747:                             ;   in Loop: Header=BB4_8282 Depth=2
	s_or_b32 exec_lo, exec_lo, s40
	v_add_nc_u32_e32 v17, 0xffffff81, v20
	s_delay_alu instid0(VALU_DEP_2) | instskip(SKIP_2) | instid1(VALU_DEP_3)
	v_and_b32_e32 v24, 0x1fffff, v68
	v_lshrrev_b32_e32 v20, 23, v16
	s_mov_b32 s7, exec_lo
	v_cndmask_b32_e64 v17, v17, 0xffffff82, vcc_lo
	s_delay_alu instid0(VALU_DEP_3) | instskip(NEXT) | instid1(VALU_DEP_2)
	v_add_nc_u32_e32 v36, v24, v16
	v_add3_u32 v21, v21, v17, v20
                                        ; implicit-def: $vgpr16_vgpr17
                                        ; implicit-def: $vgpr20
	s_delay_alu instid0(VALU_DEP_1) | instskip(NEXT) | instid1(VALU_DEP_1)
	v_add_nc_u32_e32 v68, 14, v21
	v_cmpx_ne_u32_e32 0, v68
	s_xor_b32 s7, exec_lo, s7
; %bb.8748:                             ;   in Loop: Header=BB4_8282 Depth=2
	v_cmp_lt_u64_e32 vcc_lo, 0xffffff, v[36:37]
	v_add_nc_u32_e32 v16, 15, v21
	s_delay_alu instid0(VALU_DEP_1) | instskip(SKIP_1) | instid1(VALU_DEP_1)
	v_cndmask_b32_e32 v20, v68, v16, vcc_lo
	v_cndmask_b32_e64 v16, 0, 1, vcc_lo
	v_lshrrev_b64 v[16:17], v16, v[36:37]
; %bb.8749:                             ;   in Loop: Header=BB4_8282 Depth=2
	s_and_not1_saveexec_b32 s7, s7
; %bb.8750:                             ;   in Loop: Header=BB4_8282 Depth=2
	v_mov_b64_e32 v[16:17], v[36:37]
	v_bfe_u32 v20, v36, 23, 1
; %bb.8751:                             ;   in Loop: Header=BB4_8282 Depth=2
	s_or_b32 exec_lo, exec_lo, s7
	s_delay_alu instid0(VALU_DEP_2) | instskip(NEXT) | instid1(VALU_DEP_2)
	v_lshrrev_b64 v[16:17], 21, v[16:17]
	v_cmp_gt_i32_e32 vcc_lo, 32, v20
	v_cmp_ne_u32_e64 s7, 0, v20
                                        ; implicit-def: $vgpr80
	s_delay_alu instid0(VALU_DEP_3) | instskip(NEXT) | instid1(VALU_DEP_1)
	v_dual_cndmask_b32 v17, 0, v17 :: v_dual_cndmask_b32 v16, 3, v16
	v_cmp_ne_u64_e32 vcc_lo, 0, v[16:17]
	s_or_b32 s7, s7, vcc_lo
	s_delay_alu instid0(SALU_CYCLE_1) | instskip(NEXT) | instid1(SALU_CYCLE_1)
	s_and_saveexec_b32 s40, s7
	s_xor_b32 s7, exec_lo, s40
; %bb.8752:                             ;   in Loop: Header=BB4_8282 Depth=2
	v_min_i32_e32 v17, 31, v20
	s_delay_alu instid0(VALU_DEP_1) | instskip(NEXT) | instid1(VALU_DEP_1)
	v_lshl_or_b32 v2, v17, 2, v2
	v_and_or_b32 v80, v16, 3, v2
                                        ; implicit-def: $vgpr2
; %bb.8753:                             ;   in Loop: Header=BB4_8282 Depth=2
	s_and_not1_saveexec_b32 s7, s7
; %bb.8754:                             ;   in Loop: Header=BB4_8282 Depth=2
	v_mov_b32_e32 v80, v2
; %bb.8755:                             ;   in Loop: Header=BB4_8282 Depth=2
	s_or_b32 exec_lo, exec_lo, s7
.LBB4_8756:                             ;   in Loop: Header=BB4_8282 Depth=2
	s_delay_alu instid0(SALU_CYCLE_1)
	s_or_b32 exec_lo, exec_lo, s29
                                        ; implicit-def: $vgpr2
.LBB4_8757:                             ;   in Loop: Header=BB4_8282 Depth=2
	s_and_not1_saveexec_b32 s7, s11
; %bb.8758:                             ;   in Loop: Header=BB4_8282 Depth=2
	v_or_b32_e32 v80, 0x7b, v2
; %bb.8759:                             ;   in Loop: Header=BB4_8282 Depth=2
	s_or_b32 exec_lo, exec_lo, s7
                                        ; implicit-def: $vgpr16
.LBB4_8760:                             ;   in Loop: Header=BB4_8282 Depth=2
	s_and_not1_saveexec_b32 s7, s10
	s_cbranch_execz .LBB4_8766
; %bb.8761:                             ;   in Loop: Header=BB4_8282 Depth=2
	s_mov_b32 s10, exec_lo
                                        ; implicit-def: $vgpr80
	v_cmpx_ne_u64_e32 0, v[36:37]
	s_xor_b32 s10, exec_lo, s10
; %bb.8762:                             ;   in Loop: Header=BB4_8282 Depth=2
	v_lshrrev_b32_e32 v2, 24, v16
                                        ; implicit-def: $vgpr16
	s_delay_alu instid0(VALU_DEP_1)
	v_or_b32_e32 v80, 0x7f, v2
; %bb.8763:                             ;   in Loop: Header=BB4_8282 Depth=2
	s_and_not1_saveexec_b32 s10, s10
; %bb.8764:                             ;   in Loop: Header=BB4_8282 Depth=2
	v_cmp_lt_i32_e32 vcc_lo, -1, v16
	v_cndmask_b32_e64 v80, -4, 0x7c, vcc_lo
; %bb.8765:                             ;   in Loop: Header=BB4_8282 Depth=2
	s_or_b32 exec_lo, exec_lo, s10
.LBB4_8766:                             ;   in Loop: Header=BB4_8282 Depth=2
	s_delay_alu instid0(SALU_CYCLE_1)
	s_or_b32 exec_lo, exec_lo, s7
	flat_load_i8 v16, v[10:11] offset:448 th:TH_LOAD_NT
	v_mov_b32_e32 v17, 0
	s_mov_b32 s7, exec_lo
	s_wait_loadcnt_dscnt 0x0
	v_cmpx_ne_u16_e32 0, v16
	s_cbranch_execz .LBB4_8776
; %bb.8767:                             ;   in Loop: Header=BB4_8282 Depth=2
	v_bfrev_b32_e32 v17, 1
	s_mov_b32 s10, exec_lo
	v_cmpx_ne_u16_e32 0xff80, v16
	s_cbranch_execz .LBB4_8775
; %bb.8768:                             ;   in Loop: Header=BB4_8282 Depth=2
	v_and_b32_e32 v17, 0x7c, v16
	v_and_b32_e32 v2, 3, v16
	s_delay_alu instid0(VALU_DEP_2) | instskip(SKIP_1) | instid1(SALU_CYCLE_1)
	v_cmp_ne_u32_e32 vcc_lo, 0x7c, v17
                                        ; implicit-def: $vgpr17
	s_and_saveexec_b32 s11, vcc_lo
	s_xor_b32 s11, exec_lo, s11
	s_cbranch_execz .LBB4_8772
; %bb.8769:                             ;   in Loop: Header=BB4_8282 Depth=2
	v_and_b32_e32 v17, 0xff, v16
	s_mov_b32 s29, exec_lo
	s_delay_alu instid0(VALU_DEP_1) | instskip(NEXT) | instid1(VALU_DEP_1)
	v_bfe_u32 v17, v17, 2, 5
	v_cmpx_eq_u32_e32 0, v17
; %bb.8770:                             ;   in Loop: Header=BB4_8282 Depth=2
	v_clz_i32_u32_e32 v2, v2
	v_mov_b32_e32 v17, v37
	s_delay_alu instid0(VALU_DEP_2) | instskip(NEXT) | instid1(VALU_DEP_1)
	v_min_u32_e32 v2, 32, v2
	v_subrev_nc_u32_e32 v20, 29, v2
	s_delay_alu instid0(VALU_DEP_1) | instskip(NEXT) | instid1(VALU_DEP_1)
	v_lshlrev_b64_e32 v[20:21], v20, v[16:17]
	v_dual_sub_nc_u32 v17, 30, v2 :: v_dual_bitop2_b32 v2, 3, v20 bitop3:0x40
; %bb.8771:                             ;   in Loop: Header=BB4_8282 Depth=2
	s_or_b32 exec_lo, exec_lo, s29
	v_bfe_i32 v16, v16, 0, 16
	s_delay_alu instid0(VALU_DEP_1) | instskip(NEXT) | instid1(VALU_DEP_1)
	v_and_b32_e32 v16, 0x80000000, v16
	v_lshl_add_u32 v16, v17, 23, v16
	s_delay_alu instid0(VALU_DEP_1) | instskip(NEXT) | instid1(VALU_DEP_1)
	v_lshl_or_b32 v2, v2, 21, v16
                                        ; implicit-def: $vgpr16
	v_add_nc_u32_e32 v17, 0x38000000, v2
                                        ; implicit-def: $vgpr2
.LBB4_8772:                             ;   in Loop: Header=BB4_8282 Depth=2
	s_and_not1_saveexec_b32 s11, s11
; %bb.8773:                             ;   in Loop: Header=BB4_8282 Depth=2
	v_cmp_lt_i16_e32 vcc_lo, -1, v16
	v_cndmask_b32_e32 v16, 0xff800000, v109, vcc_lo
	v_cmp_eq_u32_e32 vcc_lo, 0, v2
	s_delay_alu instid0(VALU_DEP_2)
	v_cndmask_b32_e32 v17, 0x7f800001, v16, vcc_lo
; %bb.8774:                             ;   in Loop: Header=BB4_8282 Depth=2
	s_or_b32 exec_lo, exec_lo, s11
.LBB4_8775:                             ;   in Loop: Header=BB4_8282 Depth=2
	s_delay_alu instid0(SALU_CYCLE_1)
	s_or_b32 exec_lo, exec_lo, s10
.LBB4_8776:                             ;   in Loop: Header=BB4_8282 Depth=2
	s_delay_alu instid0(SALU_CYCLE_1) | instskip(NEXT) | instid1(VALU_DEP_1)
	s_or_b32 exec_lo, exec_lo, s7
	v_dual_mul_f32 v16, s28, v17 :: v_dual_mov_b32 v21, v37
                                        ; implicit-def: $vgpr70
	s_mov_b32 s7, exec_lo
	s_delay_alu instid0(VALU_DEP_1) | instskip(SKIP_1) | instid1(VALU_DEP_2)
	v_and_b32_e32 v20, 0x7f800000, v16
	v_and_b32_e32 v36, 0x7fffff, v16
	v_cmpx_ne_u64_e32 0x7f800000, v[20:21]
	s_xor_b32 s10, exec_lo, s7
	s_cbranch_execz .LBB4_8794
; %bb.8777:                             ;   in Loop: Header=BB4_8282 Depth=2
	v_dual_mov_b32 v21, v37 :: v_dual_lshrrev_b32 v2, 24, v16
	v_and_b32_e32 v20, 0x7fffffff, v16
                                        ; implicit-def: $vgpr70
	s_mov_b32 s7, exec_lo
	s_delay_alu instid0(VALU_DEP_2) | instskip(NEXT) | instid1(VALU_DEP_2)
	v_and_b32_e32 v2, 0x80, v2
	v_cmpx_gt_u64_e32 0x47600001, v[20:21]
	s_xor_b32 s11, exec_lo, s7
	s_cbranch_execz .LBB4_8791
; %bb.8778:                             ;   in Loop: Header=BB4_8282 Depth=2
	v_mov_b32_e32 v70, 0
	s_mov_b32 s29, exec_lo
	v_cmpx_ne_u32_e32 0, v16
	s_cbranch_execz .LBB4_8790
; %bb.8779:                             ;   in Loop: Header=BB4_8282 Depth=2
	v_bfe_u32 v20, v16, 23, 8
	v_or_b32_e32 v24, 0x800000, v36
	s_delay_alu instid0(VALU_DEP_2) | instskip(SKIP_1) | instid1(VALU_DEP_2)
	v_dual_mov_b32 v25, v37 :: v_dual_sub_nc_u32 v16, 0x71, v20
	v_cmp_gt_u32_e32 vcc_lo, 0x72, v20
	v_cndmask_b32_e32 v16, 0, v16, vcc_lo
	v_cmp_eq_u32_e32 vcc_lo, 0, v20
	s_delay_alu instid0(VALU_DEP_2) | instskip(NEXT) | instid1(VALU_DEP_1)
	v_cndmask_b32_e64 v21, v16, 0x70, vcc_lo
	v_dual_cndmask_b32 v24, v24, v36, vcc_lo :: v_dual_add_nc_u32 v16, 21, v21
	v_add_nc_u32_e32 v31, 20, v21
	s_delay_alu instid0(VALU_DEP_2) | instskip(NEXT) | instid1(VALU_DEP_2)
	v_lshlrev_b64_e64 v[16:17], v16, -1
	v_lshlrev_b64_e64 v[68:69], v31, 1
	s_delay_alu instid0(VALU_DEP_2) | instskip(NEXT) | instid1(VALU_DEP_3)
	v_bfi_b32 v71, v17, 0, 0
	v_bfi_b32 v70, v16, 0, v24
	v_lshrrev_b64 v[16:17], v21, v[24:25]
	s_delay_alu instid0(VALU_DEP_2) | instskip(NEXT) | instid1(VALU_DEP_2)
	v_cmp_eq_u64_e64 s7, v[70:71], v[68:69]
	v_mov_b64_e32 v[68:69], v[16:17]
	s_and_saveexec_b32 s40, s7
; %bb.8780:                             ;   in Loop: Header=BB4_8282 Depth=2
	v_bfe_u32 v24, v16, 21, 1
	v_mov_b32_e32 v25, v37
	s_delay_alu instid0(VALU_DEP_1) | instskip(NEXT) | instid1(VALU_DEP_1)
	v_add_nc_u64_e32 v[24:25], v[16:17], v[24:25]
	v_add_nc_u64_e32 v[68:69], -1, v[24:25]
; %bb.8781:                             ;   in Loop: Header=BB4_8282 Depth=2
	s_or_b32 exec_lo, exec_lo, s40
	v_add_nc_u32_e32 v17, 0xffffff81, v20
	s_delay_alu instid0(VALU_DEP_2) | instskip(SKIP_2) | instid1(VALU_DEP_3)
	v_and_b32_e32 v24, 0x1fffff, v68
	v_lshrrev_b32_e32 v20, 23, v16
	s_mov_b32 s7, exec_lo
	v_cndmask_b32_e64 v17, v17, 0xffffff82, vcc_lo
	s_delay_alu instid0(VALU_DEP_3) | instskip(NEXT) | instid1(VALU_DEP_2)
	v_add_nc_u32_e32 v36, v24, v16
	v_add3_u32 v21, v21, v17, v20
                                        ; implicit-def: $vgpr16_vgpr17
                                        ; implicit-def: $vgpr20
	s_delay_alu instid0(VALU_DEP_1) | instskip(NEXT) | instid1(VALU_DEP_1)
	v_add_nc_u32_e32 v68, 14, v21
	v_cmpx_ne_u32_e32 0, v68
	s_xor_b32 s7, exec_lo, s7
; %bb.8782:                             ;   in Loop: Header=BB4_8282 Depth=2
	v_cmp_lt_u64_e32 vcc_lo, 0xffffff, v[36:37]
	v_add_nc_u32_e32 v16, 15, v21
	s_delay_alu instid0(VALU_DEP_1) | instskip(SKIP_1) | instid1(VALU_DEP_1)
	v_cndmask_b32_e32 v20, v68, v16, vcc_lo
	v_cndmask_b32_e64 v16, 0, 1, vcc_lo
	v_lshrrev_b64 v[16:17], v16, v[36:37]
; %bb.8783:                             ;   in Loop: Header=BB4_8282 Depth=2
	s_and_not1_saveexec_b32 s7, s7
; %bb.8784:                             ;   in Loop: Header=BB4_8282 Depth=2
	v_mov_b64_e32 v[16:17], v[36:37]
	v_bfe_u32 v20, v36, 23, 1
; %bb.8785:                             ;   in Loop: Header=BB4_8282 Depth=2
	s_or_b32 exec_lo, exec_lo, s7
	s_delay_alu instid0(VALU_DEP_2) | instskip(NEXT) | instid1(VALU_DEP_2)
	v_lshrrev_b64 v[16:17], 21, v[16:17]
	v_cmp_gt_i32_e32 vcc_lo, 32, v20
	v_cmp_ne_u32_e64 s7, 0, v20
                                        ; implicit-def: $vgpr70
	s_delay_alu instid0(VALU_DEP_3) | instskip(NEXT) | instid1(VALU_DEP_1)
	v_dual_cndmask_b32 v17, 0, v17 :: v_dual_cndmask_b32 v16, 3, v16
	v_cmp_ne_u64_e32 vcc_lo, 0, v[16:17]
	s_or_b32 s7, s7, vcc_lo
	s_delay_alu instid0(SALU_CYCLE_1) | instskip(NEXT) | instid1(SALU_CYCLE_1)
	s_and_saveexec_b32 s40, s7
	s_xor_b32 s7, exec_lo, s40
; %bb.8786:                             ;   in Loop: Header=BB4_8282 Depth=2
	v_min_i32_e32 v17, 31, v20
	s_delay_alu instid0(VALU_DEP_1) | instskip(NEXT) | instid1(VALU_DEP_1)
	v_lshl_or_b32 v2, v17, 2, v2
	v_and_or_b32 v70, v16, 3, v2
                                        ; implicit-def: $vgpr2
; %bb.8787:                             ;   in Loop: Header=BB4_8282 Depth=2
	s_and_not1_saveexec_b32 s7, s7
; %bb.8788:                             ;   in Loop: Header=BB4_8282 Depth=2
	v_mov_b32_e32 v70, v2
; %bb.8789:                             ;   in Loop: Header=BB4_8282 Depth=2
	s_or_b32 exec_lo, exec_lo, s7
.LBB4_8790:                             ;   in Loop: Header=BB4_8282 Depth=2
	s_delay_alu instid0(SALU_CYCLE_1)
	s_or_b32 exec_lo, exec_lo, s29
                                        ; implicit-def: $vgpr2
.LBB4_8791:                             ;   in Loop: Header=BB4_8282 Depth=2
	s_and_not1_saveexec_b32 s7, s11
; %bb.8792:                             ;   in Loop: Header=BB4_8282 Depth=2
	v_or_b32_e32 v70, 0x7b, v2
; %bb.8793:                             ;   in Loop: Header=BB4_8282 Depth=2
	s_or_b32 exec_lo, exec_lo, s7
                                        ; implicit-def: $vgpr16
.LBB4_8794:                             ;   in Loop: Header=BB4_8282 Depth=2
	s_and_not1_saveexec_b32 s7, s10
	s_cbranch_execz .LBB4_8800
; %bb.8795:                             ;   in Loop: Header=BB4_8282 Depth=2
	s_mov_b32 s10, exec_lo
                                        ; implicit-def: $vgpr70
	v_cmpx_ne_u64_e32 0, v[36:37]
	s_xor_b32 s10, exec_lo, s10
; %bb.8796:                             ;   in Loop: Header=BB4_8282 Depth=2
	v_lshrrev_b32_e32 v2, 24, v16
                                        ; implicit-def: $vgpr16
	s_delay_alu instid0(VALU_DEP_1)
	v_or_b32_e32 v70, 0x7f, v2
; %bb.8797:                             ;   in Loop: Header=BB4_8282 Depth=2
	s_and_not1_saveexec_b32 s10, s10
; %bb.8798:                             ;   in Loop: Header=BB4_8282 Depth=2
	v_cmp_lt_i32_e32 vcc_lo, -1, v16
	v_cndmask_b32_e64 v70, -4, 0x7c, vcc_lo
; %bb.8799:                             ;   in Loop: Header=BB4_8282 Depth=2
	s_or_b32 exec_lo, exec_lo, s10
.LBB4_8800:                             ;   in Loop: Header=BB4_8282 Depth=2
	s_delay_alu instid0(SALU_CYCLE_1)
	s_or_b32 exec_lo, exec_lo, s7
	flat_load_i8 v16, v[10:11] offset:480 th:TH_LOAD_NT
	v_mov_b32_e32 v17, 0
	s_mov_b32 s7, exec_lo
	s_wait_loadcnt_dscnt 0x0
	v_cmpx_ne_u16_e32 0, v16
	s_cbranch_execz .LBB4_8810
; %bb.8801:                             ;   in Loop: Header=BB4_8282 Depth=2
	v_bfrev_b32_e32 v17, 1
	s_mov_b32 s10, exec_lo
	v_cmpx_ne_u16_e32 0xff80, v16
	s_cbranch_execz .LBB4_8809
; %bb.8802:                             ;   in Loop: Header=BB4_8282 Depth=2
	v_and_b32_e32 v17, 0x7c, v16
	v_and_b32_e32 v2, 3, v16
	s_delay_alu instid0(VALU_DEP_2) | instskip(SKIP_1) | instid1(SALU_CYCLE_1)
	v_cmp_ne_u32_e32 vcc_lo, 0x7c, v17
                                        ; implicit-def: $vgpr17
	s_and_saveexec_b32 s11, vcc_lo
	s_xor_b32 s11, exec_lo, s11
	s_cbranch_execz .LBB4_8806
; %bb.8803:                             ;   in Loop: Header=BB4_8282 Depth=2
	v_and_b32_e32 v17, 0xff, v16
	s_mov_b32 s29, exec_lo
	s_delay_alu instid0(VALU_DEP_1) | instskip(NEXT) | instid1(VALU_DEP_1)
	v_bfe_u32 v17, v17, 2, 5
	v_cmpx_eq_u32_e32 0, v17
; %bb.8804:                             ;   in Loop: Header=BB4_8282 Depth=2
	v_clz_i32_u32_e32 v2, v2
	v_mov_b32_e32 v17, v37
	s_delay_alu instid0(VALU_DEP_2) | instskip(NEXT) | instid1(VALU_DEP_1)
	v_min_u32_e32 v2, 32, v2
	v_subrev_nc_u32_e32 v20, 29, v2
	s_delay_alu instid0(VALU_DEP_1) | instskip(NEXT) | instid1(VALU_DEP_1)
	v_lshlrev_b64_e32 v[20:21], v20, v[16:17]
	v_dual_sub_nc_u32 v17, 30, v2 :: v_dual_bitop2_b32 v2, 3, v20 bitop3:0x40
; %bb.8805:                             ;   in Loop: Header=BB4_8282 Depth=2
	s_or_b32 exec_lo, exec_lo, s29
	v_bfe_i32 v16, v16, 0, 16
	s_delay_alu instid0(VALU_DEP_1) | instskip(NEXT) | instid1(VALU_DEP_1)
	v_and_b32_e32 v16, 0x80000000, v16
	v_lshl_add_u32 v16, v17, 23, v16
	s_delay_alu instid0(VALU_DEP_1) | instskip(NEXT) | instid1(VALU_DEP_1)
	v_lshl_or_b32 v2, v2, 21, v16
                                        ; implicit-def: $vgpr16
	v_add_nc_u32_e32 v17, 0x38000000, v2
                                        ; implicit-def: $vgpr2
.LBB4_8806:                             ;   in Loop: Header=BB4_8282 Depth=2
	s_and_not1_saveexec_b32 s11, s11
; %bb.8807:                             ;   in Loop: Header=BB4_8282 Depth=2
	v_cmp_lt_i16_e32 vcc_lo, -1, v16
	v_cndmask_b32_e32 v16, 0xff800000, v109, vcc_lo
	v_cmp_eq_u32_e32 vcc_lo, 0, v2
	s_delay_alu instid0(VALU_DEP_2)
	v_cndmask_b32_e32 v17, 0x7f800001, v16, vcc_lo
; %bb.8808:                             ;   in Loop: Header=BB4_8282 Depth=2
	s_or_b32 exec_lo, exec_lo, s11
.LBB4_8809:                             ;   in Loop: Header=BB4_8282 Depth=2
	s_delay_alu instid0(SALU_CYCLE_1)
	s_or_b32 exec_lo, exec_lo, s10
.LBB4_8810:                             ;   in Loop: Header=BB4_8282 Depth=2
	s_delay_alu instid0(SALU_CYCLE_1) | instskip(NEXT) | instid1(VALU_DEP_1)
	s_or_b32 exec_lo, exec_lo, s7
	v_dual_mul_f32 v17, s28, v17 :: v_dual_mov_b32 v21, v37
                                        ; implicit-def: $vgpr16
	s_mov_b32 s7, exec_lo
	s_delay_alu instid0(VALU_DEP_1) | instskip(SKIP_1) | instid1(VALU_DEP_2)
	v_and_b32_e32 v20, 0x7f800000, v17
	v_and_b32_e32 v36, 0x7fffff, v17
	v_cmpx_ne_u64_e32 0x7f800000, v[20:21]
	s_xor_b32 s10, exec_lo, s7
	s_cbranch_execz .LBB4_8828
; %bb.8811:                             ;   in Loop: Header=BB4_8282 Depth=2
	v_dual_mov_b32 v21, v37 :: v_dual_lshrrev_b32 v2, 24, v17
	v_and_b32_e32 v20, 0x7fffffff, v17
                                        ; implicit-def: $vgpr16
	s_mov_b32 s7, exec_lo
	s_delay_alu instid0(VALU_DEP_2) | instskip(NEXT) | instid1(VALU_DEP_2)
	v_and_b32_e32 v2, 0x80, v2
	v_cmpx_gt_u64_e32 0x47600001, v[20:21]
	s_xor_b32 s11, exec_lo, s7
	s_cbranch_execz .LBB4_8825
; %bb.8812:                             ;   in Loop: Header=BB4_8282 Depth=2
	v_mov_b32_e32 v16, 0
	s_mov_b32 s28, exec_lo
	v_cmpx_ne_u32_e32 0, v17
	s_cbranch_execz .LBB4_8824
; %bb.8813:                             ;   in Loop: Header=BB4_8282 Depth=2
	v_bfe_u32 v20, v17, 23, 8
	v_or_b32_e32 v24, 0x800000, v36
	s_delay_alu instid0(VALU_DEP_2) | instskip(SKIP_1) | instid1(VALU_DEP_2)
	v_dual_mov_b32 v25, v37 :: v_dual_sub_nc_u32 v16, 0x71, v20
	v_cmp_gt_u32_e32 vcc_lo, 0x72, v20
	v_cndmask_b32_e32 v16, 0, v16, vcc_lo
	v_cmp_eq_u32_e32 vcc_lo, 0, v20
	s_delay_alu instid0(VALU_DEP_2) | instskip(NEXT) | instid1(VALU_DEP_1)
	v_cndmask_b32_e64 v21, v16, 0x70, vcc_lo
	v_dual_cndmask_b32 v24, v24, v36, vcc_lo :: v_dual_add_nc_u32 v16, 21, v21
	v_add_nc_u32_e32 v31, 20, v21
	s_delay_alu instid0(VALU_DEP_2) | instskip(NEXT) | instid1(VALU_DEP_2)
	v_lshlrev_b64_e64 v[16:17], v16, -1
	v_lshlrev_b64_e64 v[68:69], v31, 1
	s_delay_alu instid0(VALU_DEP_2) | instskip(NEXT) | instid1(VALU_DEP_3)
	v_bfi_b32 v97, v17, 0, 0
	v_bfi_b32 v96, v16, 0, v24
	v_lshrrev_b64 v[16:17], v21, v[24:25]
	s_delay_alu instid0(VALU_DEP_2) | instskip(NEXT) | instid1(VALU_DEP_2)
	v_cmp_eq_u64_e64 s7, v[96:97], v[68:69]
	v_mov_b64_e32 v[68:69], v[16:17]
	s_and_saveexec_b32 s29, s7
; %bb.8814:                             ;   in Loop: Header=BB4_8282 Depth=2
	v_bfe_u32 v24, v16, 21, 1
	v_mov_b32_e32 v25, v37
	s_delay_alu instid0(VALU_DEP_1) | instskip(NEXT) | instid1(VALU_DEP_1)
	v_add_nc_u64_e32 v[24:25], v[16:17], v[24:25]
	v_add_nc_u64_e32 v[68:69], -1, v[24:25]
; %bb.8815:                             ;   in Loop: Header=BB4_8282 Depth=2
	s_or_b32 exec_lo, exec_lo, s29
	v_add_nc_u32_e32 v17, 0xffffff81, v20
	s_delay_alu instid0(VALU_DEP_2) | instskip(SKIP_2) | instid1(VALU_DEP_3)
	v_and_b32_e32 v24, 0x1fffff, v68
	v_lshrrev_b32_e32 v20, 23, v16
	s_mov_b32 s7, exec_lo
	v_cndmask_b32_e64 v17, v17, 0xffffff82, vcc_lo
	s_delay_alu instid0(VALU_DEP_3) | instskip(NEXT) | instid1(VALU_DEP_2)
	v_add_nc_u32_e32 v36, v24, v16
	v_add3_u32 v21, v21, v17, v20
                                        ; implicit-def: $vgpr16_vgpr17
                                        ; implicit-def: $vgpr20
	s_delay_alu instid0(VALU_DEP_1) | instskip(NEXT) | instid1(VALU_DEP_1)
	v_add_nc_u32_e32 v68, 14, v21
	v_cmpx_ne_u32_e32 0, v68
	s_xor_b32 s7, exec_lo, s7
; %bb.8816:                             ;   in Loop: Header=BB4_8282 Depth=2
	v_cmp_lt_u64_e32 vcc_lo, 0xffffff, v[36:37]
	v_add_nc_u32_e32 v16, 15, v21
	s_delay_alu instid0(VALU_DEP_1) | instskip(SKIP_1) | instid1(VALU_DEP_1)
	v_cndmask_b32_e32 v20, v68, v16, vcc_lo
	v_cndmask_b32_e64 v16, 0, 1, vcc_lo
	v_lshrrev_b64 v[16:17], v16, v[36:37]
; %bb.8817:                             ;   in Loop: Header=BB4_8282 Depth=2
	s_and_not1_saveexec_b32 s7, s7
; %bb.8818:                             ;   in Loop: Header=BB4_8282 Depth=2
	v_mov_b64_e32 v[16:17], v[36:37]
	v_bfe_u32 v20, v36, 23, 1
; %bb.8819:                             ;   in Loop: Header=BB4_8282 Depth=2
	s_or_b32 exec_lo, exec_lo, s7
	s_delay_alu instid0(VALU_DEP_2) | instskip(NEXT) | instid1(VALU_DEP_2)
	v_lshrrev_b64 v[16:17], 21, v[16:17]
	v_cmp_gt_i32_e32 vcc_lo, 32, v20
	v_cmp_ne_u32_e64 s7, 0, v20
	s_delay_alu instid0(VALU_DEP_3) | instskip(NEXT) | instid1(VALU_DEP_1)
	v_dual_cndmask_b32 v69, 0, v17 :: v_dual_cndmask_b32 v68, 3, v16
                                        ; implicit-def: $vgpr16
	v_cmp_ne_u64_e32 vcc_lo, 0, v[68:69]
	s_or_b32 s7, s7, vcc_lo
	s_delay_alu instid0(SALU_CYCLE_1) | instskip(NEXT) | instid1(SALU_CYCLE_1)
	s_and_saveexec_b32 s29, s7
	s_xor_b32 s7, exec_lo, s29
; %bb.8820:                             ;   in Loop: Header=BB4_8282 Depth=2
	v_min_i32_e32 v16, 31, v20
	s_delay_alu instid0(VALU_DEP_1) | instskip(NEXT) | instid1(VALU_DEP_1)
	v_lshl_or_b32 v2, v16, 2, v2
	v_and_or_b32 v16, v68, 3, v2
                                        ; implicit-def: $vgpr2
; %bb.8821:                             ;   in Loop: Header=BB4_8282 Depth=2
	s_and_not1_saveexec_b32 s7, s7
; %bb.8822:                             ;   in Loop: Header=BB4_8282 Depth=2
	v_mov_b32_e32 v16, v2
; %bb.8823:                             ;   in Loop: Header=BB4_8282 Depth=2
	s_or_b32 exec_lo, exec_lo, s7
.LBB4_8824:                             ;   in Loop: Header=BB4_8282 Depth=2
	s_delay_alu instid0(SALU_CYCLE_1)
	s_or_b32 exec_lo, exec_lo, s28
                                        ; implicit-def: $vgpr2
.LBB4_8825:                             ;   in Loop: Header=BB4_8282 Depth=2
	s_and_not1_saveexec_b32 s7, s11
; %bb.8826:                             ;   in Loop: Header=BB4_8282 Depth=2
	v_or_b32_e32 v16, 0x7b, v2
; %bb.8827:                             ;   in Loop: Header=BB4_8282 Depth=2
	s_or_b32 exec_lo, exec_lo, s7
                                        ; implicit-def: $vgpr17
.LBB4_8828:                             ;   in Loop: Header=BB4_8282 Depth=2
	s_and_not1_saveexec_b32 s7, s10
	s_cbranch_execz .LBB4_8834
; %bb.8829:                             ;   in Loop: Header=BB4_8282 Depth=2
	s_mov_b32 s10, exec_lo
                                        ; implicit-def: $vgpr16
	v_cmpx_ne_u64_e32 0, v[36:37]
	s_xor_b32 s10, exec_lo, s10
; %bb.8830:                             ;   in Loop: Header=BB4_8282 Depth=2
	v_lshrrev_b32_e32 v2, 24, v17
                                        ; implicit-def: $vgpr17
	s_delay_alu instid0(VALU_DEP_1)
	v_or_b32_e32 v16, 0x7f, v2
; %bb.8831:                             ;   in Loop: Header=BB4_8282 Depth=2
	s_and_not1_saveexec_b32 s10, s10
; %bb.8832:                             ;   in Loop: Header=BB4_8282 Depth=2
	v_cmp_lt_i32_e32 vcc_lo, -1, v17
	v_cndmask_b32_e64 v16, -4, 0x7c, vcc_lo
; %bb.8833:                             ;   in Loop: Header=BB4_8282 Depth=2
	s_or_b32 exec_lo, exec_lo, s10
.LBB4_8834:                             ;   in Loop: Header=BB4_8282 Depth=2
	s_delay_alu instid0(SALU_CYCLE_1)
	s_or_b32 exec_lo, exec_lo, s7
	s_clause 0xf
	flat_load_i8 v104, v[12:13] th:TH_LOAD_NT
	flat_load_i8 v94, v[12:13] offset:32 th:TH_LOAD_NT
	flat_load_i8 v92, v[12:13] offset:64 th:TH_LOAD_NT
	;; [unrolled: 1-line block ×15, first 2 shown]
	v_and_b32_e32 v21, 0xff, v56
	v_dual_mov_b32 v2, 0 :: v_dual_mov_b32 v17, 0
	s_mov_b32 s7, exec_lo
	s_wait_xcnt 0x0
	s_delay_alu instid0(VALU_DEP_2)
	v_cmpx_ne_u16_e32 0, v21
	s_cbranch_execz .LBB4_8844
; %bb.8835:                             ;   in Loop: Header=BB4_8282 Depth=2
	v_bfrev_b32_e32 v17, 1
	s_mov_b32 s10, exec_lo
	v_cmpx_ne_u16_e32 0x80, v21
	s_cbranch_execz .LBB4_8843
; %bb.8836:                             ;   in Loop: Header=BB4_8282 Depth=2
	v_and_b32_e32 v17, 0x7c, v56
	v_and_b32_e32 v20, 3, v56
	s_delay_alu instid0(VALU_DEP_2) | instskip(SKIP_1) | instid1(SALU_CYCLE_1)
	v_cmp_ne_u32_e32 vcc_lo, 0x7c, v17
                                        ; implicit-def: $vgpr17
	s_and_saveexec_b32 s11, vcc_lo
	s_xor_b32 s11, exec_lo, s11
	s_cbranch_execz .LBB4_8840
; %bb.8837:                             ;   in Loop: Header=BB4_8282 Depth=2
	v_bfe_u32 v17, v21, 2, 5
	s_mov_b32 s28, exec_lo
	s_delay_alu instid0(VALU_DEP_1)
	v_cmpx_eq_u32_e32 0, v17
	s_cbranch_execz .LBB4_8839
; %bb.8838:                             ;   in Loop: Header=BB4_8282 Depth=2
	v_clz_i32_u32_e32 v17, v20
	s_delay_alu instid0(VALU_DEP_1) | instskip(SKIP_1) | instid1(VALU_DEP_2)
	v_min_u32_e32 v17, 32, v17
	v_mov_b32_e32 v57, v37
	v_subrev_nc_u32_e32 v20, 29, v17
	v_sub_nc_u32_e32 v17, 30, v17
	s_delay_alu instid0(VALU_DEP_2) | instskip(NEXT) | instid1(VALU_DEP_1)
	v_lshlrev_b64_e32 v[20:21], v20, v[56:57]
	v_and_b32_e32 v20, 3, v20
.LBB4_8839:                             ;   in Loop: Header=BB4_8282 Depth=2
	s_or_b32 exec_lo, exec_lo, s28
	v_lshlrev_b32_e32 v21, 24, v56
                                        ; implicit-def: $vgpr56
	s_delay_alu instid0(VALU_DEP_1) | instskip(NEXT) | instid1(VALU_DEP_1)
	v_and_b32_e32 v21, 0x80000000, v21
	v_lshl_add_u32 v17, v17, 23, v21
	s_delay_alu instid0(VALU_DEP_1) | instskip(NEXT) | instid1(VALU_DEP_1)
	v_lshl_or_b32 v17, v20, 21, v17
                                        ; implicit-def: $vgpr20
	v_add_nc_u32_e32 v17, 0x38000000, v17
.LBB4_8840:                             ;   in Loop: Header=BB4_8282 Depth=2
	s_and_not1_saveexec_b32 s11, s11
; %bb.8841:                             ;   in Loop: Header=BB4_8282 Depth=2
	v_bfe_i32 v17, v56, 0, 8
	s_delay_alu instid0(VALU_DEP_1) | instskip(SKIP_2) | instid1(VALU_DEP_2)
	v_cmp_lt_i16_e32 vcc_lo, -1, v17
	v_cndmask_b32_e32 v17, 0xff800000, v109, vcc_lo
	v_cmp_eq_u32_e32 vcc_lo, 0, v20
	v_cndmask_b32_e32 v17, 0x7f800001, v17, vcc_lo
; %bb.8842:                             ;   in Loop: Header=BB4_8282 Depth=2
	s_or_b32 exec_lo, exec_lo, s11
.LBB4_8843:                             ;   in Loop: Header=BB4_8282 Depth=2
	s_delay_alu instid0(SALU_CYCLE_1)
	s_or_b32 exec_lo, exec_lo, s10
.LBB4_8844:                             ;   in Loop: Header=BB4_8282 Depth=2
	s_delay_alu instid0(SALU_CYCLE_1) | instskip(NEXT) | instid1(SALU_CYCLE_1)
	s_or_b32 exec_lo, exec_lo, s7
	s_mov_b32 s7, exec_lo
	s_wait_loadcnt_dscnt 0xf0f
	v_cmpx_ne_u16_e32 0, v104
	s_cbranch_execz .LBB4_8854
; %bb.8845:                             ;   in Loop: Header=BB4_8282 Depth=2
	v_bfrev_b32_e32 v2, 1
	s_mov_b32 s10, exec_lo
	v_cmpx_ne_u16_e32 0xff80, v104
	s_cbranch_execz .LBB4_8853
; %bb.8846:                             ;   in Loop: Header=BB4_8282 Depth=2
	v_and_b32_e32 v2, 0x7c, v104
	v_and_b32_e32 v20, 3, v104
	s_delay_alu instid0(VALU_DEP_2) | instskip(SKIP_1) | instid1(SALU_CYCLE_1)
	v_cmp_ne_u32_e32 vcc_lo, 0x7c, v2
                                        ; implicit-def: $vgpr2
	s_and_saveexec_b32 s11, vcc_lo
	s_xor_b32 s11, exec_lo, s11
	s_cbranch_execz .LBB4_8850
; %bb.8847:                             ;   in Loop: Header=BB4_8282 Depth=2
	v_and_b32_e32 v2, 0xff, v104
	s_mov_b32 s28, exec_lo
	s_delay_alu instid0(VALU_DEP_1) | instskip(NEXT) | instid1(VALU_DEP_1)
	v_bfe_u32 v2, v2, 2, 5
	v_cmpx_eq_u32_e32 0, v2
	s_cbranch_execz .LBB4_8849
; %bb.8848:                             ;   in Loop: Header=BB4_8282 Depth=2
	v_clz_i32_u32_e32 v2, v20
	s_delay_alu instid0(VALU_DEP_1) | instskip(SKIP_1) | instid1(VALU_DEP_2)
	v_min_u32_e32 v2, 32, v2
	v_mov_b32_e32 v105, v37
	v_subrev_nc_u32_e32 v20, 29, v2
	v_sub_nc_u32_e32 v2, 30, v2
	s_delay_alu instid0(VALU_DEP_2) | instskip(NEXT) | instid1(VALU_DEP_1)
	v_lshlrev_b64_e32 v[20:21], v20, v[104:105]
	v_and_b32_e32 v20, 3, v20
.LBB4_8849:                             ;   in Loop: Header=BB4_8282 Depth=2
	s_or_b32 exec_lo, exec_lo, s28
	v_bfe_i32 v21, v104, 0, 16
                                        ; implicit-def: $vgpr104
	s_delay_alu instid0(VALU_DEP_1) | instskip(NEXT) | instid1(VALU_DEP_1)
	v_and_b32_e32 v21, 0x80000000, v21
	v_lshl_add_u32 v2, v2, 23, v21
	s_delay_alu instid0(VALU_DEP_1) | instskip(NEXT) | instid1(VALU_DEP_1)
	v_lshl_or_b32 v2, v20, 21, v2
                                        ; implicit-def: $vgpr20
	v_add_nc_u32_e32 v2, 0x38000000, v2
.LBB4_8850:                             ;   in Loop: Header=BB4_8282 Depth=2
	s_and_not1_saveexec_b32 s11, s11
; %bb.8851:                             ;   in Loop: Header=BB4_8282 Depth=2
	v_cmp_lt_i16_e32 vcc_lo, -1, v104
	v_cndmask_b32_e32 v2, 0xff800000, v109, vcc_lo
	v_cmp_eq_u32_e32 vcc_lo, 0, v20
	s_delay_alu instid0(VALU_DEP_2)
	v_cndmask_b32_e32 v2, 0x7f800001, v2, vcc_lo
; %bb.8852:                             ;   in Loop: Header=BB4_8282 Depth=2
	s_or_b32 exec_lo, exec_lo, s11
.LBB4_8853:                             ;   in Loop: Header=BB4_8282 Depth=2
	s_delay_alu instid0(SALU_CYCLE_1)
	s_or_b32 exec_lo, exec_lo, s10
.LBB4_8854:                             ;   in Loop: Header=BB4_8282 Depth=2
	s_delay_alu instid0(SALU_CYCLE_1) | instskip(NEXT) | instid1(VALU_DEP_1)
	s_or_b32 exec_lo, exec_lo, s7
	v_add_f32_e32 v17, v17, v2
	v_mov_b32_e32 v21, v37
                                        ; implicit-def: $vgpr104
	s_mov_b32 s7, exec_lo
	s_delay_alu instid0(VALU_DEP_2) | instskip(SKIP_1) | instid1(VALU_DEP_2)
	v_and_b32_e32 v20, 0x7f800000, v17
	v_and_b32_e32 v36, 0x7fffff, v17
	v_cmpx_ne_u64_e32 0x7f800000, v[20:21]
	s_xor_b32 s10, exec_lo, s7
	s_cbranch_execz .LBB4_8872
; %bb.8855:                             ;   in Loop: Header=BB4_8282 Depth=2
	v_dual_mov_b32 v21, v37 :: v_dual_lshrrev_b32 v2, 24, v17
	v_and_b32_e32 v20, 0x7fffffff, v17
                                        ; implicit-def: $vgpr104
	s_mov_b32 s7, exec_lo
	s_delay_alu instid0(VALU_DEP_2) | instskip(NEXT) | instid1(VALU_DEP_2)
	v_and_b32_e32 v2, 0x80, v2
	v_cmpx_gt_u64_e32 0x47600001, v[20:21]
	s_xor_b32 s11, exec_lo, s7
	s_cbranch_execz .LBB4_8869
; %bb.8856:                             ;   in Loop: Header=BB4_8282 Depth=2
	v_mov_b32_e32 v104, 0
	s_mov_b32 s28, exec_lo
	v_cmpx_ne_u32_e32 0, v17
	s_cbranch_execz .LBB4_8868
; %bb.8857:                             ;   in Loop: Header=BB4_8282 Depth=2
	v_bfe_u32 v17, v17, 23, 8
	v_or_b32_e32 v31, 0x800000, v36
	s_delay_alu instid0(VALU_DEP_2) | instskip(SKIP_1) | instid1(VALU_DEP_2)
	v_dual_mov_b32 v57, v37 :: v_dual_sub_nc_u32 v20, 0x71, v17
	v_cmp_gt_u32_e32 vcc_lo, 0x72, v17
	v_cndmask_b32_e32 v20, 0, v20, vcc_lo
	v_cmp_eq_u32_e32 vcc_lo, 0, v17
	s_delay_alu instid0(VALU_DEP_2) | instskip(SKIP_1) | instid1(VALU_DEP_2)
	v_cndmask_b32_e64 v20, v20, 0x70, vcc_lo
	v_cndmask_b32_e32 v56, v31, v36, vcc_lo
	v_add_nc_u32_e32 v21, 21, v20
	s_delay_alu instid0(VALU_DEP_1) | instskip(SKIP_1) | instid1(VALU_DEP_1)
	v_lshlrev_b64_e64 v[24:25], v21, -1
	v_add_nc_u32_e32 v21, 20, v20
	v_lshlrev_b64_e64 v[104:105], v21, 1
	s_delay_alu instid0(VALU_DEP_3) | instskip(SKIP_2) | instid1(VALU_DEP_1)
	v_bfi_b32 v24, v24, 0, v56
	v_lshrrev_b64 v[56:57], v20, v[56:57]
	v_bfi_b32 v25, v25, 0, 0
	v_cmp_eq_u64_e64 s7, v[24:25], v[104:105]
	s_delay_alu instid0(VALU_DEP_3)
	v_mov_b64_e32 v[104:105], v[56:57]
	s_and_saveexec_b32 s29, s7
; %bb.8858:                             ;   in Loop: Header=BB4_8282 Depth=2
	v_bfe_u32 v24, v56, 21, 1
	v_mov_b32_e32 v25, v37
	s_delay_alu instid0(VALU_DEP_1) | instskip(NEXT) | instid1(VALU_DEP_1)
	v_add_nc_u64_e32 v[24:25], v[56:57], v[24:25]
	v_add_nc_u64_e32 v[104:105], -1, v[24:25]
; %bb.8859:                             ;   in Loop: Header=BB4_8282 Depth=2
	s_or_b32 exec_lo, exec_lo, s29
	v_add_nc_u32_e32 v17, 0xffffff81, v17
	s_delay_alu instid0(VALU_DEP_2) | instskip(SKIP_2) | instid1(VALU_DEP_3)
	v_and_b32_e32 v24, 0x1fffff, v104
	v_lshrrev_b32_e32 v21, 23, v56
	s_mov_b32 s7, exec_lo
	v_cndmask_b32_e64 v17, v17, 0xffffff82, vcc_lo
	s_delay_alu instid0(VALU_DEP_3) | instskip(NEXT) | instid1(VALU_DEP_2)
	v_add_nc_u32_e32 v36, v24, v56
                                        ; implicit-def: $vgpr56_vgpr57
	v_add3_u32 v20, v20, v17, v21
                                        ; implicit-def: $vgpr17
	s_delay_alu instid0(VALU_DEP_1) | instskip(NEXT) | instid1(VALU_DEP_1)
	v_add_nc_u32_e32 v21, 14, v20
	v_cmpx_ne_u32_e32 0, v21
	s_xor_b32 s7, exec_lo, s7
; %bb.8860:                             ;   in Loop: Header=BB4_8282 Depth=2
	v_cmp_lt_u64_e32 vcc_lo, 0xffffff, v[36:37]
	v_add_nc_u32_e32 v17, 15, v20
	v_cndmask_b32_e64 v20, 0, 1, vcc_lo
	s_delay_alu instid0(VALU_DEP_2) | instskip(NEXT) | instid1(VALU_DEP_2)
	v_cndmask_b32_e32 v17, v21, v17, vcc_lo
	v_lshrrev_b64 v[56:57], v20, v[36:37]
; %bb.8861:                             ;   in Loop: Header=BB4_8282 Depth=2
	s_and_not1_saveexec_b32 s7, s7
; %bb.8862:                             ;   in Loop: Header=BB4_8282 Depth=2
	v_mov_b64_e32 v[56:57], v[36:37]
	v_bfe_u32 v17, v36, 23, 1
; %bb.8863:                             ;   in Loop: Header=BB4_8282 Depth=2
	s_or_b32 exec_lo, exec_lo, s7
	s_delay_alu instid0(VALU_DEP_2) | instskip(NEXT) | instid1(VALU_DEP_2)
	v_lshrrev_b64 v[20:21], 21, v[56:57]
	v_cmp_gt_i32_e32 vcc_lo, 32, v17
	v_cmp_ne_u32_e64 s7, 0, v17
                                        ; implicit-def: $vgpr104
	s_delay_alu instid0(VALU_DEP_3) | instskip(NEXT) | instid1(VALU_DEP_1)
	v_dual_cndmask_b32 v57, 0, v21 :: v_dual_cndmask_b32 v56, 3, v20
	v_cmp_ne_u64_e32 vcc_lo, 0, v[56:57]
	s_or_b32 s7, s7, vcc_lo
	s_delay_alu instid0(SALU_CYCLE_1) | instskip(NEXT) | instid1(SALU_CYCLE_1)
	s_and_saveexec_b32 s29, s7
	s_xor_b32 s7, exec_lo, s29
; %bb.8864:                             ;   in Loop: Header=BB4_8282 Depth=2
	v_min_i32_e32 v17, 31, v17
	s_delay_alu instid0(VALU_DEP_1) | instskip(NEXT) | instid1(VALU_DEP_1)
	v_lshl_or_b32 v2, v17, 2, v2
	v_and_or_b32 v104, v56, 3, v2
                                        ; implicit-def: $vgpr2
; %bb.8865:                             ;   in Loop: Header=BB4_8282 Depth=2
	s_and_not1_saveexec_b32 s7, s7
; %bb.8866:                             ;   in Loop: Header=BB4_8282 Depth=2
	v_mov_b32_e32 v104, v2
; %bb.8867:                             ;   in Loop: Header=BB4_8282 Depth=2
	s_or_b32 exec_lo, exec_lo, s7
.LBB4_8868:                             ;   in Loop: Header=BB4_8282 Depth=2
	s_delay_alu instid0(SALU_CYCLE_1)
	s_or_b32 exec_lo, exec_lo, s28
                                        ; implicit-def: $vgpr2
.LBB4_8869:                             ;   in Loop: Header=BB4_8282 Depth=2
	s_and_not1_saveexec_b32 s7, s11
; %bb.8870:                             ;   in Loop: Header=BB4_8282 Depth=2
	v_or_b32_e32 v104, 0x7b, v2
; %bb.8871:                             ;   in Loop: Header=BB4_8282 Depth=2
	s_or_b32 exec_lo, exec_lo, s7
                                        ; implicit-def: $vgpr17
.LBB4_8872:                             ;   in Loop: Header=BB4_8282 Depth=2
	s_and_not1_saveexec_b32 s7, s10
	s_cbranch_execz .LBB4_8878
; %bb.8873:                             ;   in Loop: Header=BB4_8282 Depth=2
	s_mov_b32 s10, exec_lo
                                        ; implicit-def: $vgpr104
	v_cmpx_ne_u64_e32 0, v[36:37]
	s_xor_b32 s10, exec_lo, s10
; %bb.8874:                             ;   in Loop: Header=BB4_8282 Depth=2
	v_lshrrev_b32_e32 v2, 24, v17
                                        ; implicit-def: $vgpr17
	s_delay_alu instid0(VALU_DEP_1)
	v_or_b32_e32 v104, 0x7f, v2
; %bb.8875:                             ;   in Loop: Header=BB4_8282 Depth=2
	s_and_not1_saveexec_b32 s10, s10
; %bb.8876:                             ;   in Loop: Header=BB4_8282 Depth=2
	v_cmp_lt_i32_e32 vcc_lo, -1, v17
	v_cndmask_b32_e64 v104, -4, 0x7c, vcc_lo
; %bb.8877:                             ;   in Loop: Header=BB4_8282 Depth=2
	s_or_b32 exec_lo, exec_lo, s10
.LBB4_8878:                             ;   in Loop: Header=BB4_8282 Depth=2
	s_delay_alu instid0(SALU_CYCLE_1) | instskip(SKIP_3) | instid1(VALU_DEP_2)
	s_or_b32 exec_lo, exec_lo, s7
	v_and_b32_e32 v21, 0xff, v44
	v_dual_mov_b32 v2, 0 :: v_dual_mov_b32 v17, 0
	s_mov_b32 s7, exec_lo
	v_cmpx_ne_u16_e32 0, v21
	s_cbranch_execz .LBB4_8888
; %bb.8879:                             ;   in Loop: Header=BB4_8282 Depth=2
	v_bfrev_b32_e32 v17, 1
	s_mov_b32 s10, exec_lo
	v_cmpx_ne_u16_e32 0x80, v21
	s_cbranch_execz .LBB4_8887
; %bb.8880:                             ;   in Loop: Header=BB4_8282 Depth=2
	v_and_b32_e32 v17, 0x7c, v44
	v_and_b32_e32 v20, 3, v44
	s_delay_alu instid0(VALU_DEP_2) | instskip(SKIP_1) | instid1(SALU_CYCLE_1)
	v_cmp_ne_u32_e32 vcc_lo, 0x7c, v17
                                        ; implicit-def: $vgpr17
	s_and_saveexec_b32 s11, vcc_lo
	s_xor_b32 s11, exec_lo, s11
	s_cbranch_execz .LBB4_8884
; %bb.8881:                             ;   in Loop: Header=BB4_8282 Depth=2
	v_bfe_u32 v17, v21, 2, 5
	s_mov_b32 s28, exec_lo
	s_delay_alu instid0(VALU_DEP_1)
	v_cmpx_eq_u32_e32 0, v17
	s_cbranch_execz .LBB4_8883
; %bb.8882:                             ;   in Loop: Header=BB4_8282 Depth=2
	v_clz_i32_u32_e32 v17, v20
	s_delay_alu instid0(VALU_DEP_1) | instskip(SKIP_1) | instid1(VALU_DEP_2)
	v_min_u32_e32 v17, 32, v17
	v_mov_b32_e32 v45, v37
	v_subrev_nc_u32_e32 v20, 29, v17
	v_sub_nc_u32_e32 v17, 30, v17
	s_delay_alu instid0(VALU_DEP_2) | instskip(NEXT) | instid1(VALU_DEP_1)
	v_lshlrev_b64_e32 v[20:21], v20, v[44:45]
	v_and_b32_e32 v20, 3, v20
.LBB4_8883:                             ;   in Loop: Header=BB4_8282 Depth=2
	s_or_b32 exec_lo, exec_lo, s28
	v_lshlrev_b32_e32 v21, 24, v44
                                        ; implicit-def: $vgpr44
	s_delay_alu instid0(VALU_DEP_1) | instskip(NEXT) | instid1(VALU_DEP_1)
	v_and_b32_e32 v21, 0x80000000, v21
	v_lshl_add_u32 v17, v17, 23, v21
	s_delay_alu instid0(VALU_DEP_1) | instskip(NEXT) | instid1(VALU_DEP_1)
	v_lshl_or_b32 v17, v20, 21, v17
                                        ; implicit-def: $vgpr20
	v_add_nc_u32_e32 v17, 0x38000000, v17
.LBB4_8884:                             ;   in Loop: Header=BB4_8282 Depth=2
	s_and_not1_saveexec_b32 s11, s11
; %bb.8885:                             ;   in Loop: Header=BB4_8282 Depth=2
	v_bfe_i32 v17, v44, 0, 8
	s_delay_alu instid0(VALU_DEP_1) | instskip(SKIP_2) | instid1(VALU_DEP_2)
	v_cmp_lt_i16_e32 vcc_lo, -1, v17
	v_cndmask_b32_e32 v17, 0xff800000, v109, vcc_lo
	v_cmp_eq_u32_e32 vcc_lo, 0, v20
	v_cndmask_b32_e32 v17, 0x7f800001, v17, vcc_lo
; %bb.8886:                             ;   in Loop: Header=BB4_8282 Depth=2
	s_or_b32 exec_lo, exec_lo, s11
.LBB4_8887:                             ;   in Loop: Header=BB4_8282 Depth=2
	s_delay_alu instid0(SALU_CYCLE_1)
	s_or_b32 exec_lo, exec_lo, s10
.LBB4_8888:                             ;   in Loop: Header=BB4_8282 Depth=2
	s_delay_alu instid0(SALU_CYCLE_1) | instskip(NEXT) | instid1(SALU_CYCLE_1)
	s_or_b32 exec_lo, exec_lo, s7
	s_mov_b32 s7, exec_lo
	s_wait_loadcnt_dscnt 0xe0e
	v_cmpx_ne_u16_e32 0, v94
	s_cbranch_execz .LBB4_8898
; %bb.8889:                             ;   in Loop: Header=BB4_8282 Depth=2
	v_bfrev_b32_e32 v2, 1
	s_mov_b32 s10, exec_lo
	v_cmpx_ne_u16_e32 0xff80, v94
	s_cbranch_execz .LBB4_8897
; %bb.8890:                             ;   in Loop: Header=BB4_8282 Depth=2
	v_and_b32_e32 v2, 0x7c, v94
	v_and_b32_e32 v20, 3, v94
	s_delay_alu instid0(VALU_DEP_2) | instskip(SKIP_1) | instid1(SALU_CYCLE_1)
	v_cmp_ne_u32_e32 vcc_lo, 0x7c, v2
                                        ; implicit-def: $vgpr2
	s_and_saveexec_b32 s11, vcc_lo
	s_xor_b32 s11, exec_lo, s11
	s_cbranch_execz .LBB4_8894
; %bb.8891:                             ;   in Loop: Header=BB4_8282 Depth=2
	v_and_b32_e32 v2, 0xff, v94
	s_mov_b32 s28, exec_lo
	s_delay_alu instid0(VALU_DEP_1) | instskip(NEXT) | instid1(VALU_DEP_1)
	v_bfe_u32 v2, v2, 2, 5
	v_cmpx_eq_u32_e32 0, v2
	s_cbranch_execz .LBB4_8893
; %bb.8892:                             ;   in Loop: Header=BB4_8282 Depth=2
	v_clz_i32_u32_e32 v2, v20
	s_delay_alu instid0(VALU_DEP_1) | instskip(SKIP_1) | instid1(VALU_DEP_2)
	v_min_u32_e32 v2, 32, v2
	v_mov_b32_e32 v95, v37
	v_subrev_nc_u32_e32 v20, 29, v2
	v_sub_nc_u32_e32 v2, 30, v2
	s_delay_alu instid0(VALU_DEP_2) | instskip(NEXT) | instid1(VALU_DEP_1)
	v_lshlrev_b64_e32 v[20:21], v20, v[94:95]
	v_and_b32_e32 v20, 3, v20
.LBB4_8893:                             ;   in Loop: Header=BB4_8282 Depth=2
	s_or_b32 exec_lo, exec_lo, s28
	v_bfe_i32 v21, v94, 0, 16
                                        ; implicit-def: $vgpr94
	s_delay_alu instid0(VALU_DEP_1) | instskip(NEXT) | instid1(VALU_DEP_1)
	v_and_b32_e32 v21, 0x80000000, v21
	v_lshl_add_u32 v2, v2, 23, v21
	s_delay_alu instid0(VALU_DEP_1) | instskip(NEXT) | instid1(VALU_DEP_1)
	v_lshl_or_b32 v2, v20, 21, v2
                                        ; implicit-def: $vgpr20
	v_add_nc_u32_e32 v2, 0x38000000, v2
.LBB4_8894:                             ;   in Loop: Header=BB4_8282 Depth=2
	s_and_not1_saveexec_b32 s11, s11
; %bb.8895:                             ;   in Loop: Header=BB4_8282 Depth=2
	v_cmp_lt_i16_e32 vcc_lo, -1, v94
	v_cndmask_b32_e32 v2, 0xff800000, v109, vcc_lo
	v_cmp_eq_u32_e32 vcc_lo, 0, v20
	s_delay_alu instid0(VALU_DEP_2)
	v_cndmask_b32_e32 v2, 0x7f800001, v2, vcc_lo
; %bb.8896:                             ;   in Loop: Header=BB4_8282 Depth=2
	s_or_b32 exec_lo, exec_lo, s11
.LBB4_8897:                             ;   in Loop: Header=BB4_8282 Depth=2
	s_delay_alu instid0(SALU_CYCLE_1)
	s_or_b32 exec_lo, exec_lo, s10
.LBB4_8898:                             ;   in Loop: Header=BB4_8282 Depth=2
	s_delay_alu instid0(SALU_CYCLE_1) | instskip(NEXT) | instid1(VALU_DEP_1)
	s_or_b32 exec_lo, exec_lo, s7
	v_add_f32_e32 v17, v17, v2
	v_mov_b32_e32 v21, v37
                                        ; implicit-def: $vgpr56
	s_mov_b32 s7, exec_lo
	s_delay_alu instid0(VALU_DEP_2) | instskip(SKIP_1) | instid1(VALU_DEP_2)
	v_and_b32_e32 v20, 0x7f800000, v17
	v_and_b32_e32 v36, 0x7fffff, v17
	v_cmpx_ne_u64_e32 0x7f800000, v[20:21]
	s_xor_b32 s10, exec_lo, s7
	s_cbranch_execz .LBB4_8916
; %bb.8899:                             ;   in Loop: Header=BB4_8282 Depth=2
	v_dual_mov_b32 v21, v37 :: v_dual_lshrrev_b32 v2, 24, v17
	v_and_b32_e32 v20, 0x7fffffff, v17
                                        ; implicit-def: $vgpr56
	s_mov_b32 s7, exec_lo
	s_delay_alu instid0(VALU_DEP_2) | instskip(NEXT) | instid1(VALU_DEP_2)
	v_and_b32_e32 v2, 0x80, v2
	v_cmpx_gt_u64_e32 0x47600001, v[20:21]
	s_xor_b32 s11, exec_lo, s7
	s_cbranch_execz .LBB4_8913
; %bb.8900:                             ;   in Loop: Header=BB4_8282 Depth=2
	v_mov_b32_e32 v56, 0
	s_mov_b32 s28, exec_lo
	v_cmpx_ne_u32_e32 0, v17
	s_cbranch_execz .LBB4_8912
; %bb.8901:                             ;   in Loop: Header=BB4_8282 Depth=2
	v_bfe_u32 v17, v17, 23, 8
	v_or_b32_e32 v31, 0x800000, v36
	s_delay_alu instid0(VALU_DEP_2) | instskip(SKIP_1) | instid1(VALU_DEP_2)
	v_dual_mov_b32 v45, v37 :: v_dual_sub_nc_u32 v20, 0x71, v17
	v_cmp_gt_u32_e32 vcc_lo, 0x72, v17
	v_cndmask_b32_e32 v20, 0, v20, vcc_lo
	v_cmp_eq_u32_e32 vcc_lo, 0, v17
	s_delay_alu instid0(VALU_DEP_2) | instskip(SKIP_1) | instid1(VALU_DEP_2)
	v_cndmask_b32_e64 v20, v20, 0x70, vcc_lo
	v_cndmask_b32_e32 v44, v31, v36, vcc_lo
	v_add_nc_u32_e32 v21, 21, v20
	s_delay_alu instid0(VALU_DEP_1) | instskip(SKIP_1) | instid1(VALU_DEP_1)
	v_lshlrev_b64_e64 v[24:25], v21, -1
	v_add_nc_u32_e32 v21, 20, v20
	v_lshlrev_b64_e64 v[56:57], v21, 1
	s_delay_alu instid0(VALU_DEP_3) | instskip(SKIP_2) | instid1(VALU_DEP_1)
	v_bfi_b32 v24, v24, 0, v44
	v_lshrrev_b64 v[44:45], v20, v[44:45]
	v_bfi_b32 v25, v25, 0, 0
	v_cmp_eq_u64_e64 s7, v[24:25], v[56:57]
	s_delay_alu instid0(VALU_DEP_3)
	v_mov_b64_e32 v[56:57], v[44:45]
	s_and_saveexec_b32 s29, s7
; %bb.8902:                             ;   in Loop: Header=BB4_8282 Depth=2
	v_bfe_u32 v24, v44, 21, 1
	v_mov_b32_e32 v25, v37
	s_delay_alu instid0(VALU_DEP_1) | instskip(NEXT) | instid1(VALU_DEP_1)
	v_add_nc_u64_e32 v[24:25], v[44:45], v[24:25]
	v_add_nc_u64_e32 v[56:57], -1, v[24:25]
; %bb.8903:                             ;   in Loop: Header=BB4_8282 Depth=2
	s_or_b32 exec_lo, exec_lo, s29
	v_add_nc_u32_e32 v17, 0xffffff81, v17
	s_delay_alu instid0(VALU_DEP_2) | instskip(SKIP_2) | instid1(VALU_DEP_3)
	v_and_b32_e32 v24, 0x1fffff, v56
	v_lshrrev_b32_e32 v21, 23, v44
	s_mov_b32 s7, exec_lo
	v_cndmask_b32_e64 v17, v17, 0xffffff82, vcc_lo
	s_delay_alu instid0(VALU_DEP_3) | instskip(NEXT) | instid1(VALU_DEP_2)
	v_add_nc_u32_e32 v36, v24, v44
                                        ; implicit-def: $vgpr44_vgpr45
	v_add3_u32 v20, v20, v17, v21
                                        ; implicit-def: $vgpr17
	s_delay_alu instid0(VALU_DEP_1) | instskip(NEXT) | instid1(VALU_DEP_1)
	v_add_nc_u32_e32 v21, 14, v20
	v_cmpx_ne_u32_e32 0, v21
	s_xor_b32 s7, exec_lo, s7
; %bb.8904:                             ;   in Loop: Header=BB4_8282 Depth=2
	v_cmp_lt_u64_e32 vcc_lo, 0xffffff, v[36:37]
	v_add_nc_u32_e32 v17, 15, v20
	v_cndmask_b32_e64 v20, 0, 1, vcc_lo
	s_delay_alu instid0(VALU_DEP_2) | instskip(NEXT) | instid1(VALU_DEP_2)
	v_cndmask_b32_e32 v17, v21, v17, vcc_lo
	v_lshrrev_b64 v[44:45], v20, v[36:37]
; %bb.8905:                             ;   in Loop: Header=BB4_8282 Depth=2
	s_and_not1_saveexec_b32 s7, s7
; %bb.8906:                             ;   in Loop: Header=BB4_8282 Depth=2
	v_mov_b64_e32 v[44:45], v[36:37]
	v_bfe_u32 v17, v36, 23, 1
; %bb.8907:                             ;   in Loop: Header=BB4_8282 Depth=2
	s_or_b32 exec_lo, exec_lo, s7
	s_delay_alu instid0(VALU_DEP_2) | instskip(NEXT) | instid1(VALU_DEP_2)
	v_lshrrev_b64 v[20:21], 21, v[44:45]
	v_cmp_gt_i32_e32 vcc_lo, 32, v17
	v_cmp_ne_u32_e64 s7, 0, v17
                                        ; implicit-def: $vgpr56
	s_delay_alu instid0(VALU_DEP_3) | instskip(NEXT) | instid1(VALU_DEP_1)
	v_dual_cndmask_b32 v45, 0, v21 :: v_dual_cndmask_b32 v44, 3, v20
	v_cmp_ne_u64_e32 vcc_lo, 0, v[44:45]
	s_or_b32 s7, s7, vcc_lo
	s_delay_alu instid0(SALU_CYCLE_1) | instskip(NEXT) | instid1(SALU_CYCLE_1)
	s_and_saveexec_b32 s29, s7
	s_xor_b32 s7, exec_lo, s29
; %bb.8908:                             ;   in Loop: Header=BB4_8282 Depth=2
	v_min_i32_e32 v17, 31, v17
	s_delay_alu instid0(VALU_DEP_1) | instskip(NEXT) | instid1(VALU_DEP_1)
	v_lshl_or_b32 v2, v17, 2, v2
	v_and_or_b32 v56, v44, 3, v2
                                        ; implicit-def: $vgpr2
; %bb.8909:                             ;   in Loop: Header=BB4_8282 Depth=2
	s_and_not1_saveexec_b32 s7, s7
; %bb.8910:                             ;   in Loop: Header=BB4_8282 Depth=2
	v_mov_b32_e32 v56, v2
; %bb.8911:                             ;   in Loop: Header=BB4_8282 Depth=2
	s_or_b32 exec_lo, exec_lo, s7
.LBB4_8912:                             ;   in Loop: Header=BB4_8282 Depth=2
	s_delay_alu instid0(SALU_CYCLE_1)
	s_or_b32 exec_lo, exec_lo, s28
                                        ; implicit-def: $vgpr2
.LBB4_8913:                             ;   in Loop: Header=BB4_8282 Depth=2
	s_and_not1_saveexec_b32 s7, s11
; %bb.8914:                             ;   in Loop: Header=BB4_8282 Depth=2
	v_or_b32_e32 v56, 0x7b, v2
; %bb.8915:                             ;   in Loop: Header=BB4_8282 Depth=2
	s_or_b32 exec_lo, exec_lo, s7
                                        ; implicit-def: $vgpr17
.LBB4_8916:                             ;   in Loop: Header=BB4_8282 Depth=2
	s_and_not1_saveexec_b32 s7, s10
	s_cbranch_execz .LBB4_8922
; %bb.8917:                             ;   in Loop: Header=BB4_8282 Depth=2
	s_mov_b32 s10, exec_lo
                                        ; implicit-def: $vgpr56
	v_cmpx_ne_u64_e32 0, v[36:37]
	s_xor_b32 s10, exec_lo, s10
; %bb.8918:                             ;   in Loop: Header=BB4_8282 Depth=2
	v_lshrrev_b32_e32 v2, 24, v17
                                        ; implicit-def: $vgpr17
	s_delay_alu instid0(VALU_DEP_1)
	v_or_b32_e32 v56, 0x7f, v2
; %bb.8919:                             ;   in Loop: Header=BB4_8282 Depth=2
	s_and_not1_saveexec_b32 s10, s10
; %bb.8920:                             ;   in Loop: Header=BB4_8282 Depth=2
	v_cmp_lt_i32_e32 vcc_lo, -1, v17
	v_cndmask_b32_e64 v56, -4, 0x7c, vcc_lo
; %bb.8921:                             ;   in Loop: Header=BB4_8282 Depth=2
	s_or_b32 exec_lo, exec_lo, s10
.LBB4_8922:                             ;   in Loop: Header=BB4_8282 Depth=2
	s_delay_alu instid0(SALU_CYCLE_1) | instskip(SKIP_3) | instid1(VALU_DEP_2)
	s_or_b32 exec_lo, exec_lo, s7
	v_and_b32_e32 v21, 0xff, v42
	v_dual_mov_b32 v2, 0 :: v_dual_mov_b32 v17, 0
	s_mov_b32 s7, exec_lo
	v_cmpx_ne_u16_e32 0, v21
	s_cbranch_execz .LBB4_8932
; %bb.8923:                             ;   in Loop: Header=BB4_8282 Depth=2
	v_bfrev_b32_e32 v17, 1
	s_mov_b32 s10, exec_lo
	v_cmpx_ne_u16_e32 0x80, v21
	s_cbranch_execz .LBB4_8931
; %bb.8924:                             ;   in Loop: Header=BB4_8282 Depth=2
	v_and_b32_e32 v17, 0x7c, v42
	v_and_b32_e32 v20, 3, v42
	s_delay_alu instid0(VALU_DEP_2) | instskip(SKIP_1) | instid1(SALU_CYCLE_1)
	v_cmp_ne_u32_e32 vcc_lo, 0x7c, v17
                                        ; implicit-def: $vgpr17
	s_and_saveexec_b32 s11, vcc_lo
	s_xor_b32 s11, exec_lo, s11
	s_cbranch_execz .LBB4_8928
; %bb.8925:                             ;   in Loop: Header=BB4_8282 Depth=2
	v_bfe_u32 v17, v21, 2, 5
	s_mov_b32 s28, exec_lo
	s_delay_alu instid0(VALU_DEP_1)
	v_cmpx_eq_u32_e32 0, v17
	s_cbranch_execz .LBB4_8927
; %bb.8926:                             ;   in Loop: Header=BB4_8282 Depth=2
	v_clz_i32_u32_e32 v17, v20
	s_delay_alu instid0(VALU_DEP_1) | instskip(SKIP_1) | instid1(VALU_DEP_2)
	v_min_u32_e32 v17, 32, v17
	v_mov_b32_e32 v43, v37
	v_subrev_nc_u32_e32 v20, 29, v17
	v_sub_nc_u32_e32 v17, 30, v17
	s_delay_alu instid0(VALU_DEP_2) | instskip(NEXT) | instid1(VALU_DEP_1)
	v_lshlrev_b64_e32 v[20:21], v20, v[42:43]
	v_and_b32_e32 v20, 3, v20
.LBB4_8927:                             ;   in Loop: Header=BB4_8282 Depth=2
	s_or_b32 exec_lo, exec_lo, s28
	v_lshlrev_b32_e32 v21, 24, v42
                                        ; implicit-def: $vgpr42
	s_delay_alu instid0(VALU_DEP_1) | instskip(NEXT) | instid1(VALU_DEP_1)
	v_and_b32_e32 v21, 0x80000000, v21
	v_lshl_add_u32 v17, v17, 23, v21
	s_delay_alu instid0(VALU_DEP_1) | instskip(NEXT) | instid1(VALU_DEP_1)
	v_lshl_or_b32 v17, v20, 21, v17
                                        ; implicit-def: $vgpr20
	v_add_nc_u32_e32 v17, 0x38000000, v17
.LBB4_8928:                             ;   in Loop: Header=BB4_8282 Depth=2
	s_and_not1_saveexec_b32 s11, s11
; %bb.8929:                             ;   in Loop: Header=BB4_8282 Depth=2
	v_bfe_i32 v17, v42, 0, 8
	s_delay_alu instid0(VALU_DEP_1) | instskip(SKIP_2) | instid1(VALU_DEP_2)
	v_cmp_lt_i16_e32 vcc_lo, -1, v17
	v_cndmask_b32_e32 v17, 0xff800000, v109, vcc_lo
	v_cmp_eq_u32_e32 vcc_lo, 0, v20
	v_cndmask_b32_e32 v17, 0x7f800001, v17, vcc_lo
; %bb.8930:                             ;   in Loop: Header=BB4_8282 Depth=2
	s_or_b32 exec_lo, exec_lo, s11
.LBB4_8931:                             ;   in Loop: Header=BB4_8282 Depth=2
	s_delay_alu instid0(SALU_CYCLE_1)
	s_or_b32 exec_lo, exec_lo, s10
.LBB4_8932:                             ;   in Loop: Header=BB4_8282 Depth=2
	s_delay_alu instid0(SALU_CYCLE_1) | instskip(NEXT) | instid1(SALU_CYCLE_1)
	s_or_b32 exec_lo, exec_lo, s7
	s_mov_b32 s7, exec_lo
	s_wait_loadcnt_dscnt 0xd0d
	v_cmpx_ne_u16_e32 0, v92
	s_cbranch_execz .LBB4_8942
; %bb.8933:                             ;   in Loop: Header=BB4_8282 Depth=2
	v_bfrev_b32_e32 v2, 1
	s_mov_b32 s10, exec_lo
	v_cmpx_ne_u16_e32 0xff80, v92
	s_cbranch_execz .LBB4_8941
; %bb.8934:                             ;   in Loop: Header=BB4_8282 Depth=2
	v_and_b32_e32 v2, 0x7c, v92
	v_and_b32_e32 v20, 3, v92
	s_delay_alu instid0(VALU_DEP_2) | instskip(SKIP_1) | instid1(SALU_CYCLE_1)
	v_cmp_ne_u32_e32 vcc_lo, 0x7c, v2
                                        ; implicit-def: $vgpr2
	s_and_saveexec_b32 s11, vcc_lo
	s_xor_b32 s11, exec_lo, s11
	s_cbranch_execz .LBB4_8938
; %bb.8935:                             ;   in Loop: Header=BB4_8282 Depth=2
	v_and_b32_e32 v2, 0xff, v92
	s_mov_b32 s28, exec_lo
	s_delay_alu instid0(VALU_DEP_1) | instskip(NEXT) | instid1(VALU_DEP_1)
	v_bfe_u32 v2, v2, 2, 5
	v_cmpx_eq_u32_e32 0, v2
	s_cbranch_execz .LBB4_8937
; %bb.8936:                             ;   in Loop: Header=BB4_8282 Depth=2
	v_clz_i32_u32_e32 v2, v20
	s_delay_alu instid0(VALU_DEP_1) | instskip(SKIP_1) | instid1(VALU_DEP_2)
	v_min_u32_e32 v2, 32, v2
	v_mov_b32_e32 v93, v37
	v_subrev_nc_u32_e32 v20, 29, v2
	v_sub_nc_u32_e32 v2, 30, v2
	s_delay_alu instid0(VALU_DEP_2) | instskip(NEXT) | instid1(VALU_DEP_1)
	v_lshlrev_b64_e32 v[20:21], v20, v[92:93]
	v_and_b32_e32 v20, 3, v20
.LBB4_8937:                             ;   in Loop: Header=BB4_8282 Depth=2
	s_or_b32 exec_lo, exec_lo, s28
	v_bfe_i32 v21, v92, 0, 16
                                        ; implicit-def: $vgpr92
	s_delay_alu instid0(VALU_DEP_1) | instskip(NEXT) | instid1(VALU_DEP_1)
	v_and_b32_e32 v21, 0x80000000, v21
	v_lshl_add_u32 v2, v2, 23, v21
	s_delay_alu instid0(VALU_DEP_1) | instskip(NEXT) | instid1(VALU_DEP_1)
	v_lshl_or_b32 v2, v20, 21, v2
                                        ; implicit-def: $vgpr20
	v_add_nc_u32_e32 v2, 0x38000000, v2
.LBB4_8938:                             ;   in Loop: Header=BB4_8282 Depth=2
	s_and_not1_saveexec_b32 s11, s11
; %bb.8939:                             ;   in Loop: Header=BB4_8282 Depth=2
	v_cmp_lt_i16_e32 vcc_lo, -1, v92
	v_cndmask_b32_e32 v2, 0xff800000, v109, vcc_lo
	v_cmp_eq_u32_e32 vcc_lo, 0, v20
	s_delay_alu instid0(VALU_DEP_2)
	v_cndmask_b32_e32 v2, 0x7f800001, v2, vcc_lo
; %bb.8940:                             ;   in Loop: Header=BB4_8282 Depth=2
	s_or_b32 exec_lo, exec_lo, s11
.LBB4_8941:                             ;   in Loop: Header=BB4_8282 Depth=2
	s_delay_alu instid0(SALU_CYCLE_1)
	s_or_b32 exec_lo, exec_lo, s10
.LBB4_8942:                             ;   in Loop: Header=BB4_8282 Depth=2
	s_delay_alu instid0(SALU_CYCLE_1) | instskip(NEXT) | instid1(VALU_DEP_1)
	s_or_b32 exec_lo, exec_lo, s7
	v_add_f32_e32 v17, v17, v2
	v_mov_b32_e32 v21, v37
                                        ; implicit-def: $vgpr44
	s_mov_b32 s7, exec_lo
	s_delay_alu instid0(VALU_DEP_2) | instskip(SKIP_1) | instid1(VALU_DEP_2)
	v_and_b32_e32 v20, 0x7f800000, v17
	v_and_b32_e32 v36, 0x7fffff, v17
	v_cmpx_ne_u64_e32 0x7f800000, v[20:21]
	s_xor_b32 s10, exec_lo, s7
	s_cbranch_execz .LBB4_8960
; %bb.8943:                             ;   in Loop: Header=BB4_8282 Depth=2
	v_dual_mov_b32 v21, v37 :: v_dual_lshrrev_b32 v2, 24, v17
	v_and_b32_e32 v20, 0x7fffffff, v17
                                        ; implicit-def: $vgpr44
	s_mov_b32 s7, exec_lo
	s_delay_alu instid0(VALU_DEP_2) | instskip(NEXT) | instid1(VALU_DEP_2)
	v_and_b32_e32 v2, 0x80, v2
	v_cmpx_gt_u64_e32 0x47600001, v[20:21]
	s_xor_b32 s11, exec_lo, s7
	s_cbranch_execz .LBB4_8957
; %bb.8944:                             ;   in Loop: Header=BB4_8282 Depth=2
	v_mov_b32_e32 v44, 0
	s_mov_b32 s28, exec_lo
	v_cmpx_ne_u32_e32 0, v17
	s_cbranch_execz .LBB4_8956
; %bb.8945:                             ;   in Loop: Header=BB4_8282 Depth=2
	v_bfe_u32 v17, v17, 23, 8
	v_or_b32_e32 v31, 0x800000, v36
	s_delay_alu instid0(VALU_DEP_2) | instskip(SKIP_1) | instid1(VALU_DEP_2)
	v_dual_mov_b32 v43, v37 :: v_dual_sub_nc_u32 v20, 0x71, v17
	v_cmp_gt_u32_e32 vcc_lo, 0x72, v17
	v_cndmask_b32_e32 v20, 0, v20, vcc_lo
	v_cmp_eq_u32_e32 vcc_lo, 0, v17
	s_delay_alu instid0(VALU_DEP_2) | instskip(SKIP_1) | instid1(VALU_DEP_2)
	v_cndmask_b32_e64 v20, v20, 0x70, vcc_lo
	v_cndmask_b32_e32 v42, v31, v36, vcc_lo
	v_add_nc_u32_e32 v21, 21, v20
	s_delay_alu instid0(VALU_DEP_1) | instskip(SKIP_1) | instid1(VALU_DEP_1)
	v_lshlrev_b64_e64 v[24:25], v21, -1
	v_add_nc_u32_e32 v21, 20, v20
	v_lshlrev_b64_e64 v[44:45], v21, 1
	s_delay_alu instid0(VALU_DEP_3) | instskip(SKIP_2) | instid1(VALU_DEP_1)
	v_bfi_b32 v24, v24, 0, v42
	v_lshrrev_b64 v[42:43], v20, v[42:43]
	v_bfi_b32 v25, v25, 0, 0
	v_cmp_eq_u64_e64 s7, v[24:25], v[44:45]
	s_delay_alu instid0(VALU_DEP_3)
	v_mov_b64_e32 v[44:45], v[42:43]
	s_and_saveexec_b32 s29, s7
; %bb.8946:                             ;   in Loop: Header=BB4_8282 Depth=2
	v_bfe_u32 v24, v42, 21, 1
	v_mov_b32_e32 v25, v37
	s_delay_alu instid0(VALU_DEP_1) | instskip(NEXT) | instid1(VALU_DEP_1)
	v_add_nc_u64_e32 v[24:25], v[42:43], v[24:25]
	v_add_nc_u64_e32 v[44:45], -1, v[24:25]
; %bb.8947:                             ;   in Loop: Header=BB4_8282 Depth=2
	s_or_b32 exec_lo, exec_lo, s29
	v_add_nc_u32_e32 v17, 0xffffff81, v17
	s_delay_alu instid0(VALU_DEP_2) | instskip(SKIP_2) | instid1(VALU_DEP_3)
	v_and_b32_e32 v24, 0x1fffff, v44
	v_lshrrev_b32_e32 v21, 23, v42
	s_mov_b32 s7, exec_lo
	v_cndmask_b32_e64 v17, v17, 0xffffff82, vcc_lo
	s_delay_alu instid0(VALU_DEP_3) | instskip(NEXT) | instid1(VALU_DEP_2)
	v_add_nc_u32_e32 v36, v24, v42
                                        ; implicit-def: $vgpr42_vgpr43
	v_add3_u32 v20, v20, v17, v21
                                        ; implicit-def: $vgpr17
	s_delay_alu instid0(VALU_DEP_1) | instskip(NEXT) | instid1(VALU_DEP_1)
	v_add_nc_u32_e32 v21, 14, v20
	v_cmpx_ne_u32_e32 0, v21
	s_xor_b32 s7, exec_lo, s7
; %bb.8948:                             ;   in Loop: Header=BB4_8282 Depth=2
	v_cmp_lt_u64_e32 vcc_lo, 0xffffff, v[36:37]
	v_add_nc_u32_e32 v17, 15, v20
	v_cndmask_b32_e64 v20, 0, 1, vcc_lo
	s_delay_alu instid0(VALU_DEP_2) | instskip(NEXT) | instid1(VALU_DEP_2)
	v_cndmask_b32_e32 v17, v21, v17, vcc_lo
	v_lshrrev_b64 v[42:43], v20, v[36:37]
; %bb.8949:                             ;   in Loop: Header=BB4_8282 Depth=2
	s_and_not1_saveexec_b32 s7, s7
; %bb.8950:                             ;   in Loop: Header=BB4_8282 Depth=2
	v_mov_b64_e32 v[42:43], v[36:37]
	v_bfe_u32 v17, v36, 23, 1
; %bb.8951:                             ;   in Loop: Header=BB4_8282 Depth=2
	s_or_b32 exec_lo, exec_lo, s7
	s_delay_alu instid0(VALU_DEP_2) | instskip(NEXT) | instid1(VALU_DEP_2)
	v_lshrrev_b64 v[20:21], 21, v[42:43]
	v_cmp_gt_i32_e32 vcc_lo, 32, v17
	v_cmp_ne_u32_e64 s7, 0, v17
                                        ; implicit-def: $vgpr44
	s_delay_alu instid0(VALU_DEP_3) | instskip(NEXT) | instid1(VALU_DEP_1)
	v_dual_cndmask_b32 v43, 0, v21 :: v_dual_cndmask_b32 v42, 3, v20
	v_cmp_ne_u64_e32 vcc_lo, 0, v[42:43]
	s_or_b32 s7, s7, vcc_lo
	s_delay_alu instid0(SALU_CYCLE_1) | instskip(NEXT) | instid1(SALU_CYCLE_1)
	s_and_saveexec_b32 s29, s7
	s_xor_b32 s7, exec_lo, s29
; %bb.8952:                             ;   in Loop: Header=BB4_8282 Depth=2
	v_min_i32_e32 v17, 31, v17
	s_delay_alu instid0(VALU_DEP_1) | instskip(NEXT) | instid1(VALU_DEP_1)
	v_lshl_or_b32 v2, v17, 2, v2
	v_and_or_b32 v44, v42, 3, v2
                                        ; implicit-def: $vgpr2
; %bb.8953:                             ;   in Loop: Header=BB4_8282 Depth=2
	s_and_not1_saveexec_b32 s7, s7
; %bb.8954:                             ;   in Loop: Header=BB4_8282 Depth=2
	v_mov_b32_e32 v44, v2
; %bb.8955:                             ;   in Loop: Header=BB4_8282 Depth=2
	s_or_b32 exec_lo, exec_lo, s7
.LBB4_8956:                             ;   in Loop: Header=BB4_8282 Depth=2
	s_delay_alu instid0(SALU_CYCLE_1)
	s_or_b32 exec_lo, exec_lo, s28
                                        ; implicit-def: $vgpr2
.LBB4_8957:                             ;   in Loop: Header=BB4_8282 Depth=2
	s_and_not1_saveexec_b32 s7, s11
; %bb.8958:                             ;   in Loop: Header=BB4_8282 Depth=2
	v_or_b32_e32 v44, 0x7b, v2
; %bb.8959:                             ;   in Loop: Header=BB4_8282 Depth=2
	s_or_b32 exec_lo, exec_lo, s7
                                        ; implicit-def: $vgpr17
.LBB4_8960:                             ;   in Loop: Header=BB4_8282 Depth=2
	s_and_not1_saveexec_b32 s7, s10
	s_cbranch_execz .LBB4_8966
; %bb.8961:                             ;   in Loop: Header=BB4_8282 Depth=2
	s_mov_b32 s10, exec_lo
                                        ; implicit-def: $vgpr44
	v_cmpx_ne_u64_e32 0, v[36:37]
	s_xor_b32 s10, exec_lo, s10
; %bb.8962:                             ;   in Loop: Header=BB4_8282 Depth=2
	v_lshrrev_b32_e32 v2, 24, v17
                                        ; implicit-def: $vgpr17
	s_delay_alu instid0(VALU_DEP_1)
	v_or_b32_e32 v44, 0x7f, v2
; %bb.8963:                             ;   in Loop: Header=BB4_8282 Depth=2
	s_and_not1_saveexec_b32 s10, s10
; %bb.8964:                             ;   in Loop: Header=BB4_8282 Depth=2
	v_cmp_lt_i32_e32 vcc_lo, -1, v17
	v_cndmask_b32_e64 v44, -4, 0x7c, vcc_lo
; %bb.8965:                             ;   in Loop: Header=BB4_8282 Depth=2
	s_or_b32 exec_lo, exec_lo, s10
.LBB4_8966:                             ;   in Loop: Header=BB4_8282 Depth=2
	s_delay_alu instid0(SALU_CYCLE_1) | instskip(SKIP_3) | instid1(VALU_DEP_2)
	s_or_b32 exec_lo, exec_lo, s7
	v_and_b32_e32 v21, 0xff, v40
	v_dual_mov_b32 v2, 0 :: v_dual_mov_b32 v17, 0
	s_mov_b32 s7, exec_lo
	v_cmpx_ne_u16_e32 0, v21
	s_cbranch_execz .LBB4_8976
; %bb.8967:                             ;   in Loop: Header=BB4_8282 Depth=2
	v_bfrev_b32_e32 v17, 1
	s_mov_b32 s10, exec_lo
	v_cmpx_ne_u16_e32 0x80, v21
	s_cbranch_execz .LBB4_8975
; %bb.8968:                             ;   in Loop: Header=BB4_8282 Depth=2
	v_and_b32_e32 v17, 0x7c, v40
	v_and_b32_e32 v20, 3, v40
	s_delay_alu instid0(VALU_DEP_2) | instskip(SKIP_1) | instid1(SALU_CYCLE_1)
	v_cmp_ne_u32_e32 vcc_lo, 0x7c, v17
                                        ; implicit-def: $vgpr17
	s_and_saveexec_b32 s11, vcc_lo
	s_xor_b32 s11, exec_lo, s11
	s_cbranch_execz .LBB4_8972
; %bb.8969:                             ;   in Loop: Header=BB4_8282 Depth=2
	v_bfe_u32 v17, v21, 2, 5
	s_mov_b32 s28, exec_lo
	s_delay_alu instid0(VALU_DEP_1)
	v_cmpx_eq_u32_e32 0, v17
	s_cbranch_execz .LBB4_8971
; %bb.8970:                             ;   in Loop: Header=BB4_8282 Depth=2
	v_clz_i32_u32_e32 v17, v20
	s_delay_alu instid0(VALU_DEP_1) | instskip(SKIP_1) | instid1(VALU_DEP_2)
	v_min_u32_e32 v17, 32, v17
	v_mov_b32_e32 v41, v37
	v_subrev_nc_u32_e32 v20, 29, v17
	v_sub_nc_u32_e32 v17, 30, v17
	s_delay_alu instid0(VALU_DEP_2) | instskip(NEXT) | instid1(VALU_DEP_1)
	v_lshlrev_b64_e32 v[20:21], v20, v[40:41]
	v_and_b32_e32 v20, 3, v20
.LBB4_8971:                             ;   in Loop: Header=BB4_8282 Depth=2
	s_or_b32 exec_lo, exec_lo, s28
	v_lshlrev_b32_e32 v21, 24, v40
                                        ; implicit-def: $vgpr40
	s_delay_alu instid0(VALU_DEP_1) | instskip(NEXT) | instid1(VALU_DEP_1)
	v_and_b32_e32 v21, 0x80000000, v21
	v_lshl_add_u32 v17, v17, 23, v21
	s_delay_alu instid0(VALU_DEP_1) | instskip(NEXT) | instid1(VALU_DEP_1)
	v_lshl_or_b32 v17, v20, 21, v17
                                        ; implicit-def: $vgpr20
	v_add_nc_u32_e32 v17, 0x38000000, v17
.LBB4_8972:                             ;   in Loop: Header=BB4_8282 Depth=2
	s_and_not1_saveexec_b32 s11, s11
; %bb.8973:                             ;   in Loop: Header=BB4_8282 Depth=2
	v_bfe_i32 v17, v40, 0, 8
	s_delay_alu instid0(VALU_DEP_1) | instskip(SKIP_2) | instid1(VALU_DEP_2)
	v_cmp_lt_i16_e32 vcc_lo, -1, v17
	v_cndmask_b32_e32 v17, 0xff800000, v109, vcc_lo
	v_cmp_eq_u32_e32 vcc_lo, 0, v20
	v_cndmask_b32_e32 v17, 0x7f800001, v17, vcc_lo
; %bb.8974:                             ;   in Loop: Header=BB4_8282 Depth=2
	s_or_b32 exec_lo, exec_lo, s11
.LBB4_8975:                             ;   in Loop: Header=BB4_8282 Depth=2
	s_delay_alu instid0(SALU_CYCLE_1)
	s_or_b32 exec_lo, exec_lo, s10
.LBB4_8976:                             ;   in Loop: Header=BB4_8282 Depth=2
	s_delay_alu instid0(SALU_CYCLE_1) | instskip(NEXT) | instid1(SALU_CYCLE_1)
	s_or_b32 exec_lo, exec_lo, s7
	s_mov_b32 s7, exec_lo
	s_wait_loadcnt_dscnt 0xc0c
	v_cmpx_ne_u16_e32 0, v90
	s_cbranch_execz .LBB4_8986
; %bb.8977:                             ;   in Loop: Header=BB4_8282 Depth=2
	v_bfrev_b32_e32 v2, 1
	s_mov_b32 s10, exec_lo
	v_cmpx_ne_u16_e32 0xff80, v90
	s_cbranch_execz .LBB4_8985
; %bb.8978:                             ;   in Loop: Header=BB4_8282 Depth=2
	v_and_b32_e32 v2, 0x7c, v90
	v_and_b32_e32 v20, 3, v90
	s_delay_alu instid0(VALU_DEP_2) | instskip(SKIP_1) | instid1(SALU_CYCLE_1)
	v_cmp_ne_u32_e32 vcc_lo, 0x7c, v2
                                        ; implicit-def: $vgpr2
	s_and_saveexec_b32 s11, vcc_lo
	s_xor_b32 s11, exec_lo, s11
	s_cbranch_execz .LBB4_8982
; %bb.8979:                             ;   in Loop: Header=BB4_8282 Depth=2
	v_and_b32_e32 v2, 0xff, v90
	s_mov_b32 s28, exec_lo
	s_delay_alu instid0(VALU_DEP_1) | instskip(NEXT) | instid1(VALU_DEP_1)
	v_bfe_u32 v2, v2, 2, 5
	v_cmpx_eq_u32_e32 0, v2
	s_cbranch_execz .LBB4_8981
; %bb.8980:                             ;   in Loop: Header=BB4_8282 Depth=2
	v_clz_i32_u32_e32 v2, v20
	s_delay_alu instid0(VALU_DEP_1) | instskip(SKIP_1) | instid1(VALU_DEP_2)
	v_min_u32_e32 v2, 32, v2
	v_mov_b32_e32 v91, v37
	v_subrev_nc_u32_e32 v20, 29, v2
	v_sub_nc_u32_e32 v2, 30, v2
	s_delay_alu instid0(VALU_DEP_2) | instskip(NEXT) | instid1(VALU_DEP_1)
	v_lshlrev_b64_e32 v[20:21], v20, v[90:91]
	v_and_b32_e32 v20, 3, v20
.LBB4_8981:                             ;   in Loop: Header=BB4_8282 Depth=2
	s_or_b32 exec_lo, exec_lo, s28
	v_bfe_i32 v21, v90, 0, 16
                                        ; implicit-def: $vgpr90
	s_delay_alu instid0(VALU_DEP_1) | instskip(NEXT) | instid1(VALU_DEP_1)
	v_and_b32_e32 v21, 0x80000000, v21
	v_lshl_add_u32 v2, v2, 23, v21
	s_delay_alu instid0(VALU_DEP_1) | instskip(NEXT) | instid1(VALU_DEP_1)
	v_lshl_or_b32 v2, v20, 21, v2
                                        ; implicit-def: $vgpr20
	v_add_nc_u32_e32 v2, 0x38000000, v2
.LBB4_8982:                             ;   in Loop: Header=BB4_8282 Depth=2
	s_and_not1_saveexec_b32 s11, s11
; %bb.8983:                             ;   in Loop: Header=BB4_8282 Depth=2
	v_cmp_lt_i16_e32 vcc_lo, -1, v90
	v_cndmask_b32_e32 v2, 0xff800000, v109, vcc_lo
	v_cmp_eq_u32_e32 vcc_lo, 0, v20
	s_delay_alu instid0(VALU_DEP_2)
	v_cndmask_b32_e32 v2, 0x7f800001, v2, vcc_lo
; %bb.8984:                             ;   in Loop: Header=BB4_8282 Depth=2
	s_or_b32 exec_lo, exec_lo, s11
.LBB4_8985:                             ;   in Loop: Header=BB4_8282 Depth=2
	s_delay_alu instid0(SALU_CYCLE_1)
	s_or_b32 exec_lo, exec_lo, s10
.LBB4_8986:                             ;   in Loop: Header=BB4_8282 Depth=2
	s_delay_alu instid0(SALU_CYCLE_1) | instskip(NEXT) | instid1(VALU_DEP_1)
	s_or_b32 exec_lo, exec_lo, s7
	v_add_f32_e32 v17, v17, v2
	v_mov_b32_e32 v21, v37
                                        ; implicit-def: $vgpr42
	s_mov_b32 s7, exec_lo
	s_delay_alu instid0(VALU_DEP_2) | instskip(SKIP_1) | instid1(VALU_DEP_2)
	v_and_b32_e32 v20, 0x7f800000, v17
	v_and_b32_e32 v36, 0x7fffff, v17
	v_cmpx_ne_u64_e32 0x7f800000, v[20:21]
	s_xor_b32 s10, exec_lo, s7
	s_cbranch_execz .LBB4_9004
; %bb.8987:                             ;   in Loop: Header=BB4_8282 Depth=2
	v_dual_mov_b32 v21, v37 :: v_dual_lshrrev_b32 v2, 24, v17
	v_and_b32_e32 v20, 0x7fffffff, v17
                                        ; implicit-def: $vgpr42
	s_mov_b32 s7, exec_lo
	s_delay_alu instid0(VALU_DEP_2) | instskip(NEXT) | instid1(VALU_DEP_2)
	v_and_b32_e32 v2, 0x80, v2
	v_cmpx_gt_u64_e32 0x47600001, v[20:21]
	s_xor_b32 s11, exec_lo, s7
	s_cbranch_execz .LBB4_9001
; %bb.8988:                             ;   in Loop: Header=BB4_8282 Depth=2
	v_mov_b32_e32 v42, 0
	s_mov_b32 s28, exec_lo
	v_cmpx_ne_u32_e32 0, v17
	s_cbranch_execz .LBB4_9000
; %bb.8989:                             ;   in Loop: Header=BB4_8282 Depth=2
	v_bfe_u32 v17, v17, 23, 8
	v_or_b32_e32 v31, 0x800000, v36
	s_delay_alu instid0(VALU_DEP_2) | instskip(SKIP_1) | instid1(VALU_DEP_2)
	v_dual_mov_b32 v41, v37 :: v_dual_sub_nc_u32 v20, 0x71, v17
	v_cmp_gt_u32_e32 vcc_lo, 0x72, v17
	v_cndmask_b32_e32 v20, 0, v20, vcc_lo
	v_cmp_eq_u32_e32 vcc_lo, 0, v17
	s_delay_alu instid0(VALU_DEP_2) | instskip(SKIP_1) | instid1(VALU_DEP_2)
	v_cndmask_b32_e64 v20, v20, 0x70, vcc_lo
	v_cndmask_b32_e32 v40, v31, v36, vcc_lo
	v_add_nc_u32_e32 v21, 21, v20
	s_delay_alu instid0(VALU_DEP_1) | instskip(SKIP_1) | instid1(VALU_DEP_1)
	v_lshlrev_b64_e64 v[24:25], v21, -1
	v_add_nc_u32_e32 v21, 20, v20
	v_lshlrev_b64_e64 v[42:43], v21, 1
	s_delay_alu instid0(VALU_DEP_3) | instskip(SKIP_2) | instid1(VALU_DEP_1)
	v_bfi_b32 v24, v24, 0, v40
	v_lshrrev_b64 v[40:41], v20, v[40:41]
	v_bfi_b32 v25, v25, 0, 0
	v_cmp_eq_u64_e64 s7, v[24:25], v[42:43]
	s_delay_alu instid0(VALU_DEP_3)
	v_mov_b64_e32 v[42:43], v[40:41]
	s_and_saveexec_b32 s29, s7
; %bb.8990:                             ;   in Loop: Header=BB4_8282 Depth=2
	v_bfe_u32 v24, v40, 21, 1
	v_mov_b32_e32 v25, v37
	s_delay_alu instid0(VALU_DEP_1) | instskip(NEXT) | instid1(VALU_DEP_1)
	v_add_nc_u64_e32 v[24:25], v[40:41], v[24:25]
	v_add_nc_u64_e32 v[42:43], -1, v[24:25]
; %bb.8991:                             ;   in Loop: Header=BB4_8282 Depth=2
	s_or_b32 exec_lo, exec_lo, s29
	v_add_nc_u32_e32 v17, 0xffffff81, v17
	s_delay_alu instid0(VALU_DEP_2) | instskip(SKIP_2) | instid1(VALU_DEP_3)
	v_and_b32_e32 v24, 0x1fffff, v42
	v_lshrrev_b32_e32 v21, 23, v40
	s_mov_b32 s7, exec_lo
	v_cndmask_b32_e64 v17, v17, 0xffffff82, vcc_lo
	s_delay_alu instid0(VALU_DEP_3) | instskip(NEXT) | instid1(VALU_DEP_2)
	v_add_nc_u32_e32 v36, v24, v40
                                        ; implicit-def: $vgpr40_vgpr41
	v_add3_u32 v20, v20, v17, v21
                                        ; implicit-def: $vgpr17
	s_delay_alu instid0(VALU_DEP_1) | instskip(NEXT) | instid1(VALU_DEP_1)
	v_add_nc_u32_e32 v21, 14, v20
	v_cmpx_ne_u32_e32 0, v21
	s_xor_b32 s7, exec_lo, s7
; %bb.8992:                             ;   in Loop: Header=BB4_8282 Depth=2
	v_cmp_lt_u64_e32 vcc_lo, 0xffffff, v[36:37]
	v_add_nc_u32_e32 v17, 15, v20
	v_cndmask_b32_e64 v20, 0, 1, vcc_lo
	s_delay_alu instid0(VALU_DEP_2) | instskip(NEXT) | instid1(VALU_DEP_2)
	v_cndmask_b32_e32 v17, v21, v17, vcc_lo
	v_lshrrev_b64 v[40:41], v20, v[36:37]
; %bb.8993:                             ;   in Loop: Header=BB4_8282 Depth=2
	s_and_not1_saveexec_b32 s7, s7
; %bb.8994:                             ;   in Loop: Header=BB4_8282 Depth=2
	v_mov_b64_e32 v[40:41], v[36:37]
	v_bfe_u32 v17, v36, 23, 1
; %bb.8995:                             ;   in Loop: Header=BB4_8282 Depth=2
	s_or_b32 exec_lo, exec_lo, s7
	s_delay_alu instid0(VALU_DEP_2) | instskip(NEXT) | instid1(VALU_DEP_2)
	v_lshrrev_b64 v[20:21], 21, v[40:41]
	v_cmp_gt_i32_e32 vcc_lo, 32, v17
	v_cmp_ne_u32_e64 s7, 0, v17
                                        ; implicit-def: $vgpr42
	s_delay_alu instid0(VALU_DEP_3) | instskip(NEXT) | instid1(VALU_DEP_1)
	v_dual_cndmask_b32 v41, 0, v21 :: v_dual_cndmask_b32 v40, 3, v20
	v_cmp_ne_u64_e32 vcc_lo, 0, v[40:41]
	s_or_b32 s7, s7, vcc_lo
	s_delay_alu instid0(SALU_CYCLE_1) | instskip(NEXT) | instid1(SALU_CYCLE_1)
	s_and_saveexec_b32 s29, s7
	s_xor_b32 s7, exec_lo, s29
; %bb.8996:                             ;   in Loop: Header=BB4_8282 Depth=2
	v_min_i32_e32 v17, 31, v17
	s_delay_alu instid0(VALU_DEP_1) | instskip(NEXT) | instid1(VALU_DEP_1)
	v_lshl_or_b32 v2, v17, 2, v2
	v_and_or_b32 v42, v40, 3, v2
                                        ; implicit-def: $vgpr2
; %bb.8997:                             ;   in Loop: Header=BB4_8282 Depth=2
	s_and_not1_saveexec_b32 s7, s7
; %bb.8998:                             ;   in Loop: Header=BB4_8282 Depth=2
	v_mov_b32_e32 v42, v2
; %bb.8999:                             ;   in Loop: Header=BB4_8282 Depth=2
	s_or_b32 exec_lo, exec_lo, s7
.LBB4_9000:                             ;   in Loop: Header=BB4_8282 Depth=2
	s_delay_alu instid0(SALU_CYCLE_1)
	s_or_b32 exec_lo, exec_lo, s28
                                        ; implicit-def: $vgpr2
.LBB4_9001:                             ;   in Loop: Header=BB4_8282 Depth=2
	s_and_not1_saveexec_b32 s7, s11
; %bb.9002:                             ;   in Loop: Header=BB4_8282 Depth=2
	v_or_b32_e32 v42, 0x7b, v2
; %bb.9003:                             ;   in Loop: Header=BB4_8282 Depth=2
	s_or_b32 exec_lo, exec_lo, s7
                                        ; implicit-def: $vgpr17
.LBB4_9004:                             ;   in Loop: Header=BB4_8282 Depth=2
	s_and_not1_saveexec_b32 s7, s10
	s_cbranch_execz .LBB4_9010
; %bb.9005:                             ;   in Loop: Header=BB4_8282 Depth=2
	s_mov_b32 s10, exec_lo
                                        ; implicit-def: $vgpr42
	v_cmpx_ne_u64_e32 0, v[36:37]
	s_xor_b32 s10, exec_lo, s10
; %bb.9006:                             ;   in Loop: Header=BB4_8282 Depth=2
	v_lshrrev_b32_e32 v2, 24, v17
                                        ; implicit-def: $vgpr17
	s_delay_alu instid0(VALU_DEP_1)
	v_or_b32_e32 v42, 0x7f, v2
; %bb.9007:                             ;   in Loop: Header=BB4_8282 Depth=2
	s_and_not1_saveexec_b32 s10, s10
; %bb.9008:                             ;   in Loop: Header=BB4_8282 Depth=2
	v_cmp_lt_i32_e32 vcc_lo, -1, v17
	v_cndmask_b32_e64 v42, -4, 0x7c, vcc_lo
; %bb.9009:                             ;   in Loop: Header=BB4_8282 Depth=2
	s_or_b32 exec_lo, exec_lo, s10
.LBB4_9010:                             ;   in Loop: Header=BB4_8282 Depth=2
	s_delay_alu instid0(SALU_CYCLE_1) | instskip(SKIP_3) | instid1(VALU_DEP_2)
	s_or_b32 exec_lo, exec_lo, s7
	v_and_b32_e32 v21, 0xff, v118
	v_dual_mov_b32 v2, 0 :: v_dual_mov_b32 v17, 0
	s_mov_b32 s7, exec_lo
	v_cmpx_ne_u16_e32 0, v21
	s_cbranch_execz .LBB4_9020
; %bb.9011:                             ;   in Loop: Header=BB4_8282 Depth=2
	v_bfrev_b32_e32 v17, 1
	s_mov_b32 s10, exec_lo
	v_cmpx_ne_u16_e32 0x80, v21
	s_cbranch_execz .LBB4_9019
; %bb.9012:                             ;   in Loop: Header=BB4_8282 Depth=2
	v_and_b32_e32 v17, 0x7c, v118
	v_and_b32_e32 v20, 3, v118
	s_delay_alu instid0(VALU_DEP_2) | instskip(SKIP_1) | instid1(SALU_CYCLE_1)
	v_cmp_ne_u32_e32 vcc_lo, 0x7c, v17
                                        ; implicit-def: $vgpr17
	s_and_saveexec_b32 s11, vcc_lo
	s_xor_b32 s11, exec_lo, s11
	s_cbranch_execz .LBB4_9016
; %bb.9013:                             ;   in Loop: Header=BB4_8282 Depth=2
	v_bfe_u32 v17, v21, 2, 5
	s_mov_b32 s28, exec_lo
	s_delay_alu instid0(VALU_DEP_1)
	v_cmpx_eq_u32_e32 0, v17
	s_cbranch_execz .LBB4_9015
; %bb.9014:                             ;   in Loop: Header=BB4_8282 Depth=2
	v_clz_i32_u32_e32 v17, v20
	s_delay_alu instid0(VALU_DEP_1) | instskip(SKIP_1) | instid1(VALU_DEP_2)
	v_min_u32_e32 v17, 32, v17
	v_mov_b32_e32 v119, v37
	v_subrev_nc_u32_e32 v20, 29, v17
	v_sub_nc_u32_e32 v17, 30, v17
	s_delay_alu instid0(VALU_DEP_2) | instskip(NEXT) | instid1(VALU_DEP_1)
	v_lshlrev_b64_e32 v[20:21], v20, v[118:119]
	v_and_b32_e32 v20, 3, v20
.LBB4_9015:                             ;   in Loop: Header=BB4_8282 Depth=2
	s_or_b32 exec_lo, exec_lo, s28
	v_lshlrev_b32_e32 v21, 24, v118
                                        ; implicit-def: $vgpr118
	s_delay_alu instid0(VALU_DEP_1) | instskip(NEXT) | instid1(VALU_DEP_1)
	v_and_b32_e32 v21, 0x80000000, v21
	v_lshl_add_u32 v17, v17, 23, v21
	s_delay_alu instid0(VALU_DEP_1) | instskip(NEXT) | instid1(VALU_DEP_1)
	v_lshl_or_b32 v17, v20, 21, v17
                                        ; implicit-def: $vgpr20
	v_add_nc_u32_e32 v17, 0x38000000, v17
.LBB4_9016:                             ;   in Loop: Header=BB4_8282 Depth=2
	s_and_not1_saveexec_b32 s11, s11
; %bb.9017:                             ;   in Loop: Header=BB4_8282 Depth=2
	v_bfe_i32 v17, v118, 0, 8
	s_delay_alu instid0(VALU_DEP_1) | instskip(SKIP_2) | instid1(VALU_DEP_2)
	v_cmp_lt_i16_e32 vcc_lo, -1, v17
	v_cndmask_b32_e32 v17, 0xff800000, v109, vcc_lo
	v_cmp_eq_u32_e32 vcc_lo, 0, v20
	v_cndmask_b32_e32 v17, 0x7f800001, v17, vcc_lo
; %bb.9018:                             ;   in Loop: Header=BB4_8282 Depth=2
	s_or_b32 exec_lo, exec_lo, s11
.LBB4_9019:                             ;   in Loop: Header=BB4_8282 Depth=2
	s_delay_alu instid0(SALU_CYCLE_1)
	s_or_b32 exec_lo, exec_lo, s10
.LBB4_9020:                             ;   in Loop: Header=BB4_8282 Depth=2
	s_delay_alu instid0(SALU_CYCLE_1) | instskip(NEXT) | instid1(SALU_CYCLE_1)
	s_or_b32 exec_lo, exec_lo, s7
	s_mov_b32 s7, exec_lo
	s_wait_loadcnt_dscnt 0xb0b
	v_cmpx_ne_u16_e32 0, v88
	s_cbranch_execz .LBB4_9030
; %bb.9021:                             ;   in Loop: Header=BB4_8282 Depth=2
	v_bfrev_b32_e32 v2, 1
	s_mov_b32 s10, exec_lo
	v_cmpx_ne_u16_e32 0xff80, v88
	s_cbranch_execz .LBB4_9029
; %bb.9022:                             ;   in Loop: Header=BB4_8282 Depth=2
	v_and_b32_e32 v2, 0x7c, v88
	v_and_b32_e32 v20, 3, v88
	s_delay_alu instid0(VALU_DEP_2) | instskip(SKIP_1) | instid1(SALU_CYCLE_1)
	v_cmp_ne_u32_e32 vcc_lo, 0x7c, v2
                                        ; implicit-def: $vgpr2
	s_and_saveexec_b32 s11, vcc_lo
	s_xor_b32 s11, exec_lo, s11
	s_cbranch_execz .LBB4_9026
; %bb.9023:                             ;   in Loop: Header=BB4_8282 Depth=2
	v_and_b32_e32 v2, 0xff, v88
	s_mov_b32 s28, exec_lo
	s_delay_alu instid0(VALU_DEP_1) | instskip(NEXT) | instid1(VALU_DEP_1)
	v_bfe_u32 v2, v2, 2, 5
	v_cmpx_eq_u32_e32 0, v2
	s_cbranch_execz .LBB4_9025
; %bb.9024:                             ;   in Loop: Header=BB4_8282 Depth=2
	v_clz_i32_u32_e32 v2, v20
	s_delay_alu instid0(VALU_DEP_1) | instskip(SKIP_1) | instid1(VALU_DEP_2)
	v_min_u32_e32 v2, 32, v2
	v_mov_b32_e32 v89, v37
	v_subrev_nc_u32_e32 v20, 29, v2
	v_sub_nc_u32_e32 v2, 30, v2
	s_delay_alu instid0(VALU_DEP_2) | instskip(NEXT) | instid1(VALU_DEP_1)
	v_lshlrev_b64_e32 v[20:21], v20, v[88:89]
	v_and_b32_e32 v20, 3, v20
.LBB4_9025:                             ;   in Loop: Header=BB4_8282 Depth=2
	s_or_b32 exec_lo, exec_lo, s28
	v_bfe_i32 v21, v88, 0, 16
                                        ; implicit-def: $vgpr88
	s_delay_alu instid0(VALU_DEP_1) | instskip(NEXT) | instid1(VALU_DEP_1)
	v_and_b32_e32 v21, 0x80000000, v21
	v_lshl_add_u32 v2, v2, 23, v21
	s_delay_alu instid0(VALU_DEP_1) | instskip(NEXT) | instid1(VALU_DEP_1)
	v_lshl_or_b32 v2, v20, 21, v2
                                        ; implicit-def: $vgpr20
	v_add_nc_u32_e32 v2, 0x38000000, v2
.LBB4_9026:                             ;   in Loop: Header=BB4_8282 Depth=2
	s_and_not1_saveexec_b32 s11, s11
; %bb.9027:                             ;   in Loop: Header=BB4_8282 Depth=2
	v_cmp_lt_i16_e32 vcc_lo, -1, v88
	v_cndmask_b32_e32 v2, 0xff800000, v109, vcc_lo
	v_cmp_eq_u32_e32 vcc_lo, 0, v20
	s_delay_alu instid0(VALU_DEP_2)
	v_cndmask_b32_e32 v2, 0x7f800001, v2, vcc_lo
; %bb.9028:                             ;   in Loop: Header=BB4_8282 Depth=2
	s_or_b32 exec_lo, exec_lo, s11
.LBB4_9029:                             ;   in Loop: Header=BB4_8282 Depth=2
	s_delay_alu instid0(SALU_CYCLE_1)
	s_or_b32 exec_lo, exec_lo, s10
.LBB4_9030:                             ;   in Loop: Header=BB4_8282 Depth=2
	s_delay_alu instid0(SALU_CYCLE_1) | instskip(NEXT) | instid1(VALU_DEP_1)
	s_or_b32 exec_lo, exec_lo, s7
	v_add_f32_e32 v17, v17, v2
	v_mov_b32_e32 v21, v37
                                        ; implicit-def: $vgpr40
	s_mov_b32 s7, exec_lo
	s_delay_alu instid0(VALU_DEP_2) | instskip(SKIP_1) | instid1(VALU_DEP_2)
	v_and_b32_e32 v20, 0x7f800000, v17
	v_and_b32_e32 v36, 0x7fffff, v17
	v_cmpx_ne_u64_e32 0x7f800000, v[20:21]
	s_xor_b32 s10, exec_lo, s7
	s_cbranch_execz .LBB4_9048
; %bb.9031:                             ;   in Loop: Header=BB4_8282 Depth=2
	v_dual_mov_b32 v21, v37 :: v_dual_lshrrev_b32 v2, 24, v17
	v_and_b32_e32 v20, 0x7fffffff, v17
                                        ; implicit-def: $vgpr40
	s_mov_b32 s7, exec_lo
	s_delay_alu instid0(VALU_DEP_2) | instskip(NEXT) | instid1(VALU_DEP_2)
	v_and_b32_e32 v2, 0x80, v2
	v_cmpx_gt_u64_e32 0x47600001, v[20:21]
	s_xor_b32 s11, exec_lo, s7
	s_cbranch_execz .LBB4_9045
; %bb.9032:                             ;   in Loop: Header=BB4_8282 Depth=2
	v_mov_b32_e32 v40, 0
	s_mov_b32 s28, exec_lo
	v_cmpx_ne_u32_e32 0, v17
	s_cbranch_execz .LBB4_9044
; %bb.9033:                             ;   in Loop: Header=BB4_8282 Depth=2
	v_bfe_u32 v17, v17, 23, 8
	v_or_b32_e32 v31, 0x800000, v36
	s_delay_alu instid0(VALU_DEP_2) | instskip(SKIP_1) | instid1(VALU_DEP_2)
	v_dual_mov_b32 v119, v37 :: v_dual_sub_nc_u32 v20, 0x71, v17
	v_cmp_gt_u32_e32 vcc_lo, 0x72, v17
	v_cndmask_b32_e32 v20, 0, v20, vcc_lo
	v_cmp_eq_u32_e32 vcc_lo, 0, v17
	s_delay_alu instid0(VALU_DEP_2) | instskip(SKIP_1) | instid1(VALU_DEP_2)
	v_cndmask_b32_e64 v20, v20, 0x70, vcc_lo
	v_cndmask_b32_e32 v118, v31, v36, vcc_lo
	v_add_nc_u32_e32 v21, 21, v20
	s_delay_alu instid0(VALU_DEP_1) | instskip(SKIP_1) | instid1(VALU_DEP_1)
	v_lshlrev_b64_e64 v[24:25], v21, -1
	v_add_nc_u32_e32 v21, 20, v20
	v_lshlrev_b64_e64 v[40:41], v21, 1
	s_delay_alu instid0(VALU_DEP_3) | instskip(SKIP_2) | instid1(VALU_DEP_1)
	v_bfi_b32 v24, v24, 0, v118
	v_lshrrev_b64 v[118:119], v20, v[118:119]
	v_bfi_b32 v25, v25, 0, 0
	v_cmp_eq_u64_e64 s7, v[24:25], v[40:41]
	s_delay_alu instid0(VALU_DEP_3)
	v_mov_b64_e32 v[40:41], v[118:119]
	s_and_saveexec_b32 s29, s7
; %bb.9034:                             ;   in Loop: Header=BB4_8282 Depth=2
	v_bfe_u32 v24, v118, 21, 1
	v_mov_b32_e32 v25, v37
	s_delay_alu instid0(VALU_DEP_1) | instskip(NEXT) | instid1(VALU_DEP_1)
	v_add_nc_u64_e32 v[24:25], v[118:119], v[24:25]
	v_add_nc_u64_e32 v[40:41], -1, v[24:25]
; %bb.9035:                             ;   in Loop: Header=BB4_8282 Depth=2
	s_or_b32 exec_lo, exec_lo, s29
	v_add_nc_u32_e32 v17, 0xffffff81, v17
	s_delay_alu instid0(VALU_DEP_2) | instskip(SKIP_2) | instid1(VALU_DEP_3)
	v_and_b32_e32 v24, 0x1fffff, v40
	v_lshrrev_b32_e32 v21, 23, v118
	s_mov_b32 s7, exec_lo
	v_cndmask_b32_e64 v17, v17, 0xffffff82, vcc_lo
	s_delay_alu instid0(VALU_DEP_3) | instskip(NEXT) | instid1(VALU_DEP_2)
	v_add_nc_u32_e32 v36, v24, v118
                                        ; implicit-def: $vgpr118_vgpr119
	v_add3_u32 v20, v20, v17, v21
                                        ; implicit-def: $vgpr17
	s_delay_alu instid0(VALU_DEP_1) | instskip(NEXT) | instid1(VALU_DEP_1)
	v_add_nc_u32_e32 v21, 14, v20
	v_cmpx_ne_u32_e32 0, v21
	s_xor_b32 s7, exec_lo, s7
; %bb.9036:                             ;   in Loop: Header=BB4_8282 Depth=2
	v_cmp_lt_u64_e32 vcc_lo, 0xffffff, v[36:37]
	v_add_nc_u32_e32 v17, 15, v20
	v_cndmask_b32_e64 v20, 0, 1, vcc_lo
	s_delay_alu instid0(VALU_DEP_2) | instskip(NEXT) | instid1(VALU_DEP_2)
	v_cndmask_b32_e32 v17, v21, v17, vcc_lo
	v_lshrrev_b64 v[118:119], v20, v[36:37]
; %bb.9037:                             ;   in Loop: Header=BB4_8282 Depth=2
	s_and_not1_saveexec_b32 s7, s7
; %bb.9038:                             ;   in Loop: Header=BB4_8282 Depth=2
	v_mov_b64_e32 v[118:119], v[36:37]
	v_bfe_u32 v17, v36, 23, 1
; %bb.9039:                             ;   in Loop: Header=BB4_8282 Depth=2
	s_or_b32 exec_lo, exec_lo, s7
	s_delay_alu instid0(VALU_DEP_2) | instskip(NEXT) | instid1(VALU_DEP_2)
	v_lshrrev_b64 v[20:21], 21, v[118:119]
	v_cmp_gt_i32_e32 vcc_lo, 32, v17
	v_cmp_ne_u32_e64 s7, 0, v17
                                        ; implicit-def: $vgpr40
	s_delay_alu instid0(VALU_DEP_3) | instskip(NEXT) | instid1(VALU_DEP_1)
	v_dual_cndmask_b32 v119, 0, v21 :: v_dual_cndmask_b32 v118, 3, v20
	v_cmp_ne_u64_e32 vcc_lo, 0, v[118:119]
	s_or_b32 s7, s7, vcc_lo
	s_delay_alu instid0(SALU_CYCLE_1) | instskip(NEXT) | instid1(SALU_CYCLE_1)
	s_and_saveexec_b32 s29, s7
	s_xor_b32 s7, exec_lo, s29
; %bb.9040:                             ;   in Loop: Header=BB4_8282 Depth=2
	v_min_i32_e32 v17, 31, v17
	s_delay_alu instid0(VALU_DEP_1) | instskip(NEXT) | instid1(VALU_DEP_1)
	v_lshl_or_b32 v2, v17, 2, v2
	v_and_or_b32 v40, v118, 3, v2
                                        ; implicit-def: $vgpr2
; %bb.9041:                             ;   in Loop: Header=BB4_8282 Depth=2
	s_and_not1_saveexec_b32 s7, s7
; %bb.9042:                             ;   in Loop: Header=BB4_8282 Depth=2
	v_mov_b32_e32 v40, v2
; %bb.9043:                             ;   in Loop: Header=BB4_8282 Depth=2
	s_or_b32 exec_lo, exec_lo, s7
.LBB4_9044:                             ;   in Loop: Header=BB4_8282 Depth=2
	s_delay_alu instid0(SALU_CYCLE_1)
	s_or_b32 exec_lo, exec_lo, s28
                                        ; implicit-def: $vgpr2
.LBB4_9045:                             ;   in Loop: Header=BB4_8282 Depth=2
	s_and_not1_saveexec_b32 s7, s11
; %bb.9046:                             ;   in Loop: Header=BB4_8282 Depth=2
	v_or_b32_e32 v40, 0x7b, v2
; %bb.9047:                             ;   in Loop: Header=BB4_8282 Depth=2
	s_or_b32 exec_lo, exec_lo, s7
                                        ; implicit-def: $vgpr17
.LBB4_9048:                             ;   in Loop: Header=BB4_8282 Depth=2
	s_and_not1_saveexec_b32 s7, s10
	s_cbranch_execz .LBB4_9054
; %bb.9049:                             ;   in Loop: Header=BB4_8282 Depth=2
	s_mov_b32 s10, exec_lo
                                        ; implicit-def: $vgpr40
	v_cmpx_ne_u64_e32 0, v[36:37]
	s_xor_b32 s10, exec_lo, s10
; %bb.9050:                             ;   in Loop: Header=BB4_8282 Depth=2
	v_lshrrev_b32_e32 v2, 24, v17
                                        ; implicit-def: $vgpr17
	s_delay_alu instid0(VALU_DEP_1)
	v_or_b32_e32 v40, 0x7f, v2
; %bb.9051:                             ;   in Loop: Header=BB4_8282 Depth=2
	s_and_not1_saveexec_b32 s10, s10
; %bb.9052:                             ;   in Loop: Header=BB4_8282 Depth=2
	v_cmp_lt_i32_e32 vcc_lo, -1, v17
	v_cndmask_b32_e64 v40, -4, 0x7c, vcc_lo
; %bb.9053:                             ;   in Loop: Header=BB4_8282 Depth=2
	s_or_b32 exec_lo, exec_lo, s10
.LBB4_9054:                             ;   in Loop: Header=BB4_8282 Depth=2
	s_delay_alu instid0(SALU_CYCLE_1) | instskip(SKIP_3) | instid1(VALU_DEP_2)
	s_or_b32 exec_lo, exec_lo, s7
	v_and_b32_e32 v21, 0xff, v116
	v_dual_mov_b32 v2, 0 :: v_dual_mov_b32 v17, 0
	s_mov_b32 s7, exec_lo
	v_cmpx_ne_u16_e32 0, v21
	s_cbranch_execz .LBB4_9064
; %bb.9055:                             ;   in Loop: Header=BB4_8282 Depth=2
	v_bfrev_b32_e32 v17, 1
	s_mov_b32 s10, exec_lo
	v_cmpx_ne_u16_e32 0x80, v21
	s_cbranch_execz .LBB4_9063
; %bb.9056:                             ;   in Loop: Header=BB4_8282 Depth=2
	v_and_b32_e32 v17, 0x7c, v116
	v_and_b32_e32 v20, 3, v116
	s_delay_alu instid0(VALU_DEP_2) | instskip(SKIP_1) | instid1(SALU_CYCLE_1)
	v_cmp_ne_u32_e32 vcc_lo, 0x7c, v17
                                        ; implicit-def: $vgpr17
	s_and_saveexec_b32 s11, vcc_lo
	s_xor_b32 s11, exec_lo, s11
	s_cbranch_execz .LBB4_9060
; %bb.9057:                             ;   in Loop: Header=BB4_8282 Depth=2
	v_bfe_u32 v17, v21, 2, 5
	s_mov_b32 s28, exec_lo
	s_delay_alu instid0(VALU_DEP_1)
	v_cmpx_eq_u32_e32 0, v17
	s_cbranch_execz .LBB4_9059
; %bb.9058:                             ;   in Loop: Header=BB4_8282 Depth=2
	v_clz_i32_u32_e32 v17, v20
	s_delay_alu instid0(VALU_DEP_1) | instskip(SKIP_1) | instid1(VALU_DEP_2)
	v_min_u32_e32 v17, 32, v17
	v_mov_b32_e32 v117, v37
	v_subrev_nc_u32_e32 v20, 29, v17
	v_sub_nc_u32_e32 v17, 30, v17
	s_delay_alu instid0(VALU_DEP_2) | instskip(NEXT) | instid1(VALU_DEP_1)
	v_lshlrev_b64_e32 v[20:21], v20, v[116:117]
	v_and_b32_e32 v20, 3, v20
.LBB4_9059:                             ;   in Loop: Header=BB4_8282 Depth=2
	s_or_b32 exec_lo, exec_lo, s28
	v_lshlrev_b32_e32 v21, 24, v116
                                        ; implicit-def: $vgpr116
	s_delay_alu instid0(VALU_DEP_1) | instskip(NEXT) | instid1(VALU_DEP_1)
	v_and_b32_e32 v21, 0x80000000, v21
	v_lshl_add_u32 v17, v17, 23, v21
	s_delay_alu instid0(VALU_DEP_1) | instskip(NEXT) | instid1(VALU_DEP_1)
	v_lshl_or_b32 v17, v20, 21, v17
                                        ; implicit-def: $vgpr20
	v_add_nc_u32_e32 v17, 0x38000000, v17
.LBB4_9060:                             ;   in Loop: Header=BB4_8282 Depth=2
	s_and_not1_saveexec_b32 s11, s11
; %bb.9061:                             ;   in Loop: Header=BB4_8282 Depth=2
	v_bfe_i32 v17, v116, 0, 8
	s_delay_alu instid0(VALU_DEP_1) | instskip(SKIP_2) | instid1(VALU_DEP_2)
	v_cmp_lt_i16_e32 vcc_lo, -1, v17
	v_cndmask_b32_e32 v17, 0xff800000, v109, vcc_lo
	v_cmp_eq_u32_e32 vcc_lo, 0, v20
	v_cndmask_b32_e32 v17, 0x7f800001, v17, vcc_lo
; %bb.9062:                             ;   in Loop: Header=BB4_8282 Depth=2
	s_or_b32 exec_lo, exec_lo, s11
.LBB4_9063:                             ;   in Loop: Header=BB4_8282 Depth=2
	s_delay_alu instid0(SALU_CYCLE_1)
	s_or_b32 exec_lo, exec_lo, s10
.LBB4_9064:                             ;   in Loop: Header=BB4_8282 Depth=2
	s_delay_alu instid0(SALU_CYCLE_1) | instskip(NEXT) | instid1(SALU_CYCLE_1)
	s_or_b32 exec_lo, exec_lo, s7
	s_mov_b32 s7, exec_lo
	s_wait_loadcnt_dscnt 0xa0a
	v_cmpx_ne_u16_e32 0, v78
	s_cbranch_execz .LBB4_9074
; %bb.9065:                             ;   in Loop: Header=BB4_8282 Depth=2
	v_bfrev_b32_e32 v2, 1
	s_mov_b32 s10, exec_lo
	v_cmpx_ne_u16_e32 0xff80, v78
	s_cbranch_execz .LBB4_9073
; %bb.9066:                             ;   in Loop: Header=BB4_8282 Depth=2
	v_and_b32_e32 v2, 0x7c, v78
	v_and_b32_e32 v20, 3, v78
	s_delay_alu instid0(VALU_DEP_2) | instskip(SKIP_1) | instid1(SALU_CYCLE_1)
	v_cmp_ne_u32_e32 vcc_lo, 0x7c, v2
                                        ; implicit-def: $vgpr2
	s_and_saveexec_b32 s11, vcc_lo
	s_xor_b32 s11, exec_lo, s11
	s_cbranch_execz .LBB4_9070
; %bb.9067:                             ;   in Loop: Header=BB4_8282 Depth=2
	v_and_b32_e32 v2, 0xff, v78
	s_mov_b32 s28, exec_lo
	s_delay_alu instid0(VALU_DEP_1) | instskip(NEXT) | instid1(VALU_DEP_1)
	v_bfe_u32 v2, v2, 2, 5
	v_cmpx_eq_u32_e32 0, v2
	s_cbranch_execz .LBB4_9069
; %bb.9068:                             ;   in Loop: Header=BB4_8282 Depth=2
	v_clz_i32_u32_e32 v2, v20
	s_delay_alu instid0(VALU_DEP_1) | instskip(SKIP_1) | instid1(VALU_DEP_2)
	v_min_u32_e32 v2, 32, v2
	v_mov_b32_e32 v79, v37
	v_subrev_nc_u32_e32 v20, 29, v2
	v_sub_nc_u32_e32 v2, 30, v2
	s_delay_alu instid0(VALU_DEP_2) | instskip(NEXT) | instid1(VALU_DEP_1)
	v_lshlrev_b64_e32 v[20:21], v20, v[78:79]
	v_and_b32_e32 v20, 3, v20
.LBB4_9069:                             ;   in Loop: Header=BB4_8282 Depth=2
	s_or_b32 exec_lo, exec_lo, s28
	v_bfe_i32 v21, v78, 0, 16
                                        ; implicit-def: $vgpr78
	s_delay_alu instid0(VALU_DEP_1) | instskip(NEXT) | instid1(VALU_DEP_1)
	v_and_b32_e32 v21, 0x80000000, v21
	v_lshl_add_u32 v2, v2, 23, v21
	s_delay_alu instid0(VALU_DEP_1) | instskip(NEXT) | instid1(VALU_DEP_1)
	v_lshl_or_b32 v2, v20, 21, v2
                                        ; implicit-def: $vgpr20
	v_add_nc_u32_e32 v2, 0x38000000, v2
.LBB4_9070:                             ;   in Loop: Header=BB4_8282 Depth=2
	s_and_not1_saveexec_b32 s11, s11
; %bb.9071:                             ;   in Loop: Header=BB4_8282 Depth=2
	v_cmp_lt_i16_e32 vcc_lo, -1, v78
	v_cndmask_b32_e32 v2, 0xff800000, v109, vcc_lo
	v_cmp_eq_u32_e32 vcc_lo, 0, v20
	s_delay_alu instid0(VALU_DEP_2)
	v_cndmask_b32_e32 v2, 0x7f800001, v2, vcc_lo
; %bb.9072:                             ;   in Loop: Header=BB4_8282 Depth=2
	s_or_b32 exec_lo, exec_lo, s11
.LBB4_9073:                             ;   in Loop: Header=BB4_8282 Depth=2
	s_delay_alu instid0(SALU_CYCLE_1)
	s_or_b32 exec_lo, exec_lo, s10
.LBB4_9074:                             ;   in Loop: Header=BB4_8282 Depth=2
	s_delay_alu instid0(SALU_CYCLE_1) | instskip(NEXT) | instid1(VALU_DEP_1)
	s_or_b32 exec_lo, exec_lo, s7
	v_add_f32_e32 v17, v17, v2
	v_mov_b32_e32 v21, v37
                                        ; implicit-def: $vgpr118
	s_mov_b32 s7, exec_lo
	s_delay_alu instid0(VALU_DEP_2) | instskip(SKIP_1) | instid1(VALU_DEP_2)
	v_and_b32_e32 v20, 0x7f800000, v17
	v_and_b32_e32 v36, 0x7fffff, v17
	v_cmpx_ne_u64_e32 0x7f800000, v[20:21]
	s_xor_b32 s10, exec_lo, s7
	s_cbranch_execz .LBB4_9092
; %bb.9075:                             ;   in Loop: Header=BB4_8282 Depth=2
	v_dual_mov_b32 v21, v37 :: v_dual_lshrrev_b32 v2, 24, v17
	v_and_b32_e32 v20, 0x7fffffff, v17
                                        ; implicit-def: $vgpr118
	s_mov_b32 s7, exec_lo
	s_delay_alu instid0(VALU_DEP_2) | instskip(NEXT) | instid1(VALU_DEP_2)
	v_and_b32_e32 v2, 0x80, v2
	v_cmpx_gt_u64_e32 0x47600001, v[20:21]
	s_xor_b32 s11, exec_lo, s7
	s_cbranch_execz .LBB4_9089
; %bb.9076:                             ;   in Loop: Header=BB4_8282 Depth=2
	v_mov_b32_e32 v118, 0
	s_mov_b32 s28, exec_lo
	v_cmpx_ne_u32_e32 0, v17
	s_cbranch_execz .LBB4_9088
; %bb.9077:                             ;   in Loop: Header=BB4_8282 Depth=2
	v_bfe_u32 v17, v17, 23, 8
	v_or_b32_e32 v31, 0x800000, v36
	s_delay_alu instid0(VALU_DEP_2) | instskip(SKIP_1) | instid1(VALU_DEP_2)
	v_dual_mov_b32 v117, v37 :: v_dual_sub_nc_u32 v20, 0x71, v17
	v_cmp_gt_u32_e32 vcc_lo, 0x72, v17
	v_cndmask_b32_e32 v20, 0, v20, vcc_lo
	v_cmp_eq_u32_e32 vcc_lo, 0, v17
	s_delay_alu instid0(VALU_DEP_2) | instskip(SKIP_1) | instid1(VALU_DEP_2)
	v_cndmask_b32_e64 v20, v20, 0x70, vcc_lo
	v_cndmask_b32_e32 v116, v31, v36, vcc_lo
	v_add_nc_u32_e32 v21, 21, v20
	s_delay_alu instid0(VALU_DEP_1) | instskip(SKIP_1) | instid1(VALU_DEP_1)
	v_lshlrev_b64_e64 v[24:25], v21, -1
	v_add_nc_u32_e32 v21, 20, v20
	v_lshlrev_b64_e64 v[118:119], v21, 1
	s_delay_alu instid0(VALU_DEP_3) | instskip(SKIP_2) | instid1(VALU_DEP_1)
	v_bfi_b32 v24, v24, 0, v116
	v_lshrrev_b64 v[116:117], v20, v[116:117]
	v_bfi_b32 v25, v25, 0, 0
	v_cmp_eq_u64_e64 s7, v[24:25], v[118:119]
	s_delay_alu instid0(VALU_DEP_3)
	v_mov_b64_e32 v[118:119], v[116:117]
	s_and_saveexec_b32 s29, s7
; %bb.9078:                             ;   in Loop: Header=BB4_8282 Depth=2
	v_bfe_u32 v24, v116, 21, 1
	v_mov_b32_e32 v25, v37
	s_delay_alu instid0(VALU_DEP_1) | instskip(NEXT) | instid1(VALU_DEP_1)
	v_add_nc_u64_e32 v[24:25], v[116:117], v[24:25]
	v_add_nc_u64_e32 v[118:119], -1, v[24:25]
; %bb.9079:                             ;   in Loop: Header=BB4_8282 Depth=2
	s_or_b32 exec_lo, exec_lo, s29
	v_add_nc_u32_e32 v17, 0xffffff81, v17
	s_delay_alu instid0(VALU_DEP_2) | instskip(SKIP_2) | instid1(VALU_DEP_3)
	v_and_b32_e32 v24, 0x1fffff, v118
	v_lshrrev_b32_e32 v21, 23, v116
	s_mov_b32 s7, exec_lo
	v_cndmask_b32_e64 v17, v17, 0xffffff82, vcc_lo
	s_delay_alu instid0(VALU_DEP_3) | instskip(NEXT) | instid1(VALU_DEP_2)
	v_add_nc_u32_e32 v36, v24, v116
                                        ; implicit-def: $vgpr116_vgpr117
	v_add3_u32 v20, v20, v17, v21
                                        ; implicit-def: $vgpr17
	s_delay_alu instid0(VALU_DEP_1) | instskip(NEXT) | instid1(VALU_DEP_1)
	v_add_nc_u32_e32 v21, 14, v20
	v_cmpx_ne_u32_e32 0, v21
	s_xor_b32 s7, exec_lo, s7
; %bb.9080:                             ;   in Loop: Header=BB4_8282 Depth=2
	v_cmp_lt_u64_e32 vcc_lo, 0xffffff, v[36:37]
	v_add_nc_u32_e32 v17, 15, v20
	v_cndmask_b32_e64 v20, 0, 1, vcc_lo
	s_delay_alu instid0(VALU_DEP_2) | instskip(NEXT) | instid1(VALU_DEP_2)
	v_cndmask_b32_e32 v17, v21, v17, vcc_lo
	v_lshrrev_b64 v[116:117], v20, v[36:37]
; %bb.9081:                             ;   in Loop: Header=BB4_8282 Depth=2
	s_and_not1_saveexec_b32 s7, s7
; %bb.9082:                             ;   in Loop: Header=BB4_8282 Depth=2
	v_mov_b64_e32 v[116:117], v[36:37]
	v_bfe_u32 v17, v36, 23, 1
; %bb.9083:                             ;   in Loop: Header=BB4_8282 Depth=2
	s_or_b32 exec_lo, exec_lo, s7
	s_delay_alu instid0(VALU_DEP_2) | instskip(NEXT) | instid1(VALU_DEP_2)
	v_lshrrev_b64 v[20:21], 21, v[116:117]
	v_cmp_gt_i32_e32 vcc_lo, 32, v17
	v_cmp_ne_u32_e64 s7, 0, v17
                                        ; implicit-def: $vgpr118
	s_delay_alu instid0(VALU_DEP_3) | instskip(NEXT) | instid1(VALU_DEP_1)
	v_dual_cndmask_b32 v117, 0, v21 :: v_dual_cndmask_b32 v116, 3, v20
	v_cmp_ne_u64_e32 vcc_lo, 0, v[116:117]
	s_or_b32 s7, s7, vcc_lo
	s_delay_alu instid0(SALU_CYCLE_1) | instskip(NEXT) | instid1(SALU_CYCLE_1)
	s_and_saveexec_b32 s29, s7
	s_xor_b32 s7, exec_lo, s29
; %bb.9084:                             ;   in Loop: Header=BB4_8282 Depth=2
	v_min_i32_e32 v17, 31, v17
	s_delay_alu instid0(VALU_DEP_1) | instskip(NEXT) | instid1(VALU_DEP_1)
	v_lshl_or_b32 v2, v17, 2, v2
	v_and_or_b32 v118, v116, 3, v2
                                        ; implicit-def: $vgpr2
; %bb.9085:                             ;   in Loop: Header=BB4_8282 Depth=2
	s_and_not1_saveexec_b32 s7, s7
; %bb.9086:                             ;   in Loop: Header=BB4_8282 Depth=2
	v_mov_b32_e32 v118, v2
; %bb.9087:                             ;   in Loop: Header=BB4_8282 Depth=2
	s_or_b32 exec_lo, exec_lo, s7
.LBB4_9088:                             ;   in Loop: Header=BB4_8282 Depth=2
	s_delay_alu instid0(SALU_CYCLE_1)
	s_or_b32 exec_lo, exec_lo, s28
                                        ; implicit-def: $vgpr2
.LBB4_9089:                             ;   in Loop: Header=BB4_8282 Depth=2
	s_and_not1_saveexec_b32 s7, s11
; %bb.9090:                             ;   in Loop: Header=BB4_8282 Depth=2
	v_or_b32_e32 v118, 0x7b, v2
; %bb.9091:                             ;   in Loop: Header=BB4_8282 Depth=2
	s_or_b32 exec_lo, exec_lo, s7
                                        ; implicit-def: $vgpr17
.LBB4_9092:                             ;   in Loop: Header=BB4_8282 Depth=2
	s_and_not1_saveexec_b32 s7, s10
	s_cbranch_execz .LBB4_9098
; %bb.9093:                             ;   in Loop: Header=BB4_8282 Depth=2
	s_mov_b32 s10, exec_lo
                                        ; implicit-def: $vgpr118
	v_cmpx_ne_u64_e32 0, v[36:37]
	s_xor_b32 s10, exec_lo, s10
; %bb.9094:                             ;   in Loop: Header=BB4_8282 Depth=2
	v_lshrrev_b32_e32 v2, 24, v17
                                        ; implicit-def: $vgpr17
	s_delay_alu instid0(VALU_DEP_1)
	v_or_b32_e32 v118, 0x7f, v2
; %bb.9095:                             ;   in Loop: Header=BB4_8282 Depth=2
	s_and_not1_saveexec_b32 s10, s10
; %bb.9096:                             ;   in Loop: Header=BB4_8282 Depth=2
	v_cmp_lt_i32_e32 vcc_lo, -1, v17
	v_cndmask_b32_e64 v118, -4, 0x7c, vcc_lo
; %bb.9097:                             ;   in Loop: Header=BB4_8282 Depth=2
	s_or_b32 exec_lo, exec_lo, s10
.LBB4_9098:                             ;   in Loop: Header=BB4_8282 Depth=2
	s_delay_alu instid0(SALU_CYCLE_1) | instskip(SKIP_3) | instid1(VALU_DEP_2)
	s_or_b32 exec_lo, exec_lo, s7
	v_and_b32_e32 v21, 0xff, v112
	v_dual_mov_b32 v2, 0 :: v_dual_mov_b32 v17, 0
	s_mov_b32 s7, exec_lo
	v_cmpx_ne_u16_e32 0, v21
	s_cbranch_execz .LBB4_9108
; %bb.9099:                             ;   in Loop: Header=BB4_8282 Depth=2
	v_bfrev_b32_e32 v17, 1
	s_mov_b32 s10, exec_lo
	v_cmpx_ne_u16_e32 0x80, v21
	s_cbranch_execz .LBB4_9107
; %bb.9100:                             ;   in Loop: Header=BB4_8282 Depth=2
	v_and_b32_e32 v17, 0x7c, v112
	v_and_b32_e32 v20, 3, v112
	s_delay_alu instid0(VALU_DEP_2) | instskip(SKIP_1) | instid1(SALU_CYCLE_1)
	v_cmp_ne_u32_e32 vcc_lo, 0x7c, v17
                                        ; implicit-def: $vgpr17
	s_and_saveexec_b32 s11, vcc_lo
	s_xor_b32 s11, exec_lo, s11
	s_cbranch_execz .LBB4_9104
; %bb.9101:                             ;   in Loop: Header=BB4_8282 Depth=2
	v_bfe_u32 v17, v21, 2, 5
	s_mov_b32 s28, exec_lo
	s_delay_alu instid0(VALU_DEP_1)
	v_cmpx_eq_u32_e32 0, v17
	s_cbranch_execz .LBB4_9103
; %bb.9102:                             ;   in Loop: Header=BB4_8282 Depth=2
	v_clz_i32_u32_e32 v17, v20
	s_delay_alu instid0(VALU_DEP_1) | instskip(SKIP_1) | instid1(VALU_DEP_2)
	v_min_u32_e32 v17, 32, v17
	v_mov_b32_e32 v113, v37
	v_subrev_nc_u32_e32 v20, 29, v17
	v_sub_nc_u32_e32 v17, 30, v17
	s_delay_alu instid0(VALU_DEP_2) | instskip(NEXT) | instid1(VALU_DEP_1)
	v_lshlrev_b64_e32 v[20:21], v20, v[112:113]
	v_and_b32_e32 v20, 3, v20
.LBB4_9103:                             ;   in Loop: Header=BB4_8282 Depth=2
	s_or_b32 exec_lo, exec_lo, s28
	v_lshlrev_b32_e32 v21, 24, v112
                                        ; implicit-def: $vgpr112
	s_delay_alu instid0(VALU_DEP_1) | instskip(NEXT) | instid1(VALU_DEP_1)
	v_and_b32_e32 v21, 0x80000000, v21
	v_lshl_add_u32 v17, v17, 23, v21
	s_delay_alu instid0(VALU_DEP_1) | instskip(NEXT) | instid1(VALU_DEP_1)
	v_lshl_or_b32 v17, v20, 21, v17
                                        ; implicit-def: $vgpr20
	v_add_nc_u32_e32 v17, 0x38000000, v17
.LBB4_9104:                             ;   in Loop: Header=BB4_8282 Depth=2
	s_and_not1_saveexec_b32 s11, s11
; %bb.9105:                             ;   in Loop: Header=BB4_8282 Depth=2
	v_bfe_i32 v17, v112, 0, 8
	s_delay_alu instid0(VALU_DEP_1) | instskip(SKIP_2) | instid1(VALU_DEP_2)
	v_cmp_lt_i16_e32 vcc_lo, -1, v17
	v_cndmask_b32_e32 v17, 0xff800000, v109, vcc_lo
	v_cmp_eq_u32_e32 vcc_lo, 0, v20
	v_cndmask_b32_e32 v17, 0x7f800001, v17, vcc_lo
; %bb.9106:                             ;   in Loop: Header=BB4_8282 Depth=2
	s_or_b32 exec_lo, exec_lo, s11
.LBB4_9107:                             ;   in Loop: Header=BB4_8282 Depth=2
	s_delay_alu instid0(SALU_CYCLE_1)
	s_or_b32 exec_lo, exec_lo, s10
.LBB4_9108:                             ;   in Loop: Header=BB4_8282 Depth=2
	s_delay_alu instid0(SALU_CYCLE_1) | instskip(NEXT) | instid1(SALU_CYCLE_1)
	s_or_b32 exec_lo, exec_lo, s7
	s_mov_b32 s7, exec_lo
	s_wait_loadcnt_dscnt 0x909
	v_cmpx_ne_u16_e32 0, v76
	s_cbranch_execz .LBB4_9118
; %bb.9109:                             ;   in Loop: Header=BB4_8282 Depth=2
	v_bfrev_b32_e32 v2, 1
	s_mov_b32 s10, exec_lo
	v_cmpx_ne_u16_e32 0xff80, v76
	s_cbranch_execz .LBB4_9117
; %bb.9110:                             ;   in Loop: Header=BB4_8282 Depth=2
	v_and_b32_e32 v2, 0x7c, v76
	v_and_b32_e32 v20, 3, v76
	s_delay_alu instid0(VALU_DEP_2) | instskip(SKIP_1) | instid1(SALU_CYCLE_1)
	v_cmp_ne_u32_e32 vcc_lo, 0x7c, v2
                                        ; implicit-def: $vgpr2
	s_and_saveexec_b32 s11, vcc_lo
	s_xor_b32 s11, exec_lo, s11
	s_cbranch_execz .LBB4_9114
; %bb.9111:                             ;   in Loop: Header=BB4_8282 Depth=2
	v_and_b32_e32 v2, 0xff, v76
	s_mov_b32 s28, exec_lo
	s_delay_alu instid0(VALU_DEP_1) | instskip(NEXT) | instid1(VALU_DEP_1)
	v_bfe_u32 v2, v2, 2, 5
	v_cmpx_eq_u32_e32 0, v2
	s_cbranch_execz .LBB4_9113
; %bb.9112:                             ;   in Loop: Header=BB4_8282 Depth=2
	v_clz_i32_u32_e32 v2, v20
	s_delay_alu instid0(VALU_DEP_1) | instskip(SKIP_1) | instid1(VALU_DEP_2)
	v_min_u32_e32 v2, 32, v2
	v_mov_b32_e32 v77, v37
	v_subrev_nc_u32_e32 v20, 29, v2
	v_sub_nc_u32_e32 v2, 30, v2
	s_delay_alu instid0(VALU_DEP_2) | instskip(NEXT) | instid1(VALU_DEP_1)
	v_lshlrev_b64_e32 v[20:21], v20, v[76:77]
	v_and_b32_e32 v20, 3, v20
.LBB4_9113:                             ;   in Loop: Header=BB4_8282 Depth=2
	s_or_b32 exec_lo, exec_lo, s28
	v_bfe_i32 v21, v76, 0, 16
                                        ; implicit-def: $vgpr76
	s_delay_alu instid0(VALU_DEP_1) | instskip(NEXT) | instid1(VALU_DEP_1)
	v_and_b32_e32 v21, 0x80000000, v21
	v_lshl_add_u32 v2, v2, 23, v21
	s_delay_alu instid0(VALU_DEP_1) | instskip(NEXT) | instid1(VALU_DEP_1)
	v_lshl_or_b32 v2, v20, 21, v2
                                        ; implicit-def: $vgpr20
	v_add_nc_u32_e32 v2, 0x38000000, v2
.LBB4_9114:                             ;   in Loop: Header=BB4_8282 Depth=2
	s_and_not1_saveexec_b32 s11, s11
; %bb.9115:                             ;   in Loop: Header=BB4_8282 Depth=2
	v_cmp_lt_i16_e32 vcc_lo, -1, v76
	v_cndmask_b32_e32 v2, 0xff800000, v109, vcc_lo
	v_cmp_eq_u32_e32 vcc_lo, 0, v20
	s_delay_alu instid0(VALU_DEP_2)
	v_cndmask_b32_e32 v2, 0x7f800001, v2, vcc_lo
; %bb.9116:                             ;   in Loop: Header=BB4_8282 Depth=2
	s_or_b32 exec_lo, exec_lo, s11
.LBB4_9117:                             ;   in Loop: Header=BB4_8282 Depth=2
	s_delay_alu instid0(SALU_CYCLE_1)
	s_or_b32 exec_lo, exec_lo, s10
.LBB4_9118:                             ;   in Loop: Header=BB4_8282 Depth=2
	s_delay_alu instid0(SALU_CYCLE_1) | instskip(NEXT) | instid1(VALU_DEP_1)
	s_or_b32 exec_lo, exec_lo, s7
	v_add_f32_e32 v17, v17, v2
	v_mov_b32_e32 v21, v37
                                        ; implicit-def: $vgpr116
	s_mov_b32 s7, exec_lo
	s_delay_alu instid0(VALU_DEP_2) | instskip(SKIP_1) | instid1(VALU_DEP_2)
	v_and_b32_e32 v20, 0x7f800000, v17
	v_and_b32_e32 v36, 0x7fffff, v17
	v_cmpx_ne_u64_e32 0x7f800000, v[20:21]
	s_xor_b32 s10, exec_lo, s7
	s_cbranch_execz .LBB4_9136
; %bb.9119:                             ;   in Loop: Header=BB4_8282 Depth=2
	v_dual_mov_b32 v21, v37 :: v_dual_lshrrev_b32 v2, 24, v17
	v_and_b32_e32 v20, 0x7fffffff, v17
                                        ; implicit-def: $vgpr116
	s_mov_b32 s7, exec_lo
	s_delay_alu instid0(VALU_DEP_2) | instskip(NEXT) | instid1(VALU_DEP_2)
	v_and_b32_e32 v2, 0x80, v2
	v_cmpx_gt_u64_e32 0x47600001, v[20:21]
	s_xor_b32 s11, exec_lo, s7
	s_cbranch_execz .LBB4_9133
; %bb.9120:                             ;   in Loop: Header=BB4_8282 Depth=2
	v_mov_b32_e32 v116, 0
	s_mov_b32 s28, exec_lo
	v_cmpx_ne_u32_e32 0, v17
	s_cbranch_execz .LBB4_9132
; %bb.9121:                             ;   in Loop: Header=BB4_8282 Depth=2
	v_bfe_u32 v17, v17, 23, 8
	v_or_b32_e32 v31, 0x800000, v36
	s_delay_alu instid0(VALU_DEP_2) | instskip(SKIP_1) | instid1(VALU_DEP_2)
	v_dual_mov_b32 v113, v37 :: v_dual_sub_nc_u32 v20, 0x71, v17
	v_cmp_gt_u32_e32 vcc_lo, 0x72, v17
	v_cndmask_b32_e32 v20, 0, v20, vcc_lo
	v_cmp_eq_u32_e32 vcc_lo, 0, v17
	s_delay_alu instid0(VALU_DEP_2) | instskip(SKIP_1) | instid1(VALU_DEP_2)
	v_cndmask_b32_e64 v20, v20, 0x70, vcc_lo
	v_cndmask_b32_e32 v112, v31, v36, vcc_lo
	v_add_nc_u32_e32 v21, 21, v20
	s_delay_alu instid0(VALU_DEP_1) | instskip(SKIP_1) | instid1(VALU_DEP_1)
	v_lshlrev_b64_e64 v[24:25], v21, -1
	v_add_nc_u32_e32 v21, 20, v20
	v_lshlrev_b64_e64 v[116:117], v21, 1
	s_delay_alu instid0(VALU_DEP_3) | instskip(SKIP_2) | instid1(VALU_DEP_1)
	v_bfi_b32 v24, v24, 0, v112
	v_lshrrev_b64 v[112:113], v20, v[112:113]
	v_bfi_b32 v25, v25, 0, 0
	v_cmp_eq_u64_e64 s7, v[24:25], v[116:117]
	s_delay_alu instid0(VALU_DEP_3)
	v_mov_b64_e32 v[116:117], v[112:113]
	s_and_saveexec_b32 s29, s7
; %bb.9122:                             ;   in Loop: Header=BB4_8282 Depth=2
	v_bfe_u32 v24, v112, 21, 1
	v_mov_b32_e32 v25, v37
	s_delay_alu instid0(VALU_DEP_1) | instskip(NEXT) | instid1(VALU_DEP_1)
	v_add_nc_u64_e32 v[24:25], v[112:113], v[24:25]
	v_add_nc_u64_e32 v[116:117], -1, v[24:25]
; %bb.9123:                             ;   in Loop: Header=BB4_8282 Depth=2
	s_or_b32 exec_lo, exec_lo, s29
	v_add_nc_u32_e32 v17, 0xffffff81, v17
	s_delay_alu instid0(VALU_DEP_2) | instskip(SKIP_2) | instid1(VALU_DEP_3)
	v_and_b32_e32 v24, 0x1fffff, v116
	v_lshrrev_b32_e32 v21, 23, v112
	s_mov_b32 s7, exec_lo
	v_cndmask_b32_e64 v17, v17, 0xffffff82, vcc_lo
	s_delay_alu instid0(VALU_DEP_3) | instskip(NEXT) | instid1(VALU_DEP_2)
	v_add_nc_u32_e32 v36, v24, v112
                                        ; implicit-def: $vgpr112_vgpr113
	v_add3_u32 v20, v20, v17, v21
                                        ; implicit-def: $vgpr17
	s_delay_alu instid0(VALU_DEP_1) | instskip(NEXT) | instid1(VALU_DEP_1)
	v_add_nc_u32_e32 v21, 14, v20
	v_cmpx_ne_u32_e32 0, v21
	s_xor_b32 s7, exec_lo, s7
; %bb.9124:                             ;   in Loop: Header=BB4_8282 Depth=2
	v_cmp_lt_u64_e32 vcc_lo, 0xffffff, v[36:37]
	v_add_nc_u32_e32 v17, 15, v20
	v_cndmask_b32_e64 v20, 0, 1, vcc_lo
	s_delay_alu instid0(VALU_DEP_2) | instskip(NEXT) | instid1(VALU_DEP_2)
	v_cndmask_b32_e32 v17, v21, v17, vcc_lo
	v_lshrrev_b64 v[112:113], v20, v[36:37]
; %bb.9125:                             ;   in Loop: Header=BB4_8282 Depth=2
	s_and_not1_saveexec_b32 s7, s7
; %bb.9126:                             ;   in Loop: Header=BB4_8282 Depth=2
	v_mov_b64_e32 v[112:113], v[36:37]
	v_bfe_u32 v17, v36, 23, 1
; %bb.9127:                             ;   in Loop: Header=BB4_8282 Depth=2
	s_or_b32 exec_lo, exec_lo, s7
	s_delay_alu instid0(VALU_DEP_2) | instskip(NEXT) | instid1(VALU_DEP_2)
	v_lshrrev_b64 v[20:21], 21, v[112:113]
	v_cmp_gt_i32_e32 vcc_lo, 32, v17
	v_cmp_ne_u32_e64 s7, 0, v17
                                        ; implicit-def: $vgpr116
	s_delay_alu instid0(VALU_DEP_3) | instskip(NEXT) | instid1(VALU_DEP_1)
	v_dual_cndmask_b32 v113, 0, v21 :: v_dual_cndmask_b32 v112, 3, v20
	v_cmp_ne_u64_e32 vcc_lo, 0, v[112:113]
	s_or_b32 s7, s7, vcc_lo
	s_delay_alu instid0(SALU_CYCLE_1) | instskip(NEXT) | instid1(SALU_CYCLE_1)
	s_and_saveexec_b32 s29, s7
	s_xor_b32 s7, exec_lo, s29
; %bb.9128:                             ;   in Loop: Header=BB4_8282 Depth=2
	v_min_i32_e32 v17, 31, v17
	s_delay_alu instid0(VALU_DEP_1) | instskip(NEXT) | instid1(VALU_DEP_1)
	v_lshl_or_b32 v2, v17, 2, v2
	v_and_or_b32 v116, v112, 3, v2
                                        ; implicit-def: $vgpr2
; %bb.9129:                             ;   in Loop: Header=BB4_8282 Depth=2
	s_and_not1_saveexec_b32 s7, s7
; %bb.9130:                             ;   in Loop: Header=BB4_8282 Depth=2
	v_mov_b32_e32 v116, v2
; %bb.9131:                             ;   in Loop: Header=BB4_8282 Depth=2
	s_or_b32 exec_lo, exec_lo, s7
.LBB4_9132:                             ;   in Loop: Header=BB4_8282 Depth=2
	s_delay_alu instid0(SALU_CYCLE_1)
	s_or_b32 exec_lo, exec_lo, s28
                                        ; implicit-def: $vgpr2
.LBB4_9133:                             ;   in Loop: Header=BB4_8282 Depth=2
	s_and_not1_saveexec_b32 s7, s11
; %bb.9134:                             ;   in Loop: Header=BB4_8282 Depth=2
	v_or_b32_e32 v116, 0x7b, v2
; %bb.9135:                             ;   in Loop: Header=BB4_8282 Depth=2
	s_or_b32 exec_lo, exec_lo, s7
                                        ; implicit-def: $vgpr17
.LBB4_9136:                             ;   in Loop: Header=BB4_8282 Depth=2
	s_and_not1_saveexec_b32 s7, s10
	s_cbranch_execz .LBB4_9142
; %bb.9137:                             ;   in Loop: Header=BB4_8282 Depth=2
	s_mov_b32 s10, exec_lo
                                        ; implicit-def: $vgpr116
	v_cmpx_ne_u64_e32 0, v[36:37]
	s_xor_b32 s10, exec_lo, s10
; %bb.9138:                             ;   in Loop: Header=BB4_8282 Depth=2
	v_lshrrev_b32_e32 v2, 24, v17
                                        ; implicit-def: $vgpr17
	s_delay_alu instid0(VALU_DEP_1)
	v_or_b32_e32 v116, 0x7f, v2
; %bb.9139:                             ;   in Loop: Header=BB4_8282 Depth=2
	s_and_not1_saveexec_b32 s10, s10
; %bb.9140:                             ;   in Loop: Header=BB4_8282 Depth=2
	v_cmp_lt_i32_e32 vcc_lo, -1, v17
	v_cndmask_b32_e64 v116, -4, 0x7c, vcc_lo
; %bb.9141:                             ;   in Loop: Header=BB4_8282 Depth=2
	s_or_b32 exec_lo, exec_lo, s10
.LBB4_9142:                             ;   in Loop: Header=BB4_8282 Depth=2
	s_delay_alu instid0(SALU_CYCLE_1) | instskip(SKIP_3) | instid1(VALU_DEP_2)
	s_or_b32 exec_lo, exec_lo, s7
	v_and_b32_e32 v21, 0xff, v102
	v_dual_mov_b32 v2, 0 :: v_dual_mov_b32 v17, 0
	s_mov_b32 s7, exec_lo
	v_cmpx_ne_u16_e32 0, v21
	s_cbranch_execz .LBB4_9152
; %bb.9143:                             ;   in Loop: Header=BB4_8282 Depth=2
	v_bfrev_b32_e32 v17, 1
	s_mov_b32 s10, exec_lo
	v_cmpx_ne_u16_e32 0x80, v21
	s_cbranch_execz .LBB4_9151
; %bb.9144:                             ;   in Loop: Header=BB4_8282 Depth=2
	v_and_b32_e32 v17, 0x7c, v102
	v_and_b32_e32 v20, 3, v102
	s_delay_alu instid0(VALU_DEP_2) | instskip(SKIP_1) | instid1(SALU_CYCLE_1)
	v_cmp_ne_u32_e32 vcc_lo, 0x7c, v17
                                        ; implicit-def: $vgpr17
	s_and_saveexec_b32 s11, vcc_lo
	s_xor_b32 s11, exec_lo, s11
	s_cbranch_execz .LBB4_9148
; %bb.9145:                             ;   in Loop: Header=BB4_8282 Depth=2
	v_bfe_u32 v17, v21, 2, 5
	s_mov_b32 s28, exec_lo
	s_delay_alu instid0(VALU_DEP_1)
	v_cmpx_eq_u32_e32 0, v17
	s_cbranch_execz .LBB4_9147
; %bb.9146:                             ;   in Loop: Header=BB4_8282 Depth=2
	v_clz_i32_u32_e32 v17, v20
	s_delay_alu instid0(VALU_DEP_1) | instskip(SKIP_1) | instid1(VALU_DEP_2)
	v_min_u32_e32 v17, 32, v17
	v_mov_b32_e32 v103, v37
	v_subrev_nc_u32_e32 v20, 29, v17
	v_sub_nc_u32_e32 v17, 30, v17
	s_delay_alu instid0(VALU_DEP_2) | instskip(NEXT) | instid1(VALU_DEP_1)
	v_lshlrev_b64_e32 v[20:21], v20, v[102:103]
	v_and_b32_e32 v20, 3, v20
.LBB4_9147:                             ;   in Loop: Header=BB4_8282 Depth=2
	s_or_b32 exec_lo, exec_lo, s28
	v_lshlrev_b32_e32 v21, 24, v102
                                        ; implicit-def: $vgpr102
	s_delay_alu instid0(VALU_DEP_1) | instskip(NEXT) | instid1(VALU_DEP_1)
	v_and_b32_e32 v21, 0x80000000, v21
	v_lshl_add_u32 v17, v17, 23, v21
	s_delay_alu instid0(VALU_DEP_1) | instskip(NEXT) | instid1(VALU_DEP_1)
	v_lshl_or_b32 v17, v20, 21, v17
                                        ; implicit-def: $vgpr20
	v_add_nc_u32_e32 v17, 0x38000000, v17
.LBB4_9148:                             ;   in Loop: Header=BB4_8282 Depth=2
	s_and_not1_saveexec_b32 s11, s11
; %bb.9149:                             ;   in Loop: Header=BB4_8282 Depth=2
	v_bfe_i32 v17, v102, 0, 8
	s_delay_alu instid0(VALU_DEP_1) | instskip(SKIP_2) | instid1(VALU_DEP_2)
	v_cmp_lt_i16_e32 vcc_lo, -1, v17
	v_cndmask_b32_e32 v17, 0xff800000, v109, vcc_lo
	v_cmp_eq_u32_e32 vcc_lo, 0, v20
	v_cndmask_b32_e32 v17, 0x7f800001, v17, vcc_lo
; %bb.9150:                             ;   in Loop: Header=BB4_8282 Depth=2
	s_or_b32 exec_lo, exec_lo, s11
.LBB4_9151:                             ;   in Loop: Header=BB4_8282 Depth=2
	s_delay_alu instid0(SALU_CYCLE_1)
	s_or_b32 exec_lo, exec_lo, s10
.LBB4_9152:                             ;   in Loop: Header=BB4_8282 Depth=2
	s_delay_alu instid0(SALU_CYCLE_1) | instskip(NEXT) | instid1(SALU_CYCLE_1)
	s_or_b32 exec_lo, exec_lo, s7
	s_mov_b32 s7, exec_lo
	s_wait_loadcnt_dscnt 0x808
	v_cmpx_ne_u16_e32 0, v74
	s_cbranch_execz .LBB4_9162
; %bb.9153:                             ;   in Loop: Header=BB4_8282 Depth=2
	v_bfrev_b32_e32 v2, 1
	s_mov_b32 s10, exec_lo
	v_cmpx_ne_u16_e32 0xff80, v74
	s_cbranch_execz .LBB4_9161
; %bb.9154:                             ;   in Loop: Header=BB4_8282 Depth=2
	v_and_b32_e32 v2, 0x7c, v74
	v_and_b32_e32 v20, 3, v74
	s_delay_alu instid0(VALU_DEP_2) | instskip(SKIP_1) | instid1(SALU_CYCLE_1)
	v_cmp_ne_u32_e32 vcc_lo, 0x7c, v2
                                        ; implicit-def: $vgpr2
	s_and_saveexec_b32 s11, vcc_lo
	s_xor_b32 s11, exec_lo, s11
	s_cbranch_execz .LBB4_9158
; %bb.9155:                             ;   in Loop: Header=BB4_8282 Depth=2
	v_and_b32_e32 v2, 0xff, v74
	s_mov_b32 s28, exec_lo
	s_delay_alu instid0(VALU_DEP_1) | instskip(NEXT) | instid1(VALU_DEP_1)
	v_bfe_u32 v2, v2, 2, 5
	v_cmpx_eq_u32_e32 0, v2
	s_cbranch_execz .LBB4_9157
; %bb.9156:                             ;   in Loop: Header=BB4_8282 Depth=2
	v_clz_i32_u32_e32 v2, v20
	s_delay_alu instid0(VALU_DEP_1) | instskip(SKIP_1) | instid1(VALU_DEP_2)
	v_min_u32_e32 v2, 32, v2
	v_mov_b32_e32 v75, v37
	v_subrev_nc_u32_e32 v20, 29, v2
	v_sub_nc_u32_e32 v2, 30, v2
	s_delay_alu instid0(VALU_DEP_2) | instskip(NEXT) | instid1(VALU_DEP_1)
	v_lshlrev_b64_e32 v[20:21], v20, v[74:75]
	v_and_b32_e32 v20, 3, v20
.LBB4_9157:                             ;   in Loop: Header=BB4_8282 Depth=2
	s_or_b32 exec_lo, exec_lo, s28
	v_bfe_i32 v21, v74, 0, 16
                                        ; implicit-def: $vgpr74
	s_delay_alu instid0(VALU_DEP_1) | instskip(NEXT) | instid1(VALU_DEP_1)
	v_and_b32_e32 v21, 0x80000000, v21
	v_lshl_add_u32 v2, v2, 23, v21
	s_delay_alu instid0(VALU_DEP_1) | instskip(NEXT) | instid1(VALU_DEP_1)
	v_lshl_or_b32 v2, v20, 21, v2
                                        ; implicit-def: $vgpr20
	v_add_nc_u32_e32 v2, 0x38000000, v2
.LBB4_9158:                             ;   in Loop: Header=BB4_8282 Depth=2
	s_and_not1_saveexec_b32 s11, s11
; %bb.9159:                             ;   in Loop: Header=BB4_8282 Depth=2
	v_cmp_lt_i16_e32 vcc_lo, -1, v74
	v_cndmask_b32_e32 v2, 0xff800000, v109, vcc_lo
	v_cmp_eq_u32_e32 vcc_lo, 0, v20
	s_delay_alu instid0(VALU_DEP_2)
	v_cndmask_b32_e32 v2, 0x7f800001, v2, vcc_lo
; %bb.9160:                             ;   in Loop: Header=BB4_8282 Depth=2
	s_or_b32 exec_lo, exec_lo, s11
.LBB4_9161:                             ;   in Loop: Header=BB4_8282 Depth=2
	s_delay_alu instid0(SALU_CYCLE_1)
	s_or_b32 exec_lo, exec_lo, s10
.LBB4_9162:                             ;   in Loop: Header=BB4_8282 Depth=2
	s_delay_alu instid0(SALU_CYCLE_1) | instskip(NEXT) | instid1(VALU_DEP_1)
	s_or_b32 exec_lo, exec_lo, s7
	v_add_f32_e32 v17, v17, v2
	v_mov_b32_e32 v21, v37
                                        ; implicit-def: $vgpr112
	s_mov_b32 s7, exec_lo
	s_delay_alu instid0(VALU_DEP_2) | instskip(SKIP_1) | instid1(VALU_DEP_2)
	v_and_b32_e32 v20, 0x7f800000, v17
	v_and_b32_e32 v36, 0x7fffff, v17
	v_cmpx_ne_u64_e32 0x7f800000, v[20:21]
	s_xor_b32 s10, exec_lo, s7
	s_cbranch_execz .LBB4_9180
; %bb.9163:                             ;   in Loop: Header=BB4_8282 Depth=2
	v_dual_mov_b32 v21, v37 :: v_dual_lshrrev_b32 v2, 24, v17
	v_and_b32_e32 v20, 0x7fffffff, v17
                                        ; implicit-def: $vgpr112
	s_mov_b32 s7, exec_lo
	s_delay_alu instid0(VALU_DEP_2) | instskip(NEXT) | instid1(VALU_DEP_2)
	v_and_b32_e32 v2, 0x80, v2
	v_cmpx_gt_u64_e32 0x47600001, v[20:21]
	s_xor_b32 s11, exec_lo, s7
	s_cbranch_execz .LBB4_9177
; %bb.9164:                             ;   in Loop: Header=BB4_8282 Depth=2
	v_mov_b32_e32 v112, 0
	s_mov_b32 s28, exec_lo
	v_cmpx_ne_u32_e32 0, v17
	s_cbranch_execz .LBB4_9176
; %bb.9165:                             ;   in Loop: Header=BB4_8282 Depth=2
	v_bfe_u32 v17, v17, 23, 8
	v_or_b32_e32 v31, 0x800000, v36
	s_delay_alu instid0(VALU_DEP_2) | instskip(SKIP_1) | instid1(VALU_DEP_2)
	v_dual_mov_b32 v103, v37 :: v_dual_sub_nc_u32 v20, 0x71, v17
	v_cmp_gt_u32_e32 vcc_lo, 0x72, v17
	v_cndmask_b32_e32 v20, 0, v20, vcc_lo
	v_cmp_eq_u32_e32 vcc_lo, 0, v17
	s_delay_alu instid0(VALU_DEP_2) | instskip(SKIP_1) | instid1(VALU_DEP_2)
	v_cndmask_b32_e64 v20, v20, 0x70, vcc_lo
	v_cndmask_b32_e32 v102, v31, v36, vcc_lo
	v_add_nc_u32_e32 v21, 21, v20
	s_delay_alu instid0(VALU_DEP_1) | instskip(SKIP_1) | instid1(VALU_DEP_1)
	v_lshlrev_b64_e64 v[24:25], v21, -1
	v_add_nc_u32_e32 v21, 20, v20
	v_lshlrev_b64_e64 v[112:113], v21, 1
	s_delay_alu instid0(VALU_DEP_3) | instskip(SKIP_2) | instid1(VALU_DEP_1)
	v_bfi_b32 v24, v24, 0, v102
	v_lshrrev_b64 v[102:103], v20, v[102:103]
	v_bfi_b32 v25, v25, 0, 0
	v_cmp_eq_u64_e64 s7, v[24:25], v[112:113]
	s_delay_alu instid0(VALU_DEP_3)
	v_mov_b64_e32 v[112:113], v[102:103]
	s_and_saveexec_b32 s29, s7
; %bb.9166:                             ;   in Loop: Header=BB4_8282 Depth=2
	v_bfe_u32 v24, v102, 21, 1
	v_mov_b32_e32 v25, v37
	s_delay_alu instid0(VALU_DEP_1) | instskip(NEXT) | instid1(VALU_DEP_1)
	v_add_nc_u64_e32 v[24:25], v[102:103], v[24:25]
	v_add_nc_u64_e32 v[112:113], -1, v[24:25]
; %bb.9167:                             ;   in Loop: Header=BB4_8282 Depth=2
	s_or_b32 exec_lo, exec_lo, s29
	v_add_nc_u32_e32 v17, 0xffffff81, v17
	s_delay_alu instid0(VALU_DEP_2) | instskip(SKIP_2) | instid1(VALU_DEP_3)
	v_and_b32_e32 v24, 0x1fffff, v112
	v_lshrrev_b32_e32 v21, 23, v102
	s_mov_b32 s7, exec_lo
	v_cndmask_b32_e64 v17, v17, 0xffffff82, vcc_lo
	s_delay_alu instid0(VALU_DEP_3) | instskip(NEXT) | instid1(VALU_DEP_2)
	v_add_nc_u32_e32 v36, v24, v102
                                        ; implicit-def: $vgpr102_vgpr103
	v_add3_u32 v20, v20, v17, v21
                                        ; implicit-def: $vgpr17
	s_delay_alu instid0(VALU_DEP_1) | instskip(NEXT) | instid1(VALU_DEP_1)
	v_add_nc_u32_e32 v21, 14, v20
	v_cmpx_ne_u32_e32 0, v21
	s_xor_b32 s7, exec_lo, s7
; %bb.9168:                             ;   in Loop: Header=BB4_8282 Depth=2
	v_cmp_lt_u64_e32 vcc_lo, 0xffffff, v[36:37]
	v_add_nc_u32_e32 v17, 15, v20
	v_cndmask_b32_e64 v20, 0, 1, vcc_lo
	s_delay_alu instid0(VALU_DEP_2) | instskip(NEXT) | instid1(VALU_DEP_2)
	v_cndmask_b32_e32 v17, v21, v17, vcc_lo
	v_lshrrev_b64 v[102:103], v20, v[36:37]
; %bb.9169:                             ;   in Loop: Header=BB4_8282 Depth=2
	s_and_not1_saveexec_b32 s7, s7
; %bb.9170:                             ;   in Loop: Header=BB4_8282 Depth=2
	v_mov_b64_e32 v[102:103], v[36:37]
	v_bfe_u32 v17, v36, 23, 1
; %bb.9171:                             ;   in Loop: Header=BB4_8282 Depth=2
	s_or_b32 exec_lo, exec_lo, s7
	s_delay_alu instid0(VALU_DEP_2) | instskip(NEXT) | instid1(VALU_DEP_2)
	v_lshrrev_b64 v[20:21], 21, v[102:103]
	v_cmp_gt_i32_e32 vcc_lo, 32, v17
	v_cmp_ne_u32_e64 s7, 0, v17
                                        ; implicit-def: $vgpr112
	s_delay_alu instid0(VALU_DEP_3) | instskip(NEXT) | instid1(VALU_DEP_1)
	v_dual_cndmask_b32 v103, 0, v21 :: v_dual_cndmask_b32 v102, 3, v20
	v_cmp_ne_u64_e32 vcc_lo, 0, v[102:103]
	s_or_b32 s7, s7, vcc_lo
	s_delay_alu instid0(SALU_CYCLE_1) | instskip(NEXT) | instid1(SALU_CYCLE_1)
	s_and_saveexec_b32 s29, s7
	s_xor_b32 s7, exec_lo, s29
; %bb.9172:                             ;   in Loop: Header=BB4_8282 Depth=2
	v_min_i32_e32 v17, 31, v17
	s_delay_alu instid0(VALU_DEP_1) | instskip(NEXT) | instid1(VALU_DEP_1)
	v_lshl_or_b32 v2, v17, 2, v2
	v_and_or_b32 v112, v102, 3, v2
                                        ; implicit-def: $vgpr2
; %bb.9173:                             ;   in Loop: Header=BB4_8282 Depth=2
	s_and_not1_saveexec_b32 s7, s7
; %bb.9174:                             ;   in Loop: Header=BB4_8282 Depth=2
	v_mov_b32_e32 v112, v2
; %bb.9175:                             ;   in Loop: Header=BB4_8282 Depth=2
	s_or_b32 exec_lo, exec_lo, s7
.LBB4_9176:                             ;   in Loop: Header=BB4_8282 Depth=2
	s_delay_alu instid0(SALU_CYCLE_1)
	s_or_b32 exec_lo, exec_lo, s28
                                        ; implicit-def: $vgpr2
.LBB4_9177:                             ;   in Loop: Header=BB4_8282 Depth=2
	s_and_not1_saveexec_b32 s7, s11
; %bb.9178:                             ;   in Loop: Header=BB4_8282 Depth=2
	v_or_b32_e32 v112, 0x7b, v2
; %bb.9179:                             ;   in Loop: Header=BB4_8282 Depth=2
	s_or_b32 exec_lo, exec_lo, s7
                                        ; implicit-def: $vgpr17
.LBB4_9180:                             ;   in Loop: Header=BB4_8282 Depth=2
	s_and_not1_saveexec_b32 s7, s10
	s_cbranch_execz .LBB4_9186
; %bb.9181:                             ;   in Loop: Header=BB4_8282 Depth=2
	s_mov_b32 s10, exec_lo
                                        ; implicit-def: $vgpr112
	v_cmpx_ne_u64_e32 0, v[36:37]
	s_xor_b32 s10, exec_lo, s10
; %bb.9182:                             ;   in Loop: Header=BB4_8282 Depth=2
	v_lshrrev_b32_e32 v2, 24, v17
                                        ; implicit-def: $vgpr17
	s_delay_alu instid0(VALU_DEP_1)
	v_or_b32_e32 v112, 0x7f, v2
; %bb.9183:                             ;   in Loop: Header=BB4_8282 Depth=2
	s_and_not1_saveexec_b32 s10, s10
; %bb.9184:                             ;   in Loop: Header=BB4_8282 Depth=2
	v_cmp_lt_i32_e32 vcc_lo, -1, v17
	v_cndmask_b32_e64 v112, -4, 0x7c, vcc_lo
; %bb.9185:                             ;   in Loop: Header=BB4_8282 Depth=2
	s_or_b32 exec_lo, exec_lo, s10
.LBB4_9186:                             ;   in Loop: Header=BB4_8282 Depth=2
	s_delay_alu instid0(SALU_CYCLE_1) | instskip(SKIP_3) | instid1(VALU_DEP_2)
	s_or_b32 exec_lo, exec_lo, s7
	v_and_b32_e32 v21, 0xff, v100
	v_dual_mov_b32 v2, 0 :: v_dual_mov_b32 v17, 0
	s_mov_b32 s7, exec_lo
	v_cmpx_ne_u16_e32 0, v21
	s_cbranch_execz .LBB4_9196
; %bb.9187:                             ;   in Loop: Header=BB4_8282 Depth=2
	v_bfrev_b32_e32 v17, 1
	s_mov_b32 s10, exec_lo
	v_cmpx_ne_u16_e32 0x80, v21
	s_cbranch_execz .LBB4_9195
; %bb.9188:                             ;   in Loop: Header=BB4_8282 Depth=2
	v_and_b32_e32 v17, 0x7c, v100
	v_and_b32_e32 v20, 3, v100
	s_delay_alu instid0(VALU_DEP_2) | instskip(SKIP_1) | instid1(SALU_CYCLE_1)
	v_cmp_ne_u32_e32 vcc_lo, 0x7c, v17
                                        ; implicit-def: $vgpr17
	s_and_saveexec_b32 s11, vcc_lo
	s_xor_b32 s11, exec_lo, s11
	s_cbranch_execz .LBB4_9192
; %bb.9189:                             ;   in Loop: Header=BB4_8282 Depth=2
	v_bfe_u32 v17, v21, 2, 5
	s_mov_b32 s28, exec_lo
	s_delay_alu instid0(VALU_DEP_1)
	v_cmpx_eq_u32_e32 0, v17
	s_cbranch_execz .LBB4_9191
; %bb.9190:                             ;   in Loop: Header=BB4_8282 Depth=2
	v_clz_i32_u32_e32 v17, v20
	s_delay_alu instid0(VALU_DEP_1) | instskip(SKIP_1) | instid1(VALU_DEP_2)
	v_min_u32_e32 v17, 32, v17
	v_mov_b32_e32 v101, v37
	v_subrev_nc_u32_e32 v20, 29, v17
	v_sub_nc_u32_e32 v17, 30, v17
	s_delay_alu instid0(VALU_DEP_2) | instskip(NEXT) | instid1(VALU_DEP_1)
	v_lshlrev_b64_e32 v[20:21], v20, v[100:101]
	v_and_b32_e32 v20, 3, v20
.LBB4_9191:                             ;   in Loop: Header=BB4_8282 Depth=2
	s_or_b32 exec_lo, exec_lo, s28
	v_lshlrev_b32_e32 v21, 24, v100
                                        ; implicit-def: $vgpr100
	s_delay_alu instid0(VALU_DEP_1) | instskip(NEXT) | instid1(VALU_DEP_1)
	v_and_b32_e32 v21, 0x80000000, v21
	v_lshl_add_u32 v17, v17, 23, v21
	s_delay_alu instid0(VALU_DEP_1) | instskip(NEXT) | instid1(VALU_DEP_1)
	v_lshl_or_b32 v17, v20, 21, v17
                                        ; implicit-def: $vgpr20
	v_add_nc_u32_e32 v17, 0x38000000, v17
.LBB4_9192:                             ;   in Loop: Header=BB4_8282 Depth=2
	s_and_not1_saveexec_b32 s11, s11
; %bb.9193:                             ;   in Loop: Header=BB4_8282 Depth=2
	v_bfe_i32 v17, v100, 0, 8
	s_delay_alu instid0(VALU_DEP_1) | instskip(SKIP_2) | instid1(VALU_DEP_2)
	v_cmp_lt_i16_e32 vcc_lo, -1, v17
	v_cndmask_b32_e32 v17, 0xff800000, v109, vcc_lo
	v_cmp_eq_u32_e32 vcc_lo, 0, v20
	v_cndmask_b32_e32 v17, 0x7f800001, v17, vcc_lo
; %bb.9194:                             ;   in Loop: Header=BB4_8282 Depth=2
	s_or_b32 exec_lo, exec_lo, s11
.LBB4_9195:                             ;   in Loop: Header=BB4_8282 Depth=2
	s_delay_alu instid0(SALU_CYCLE_1)
	s_or_b32 exec_lo, exec_lo, s10
.LBB4_9196:                             ;   in Loop: Header=BB4_8282 Depth=2
	s_delay_alu instid0(SALU_CYCLE_1) | instskip(NEXT) | instid1(SALU_CYCLE_1)
	s_or_b32 exec_lo, exec_lo, s7
	s_mov_b32 s7, exec_lo
	s_wait_loadcnt_dscnt 0x707
	v_cmpx_ne_u16_e32 0, v72
	s_cbranch_execz .LBB4_9206
; %bb.9197:                             ;   in Loop: Header=BB4_8282 Depth=2
	v_bfrev_b32_e32 v2, 1
	s_mov_b32 s10, exec_lo
	v_cmpx_ne_u16_e32 0xff80, v72
	s_cbranch_execz .LBB4_9205
; %bb.9198:                             ;   in Loop: Header=BB4_8282 Depth=2
	v_and_b32_e32 v2, 0x7c, v72
	v_and_b32_e32 v20, 3, v72
	s_delay_alu instid0(VALU_DEP_2) | instskip(SKIP_1) | instid1(SALU_CYCLE_1)
	v_cmp_ne_u32_e32 vcc_lo, 0x7c, v2
                                        ; implicit-def: $vgpr2
	s_and_saveexec_b32 s11, vcc_lo
	s_xor_b32 s11, exec_lo, s11
	s_cbranch_execz .LBB4_9202
; %bb.9199:                             ;   in Loop: Header=BB4_8282 Depth=2
	v_and_b32_e32 v2, 0xff, v72
	s_mov_b32 s28, exec_lo
	s_delay_alu instid0(VALU_DEP_1) | instskip(NEXT) | instid1(VALU_DEP_1)
	v_bfe_u32 v2, v2, 2, 5
	v_cmpx_eq_u32_e32 0, v2
	s_cbranch_execz .LBB4_9201
; %bb.9200:                             ;   in Loop: Header=BB4_8282 Depth=2
	v_clz_i32_u32_e32 v2, v20
	s_delay_alu instid0(VALU_DEP_1) | instskip(SKIP_1) | instid1(VALU_DEP_2)
	v_min_u32_e32 v2, 32, v2
	v_mov_b32_e32 v73, v37
	v_subrev_nc_u32_e32 v20, 29, v2
	v_sub_nc_u32_e32 v2, 30, v2
	s_delay_alu instid0(VALU_DEP_2) | instskip(NEXT) | instid1(VALU_DEP_1)
	v_lshlrev_b64_e32 v[20:21], v20, v[72:73]
	v_and_b32_e32 v20, 3, v20
.LBB4_9201:                             ;   in Loop: Header=BB4_8282 Depth=2
	s_or_b32 exec_lo, exec_lo, s28
	v_bfe_i32 v21, v72, 0, 16
                                        ; implicit-def: $vgpr72
	s_delay_alu instid0(VALU_DEP_1) | instskip(NEXT) | instid1(VALU_DEP_1)
	v_and_b32_e32 v21, 0x80000000, v21
	v_lshl_add_u32 v2, v2, 23, v21
	s_delay_alu instid0(VALU_DEP_1) | instskip(NEXT) | instid1(VALU_DEP_1)
	v_lshl_or_b32 v2, v20, 21, v2
                                        ; implicit-def: $vgpr20
	v_add_nc_u32_e32 v2, 0x38000000, v2
.LBB4_9202:                             ;   in Loop: Header=BB4_8282 Depth=2
	s_and_not1_saveexec_b32 s11, s11
; %bb.9203:                             ;   in Loop: Header=BB4_8282 Depth=2
	v_cmp_lt_i16_e32 vcc_lo, -1, v72
	v_cndmask_b32_e32 v2, 0xff800000, v109, vcc_lo
	v_cmp_eq_u32_e32 vcc_lo, 0, v20
	s_delay_alu instid0(VALU_DEP_2)
	v_cndmask_b32_e32 v2, 0x7f800001, v2, vcc_lo
; %bb.9204:                             ;   in Loop: Header=BB4_8282 Depth=2
	s_or_b32 exec_lo, exec_lo, s11
.LBB4_9205:                             ;   in Loop: Header=BB4_8282 Depth=2
	s_delay_alu instid0(SALU_CYCLE_1)
	s_or_b32 exec_lo, exec_lo, s10
.LBB4_9206:                             ;   in Loop: Header=BB4_8282 Depth=2
	s_delay_alu instid0(SALU_CYCLE_1) | instskip(NEXT) | instid1(VALU_DEP_1)
	s_or_b32 exec_lo, exec_lo, s7
	v_add_f32_e32 v17, v17, v2
	v_mov_b32_e32 v21, v37
                                        ; implicit-def: $vgpr102
	s_mov_b32 s7, exec_lo
	s_delay_alu instid0(VALU_DEP_2) | instskip(SKIP_1) | instid1(VALU_DEP_2)
	v_and_b32_e32 v20, 0x7f800000, v17
	v_and_b32_e32 v36, 0x7fffff, v17
	v_cmpx_ne_u64_e32 0x7f800000, v[20:21]
	s_xor_b32 s10, exec_lo, s7
	s_cbranch_execz .LBB4_9224
; %bb.9207:                             ;   in Loop: Header=BB4_8282 Depth=2
	v_dual_mov_b32 v21, v37 :: v_dual_lshrrev_b32 v2, 24, v17
	v_and_b32_e32 v20, 0x7fffffff, v17
                                        ; implicit-def: $vgpr102
	s_mov_b32 s7, exec_lo
	s_delay_alu instid0(VALU_DEP_2) | instskip(NEXT) | instid1(VALU_DEP_2)
	v_and_b32_e32 v2, 0x80, v2
	v_cmpx_gt_u64_e32 0x47600001, v[20:21]
	s_xor_b32 s11, exec_lo, s7
	s_cbranch_execz .LBB4_9221
; %bb.9208:                             ;   in Loop: Header=BB4_8282 Depth=2
	v_mov_b32_e32 v102, 0
	s_mov_b32 s28, exec_lo
	v_cmpx_ne_u32_e32 0, v17
	s_cbranch_execz .LBB4_9220
; %bb.9209:                             ;   in Loop: Header=BB4_8282 Depth=2
	v_bfe_u32 v17, v17, 23, 8
	v_or_b32_e32 v31, 0x800000, v36
	s_delay_alu instid0(VALU_DEP_2) | instskip(SKIP_1) | instid1(VALU_DEP_2)
	v_dual_mov_b32 v101, v37 :: v_dual_sub_nc_u32 v20, 0x71, v17
	v_cmp_gt_u32_e32 vcc_lo, 0x72, v17
	v_cndmask_b32_e32 v20, 0, v20, vcc_lo
	v_cmp_eq_u32_e32 vcc_lo, 0, v17
	s_delay_alu instid0(VALU_DEP_2) | instskip(SKIP_1) | instid1(VALU_DEP_2)
	v_cndmask_b32_e64 v20, v20, 0x70, vcc_lo
	v_cndmask_b32_e32 v100, v31, v36, vcc_lo
	v_add_nc_u32_e32 v21, 21, v20
	s_delay_alu instid0(VALU_DEP_1) | instskip(SKIP_1) | instid1(VALU_DEP_1)
	v_lshlrev_b64_e64 v[24:25], v21, -1
	v_add_nc_u32_e32 v21, 20, v20
	v_lshlrev_b64_e64 v[102:103], v21, 1
	s_delay_alu instid0(VALU_DEP_3) | instskip(SKIP_2) | instid1(VALU_DEP_1)
	v_bfi_b32 v24, v24, 0, v100
	v_lshrrev_b64 v[100:101], v20, v[100:101]
	v_bfi_b32 v25, v25, 0, 0
	v_cmp_eq_u64_e64 s7, v[24:25], v[102:103]
	s_delay_alu instid0(VALU_DEP_3)
	v_mov_b64_e32 v[102:103], v[100:101]
	s_and_saveexec_b32 s29, s7
; %bb.9210:                             ;   in Loop: Header=BB4_8282 Depth=2
	v_bfe_u32 v24, v100, 21, 1
	v_mov_b32_e32 v25, v37
	s_delay_alu instid0(VALU_DEP_1) | instskip(NEXT) | instid1(VALU_DEP_1)
	v_add_nc_u64_e32 v[24:25], v[100:101], v[24:25]
	v_add_nc_u64_e32 v[102:103], -1, v[24:25]
; %bb.9211:                             ;   in Loop: Header=BB4_8282 Depth=2
	s_or_b32 exec_lo, exec_lo, s29
	v_add_nc_u32_e32 v17, 0xffffff81, v17
	s_delay_alu instid0(VALU_DEP_2) | instskip(SKIP_2) | instid1(VALU_DEP_3)
	v_and_b32_e32 v24, 0x1fffff, v102
	v_lshrrev_b32_e32 v21, 23, v100
	s_mov_b32 s7, exec_lo
	v_cndmask_b32_e64 v17, v17, 0xffffff82, vcc_lo
	s_delay_alu instid0(VALU_DEP_3) | instskip(NEXT) | instid1(VALU_DEP_2)
	v_add_nc_u32_e32 v36, v24, v100
                                        ; implicit-def: $vgpr100_vgpr101
	v_add3_u32 v20, v20, v17, v21
                                        ; implicit-def: $vgpr17
	s_delay_alu instid0(VALU_DEP_1) | instskip(NEXT) | instid1(VALU_DEP_1)
	v_add_nc_u32_e32 v21, 14, v20
	v_cmpx_ne_u32_e32 0, v21
	s_xor_b32 s7, exec_lo, s7
; %bb.9212:                             ;   in Loop: Header=BB4_8282 Depth=2
	v_cmp_lt_u64_e32 vcc_lo, 0xffffff, v[36:37]
	v_add_nc_u32_e32 v17, 15, v20
	v_cndmask_b32_e64 v20, 0, 1, vcc_lo
	s_delay_alu instid0(VALU_DEP_2) | instskip(NEXT) | instid1(VALU_DEP_2)
	v_cndmask_b32_e32 v17, v21, v17, vcc_lo
	v_lshrrev_b64 v[100:101], v20, v[36:37]
; %bb.9213:                             ;   in Loop: Header=BB4_8282 Depth=2
	s_and_not1_saveexec_b32 s7, s7
; %bb.9214:                             ;   in Loop: Header=BB4_8282 Depth=2
	v_mov_b64_e32 v[100:101], v[36:37]
	v_bfe_u32 v17, v36, 23, 1
; %bb.9215:                             ;   in Loop: Header=BB4_8282 Depth=2
	s_or_b32 exec_lo, exec_lo, s7
	s_delay_alu instid0(VALU_DEP_2) | instskip(NEXT) | instid1(VALU_DEP_2)
	v_lshrrev_b64 v[20:21], 21, v[100:101]
	v_cmp_gt_i32_e32 vcc_lo, 32, v17
	v_cmp_ne_u32_e64 s7, 0, v17
                                        ; implicit-def: $vgpr102
	s_delay_alu instid0(VALU_DEP_3) | instskip(NEXT) | instid1(VALU_DEP_1)
	v_dual_cndmask_b32 v101, 0, v21 :: v_dual_cndmask_b32 v100, 3, v20
	v_cmp_ne_u64_e32 vcc_lo, 0, v[100:101]
	s_or_b32 s7, s7, vcc_lo
	s_delay_alu instid0(SALU_CYCLE_1) | instskip(NEXT) | instid1(SALU_CYCLE_1)
	s_and_saveexec_b32 s29, s7
	s_xor_b32 s7, exec_lo, s29
; %bb.9216:                             ;   in Loop: Header=BB4_8282 Depth=2
	v_min_i32_e32 v17, 31, v17
	s_delay_alu instid0(VALU_DEP_1) | instskip(NEXT) | instid1(VALU_DEP_1)
	v_lshl_or_b32 v2, v17, 2, v2
	v_and_or_b32 v102, v100, 3, v2
                                        ; implicit-def: $vgpr2
; %bb.9217:                             ;   in Loop: Header=BB4_8282 Depth=2
	s_and_not1_saveexec_b32 s7, s7
; %bb.9218:                             ;   in Loop: Header=BB4_8282 Depth=2
	v_mov_b32_e32 v102, v2
; %bb.9219:                             ;   in Loop: Header=BB4_8282 Depth=2
	s_or_b32 exec_lo, exec_lo, s7
.LBB4_9220:                             ;   in Loop: Header=BB4_8282 Depth=2
	s_delay_alu instid0(SALU_CYCLE_1)
	s_or_b32 exec_lo, exec_lo, s28
                                        ; implicit-def: $vgpr2
.LBB4_9221:                             ;   in Loop: Header=BB4_8282 Depth=2
	s_and_not1_saveexec_b32 s7, s11
; %bb.9222:                             ;   in Loop: Header=BB4_8282 Depth=2
	v_or_b32_e32 v102, 0x7b, v2
; %bb.9223:                             ;   in Loop: Header=BB4_8282 Depth=2
	s_or_b32 exec_lo, exec_lo, s7
                                        ; implicit-def: $vgpr17
.LBB4_9224:                             ;   in Loop: Header=BB4_8282 Depth=2
	s_and_not1_saveexec_b32 s7, s10
	s_cbranch_execz .LBB4_9230
; %bb.9225:                             ;   in Loop: Header=BB4_8282 Depth=2
	s_mov_b32 s10, exec_lo
                                        ; implicit-def: $vgpr102
	v_cmpx_ne_u64_e32 0, v[36:37]
	s_xor_b32 s10, exec_lo, s10
; %bb.9226:                             ;   in Loop: Header=BB4_8282 Depth=2
	v_lshrrev_b32_e32 v2, 24, v17
                                        ; implicit-def: $vgpr17
	s_delay_alu instid0(VALU_DEP_1)
	v_or_b32_e32 v102, 0x7f, v2
; %bb.9227:                             ;   in Loop: Header=BB4_8282 Depth=2
	s_and_not1_saveexec_b32 s10, s10
; %bb.9228:                             ;   in Loop: Header=BB4_8282 Depth=2
	v_cmp_lt_i32_e32 vcc_lo, -1, v17
	v_cndmask_b32_e64 v102, -4, 0x7c, vcc_lo
; %bb.9229:                             ;   in Loop: Header=BB4_8282 Depth=2
	s_or_b32 exec_lo, exec_lo, s10
.LBB4_9230:                             ;   in Loop: Header=BB4_8282 Depth=2
	s_delay_alu instid0(SALU_CYCLE_1) | instskip(SKIP_3) | instid1(VALU_DEP_2)
	s_or_b32 exec_lo, exec_lo, s7
	v_and_b32_e32 v21, 0xff, v98
	v_dual_mov_b32 v2, 0 :: v_dual_mov_b32 v17, 0
	s_mov_b32 s7, exec_lo
	v_cmpx_ne_u16_e32 0, v21
	s_cbranch_execz .LBB4_9240
; %bb.9231:                             ;   in Loop: Header=BB4_8282 Depth=2
	v_bfrev_b32_e32 v17, 1
	s_mov_b32 s10, exec_lo
	v_cmpx_ne_u16_e32 0x80, v21
	s_cbranch_execz .LBB4_9239
; %bb.9232:                             ;   in Loop: Header=BB4_8282 Depth=2
	v_and_b32_e32 v17, 0x7c, v98
	v_and_b32_e32 v20, 3, v98
	s_delay_alu instid0(VALU_DEP_2) | instskip(SKIP_1) | instid1(SALU_CYCLE_1)
	v_cmp_ne_u32_e32 vcc_lo, 0x7c, v17
                                        ; implicit-def: $vgpr17
	s_and_saveexec_b32 s11, vcc_lo
	s_xor_b32 s11, exec_lo, s11
	s_cbranch_execz .LBB4_9236
; %bb.9233:                             ;   in Loop: Header=BB4_8282 Depth=2
	v_bfe_u32 v17, v21, 2, 5
	s_mov_b32 s28, exec_lo
	s_delay_alu instid0(VALU_DEP_1)
	v_cmpx_eq_u32_e32 0, v17
	s_cbranch_execz .LBB4_9235
; %bb.9234:                             ;   in Loop: Header=BB4_8282 Depth=2
	v_clz_i32_u32_e32 v17, v20
	s_delay_alu instid0(VALU_DEP_1) | instskip(SKIP_1) | instid1(VALU_DEP_2)
	v_min_u32_e32 v17, 32, v17
	v_mov_b32_e32 v99, v37
	v_subrev_nc_u32_e32 v20, 29, v17
	v_sub_nc_u32_e32 v17, 30, v17
	s_delay_alu instid0(VALU_DEP_2) | instskip(NEXT) | instid1(VALU_DEP_1)
	v_lshlrev_b64_e32 v[20:21], v20, v[98:99]
	v_and_b32_e32 v20, 3, v20
.LBB4_9235:                             ;   in Loop: Header=BB4_8282 Depth=2
	s_or_b32 exec_lo, exec_lo, s28
	v_lshlrev_b32_e32 v21, 24, v98
                                        ; implicit-def: $vgpr98
	s_delay_alu instid0(VALU_DEP_1) | instskip(NEXT) | instid1(VALU_DEP_1)
	v_and_b32_e32 v21, 0x80000000, v21
	v_lshl_add_u32 v17, v17, 23, v21
	s_delay_alu instid0(VALU_DEP_1) | instskip(NEXT) | instid1(VALU_DEP_1)
	v_lshl_or_b32 v17, v20, 21, v17
                                        ; implicit-def: $vgpr20
	v_add_nc_u32_e32 v17, 0x38000000, v17
.LBB4_9236:                             ;   in Loop: Header=BB4_8282 Depth=2
	s_and_not1_saveexec_b32 s11, s11
; %bb.9237:                             ;   in Loop: Header=BB4_8282 Depth=2
	v_bfe_i32 v17, v98, 0, 8
	s_delay_alu instid0(VALU_DEP_1) | instskip(SKIP_2) | instid1(VALU_DEP_2)
	v_cmp_lt_i16_e32 vcc_lo, -1, v17
	v_cndmask_b32_e32 v17, 0xff800000, v109, vcc_lo
	v_cmp_eq_u32_e32 vcc_lo, 0, v20
	v_cndmask_b32_e32 v17, 0x7f800001, v17, vcc_lo
; %bb.9238:                             ;   in Loop: Header=BB4_8282 Depth=2
	s_or_b32 exec_lo, exec_lo, s11
.LBB4_9239:                             ;   in Loop: Header=BB4_8282 Depth=2
	s_delay_alu instid0(SALU_CYCLE_1)
	s_or_b32 exec_lo, exec_lo, s10
.LBB4_9240:                             ;   in Loop: Header=BB4_8282 Depth=2
	s_delay_alu instid0(SALU_CYCLE_1) | instskip(NEXT) | instid1(SALU_CYCLE_1)
	s_or_b32 exec_lo, exec_lo, s7
	s_mov_b32 s7, exec_lo
	s_wait_loadcnt_dscnt 0x606
	v_cmpx_ne_u16_e32 0, v62
	s_cbranch_execz .LBB4_9250
; %bb.9241:                             ;   in Loop: Header=BB4_8282 Depth=2
	v_bfrev_b32_e32 v2, 1
	s_mov_b32 s10, exec_lo
	v_cmpx_ne_u16_e32 0xff80, v62
	s_cbranch_execz .LBB4_9249
; %bb.9242:                             ;   in Loop: Header=BB4_8282 Depth=2
	v_and_b32_e32 v2, 0x7c, v62
	v_and_b32_e32 v20, 3, v62
	s_delay_alu instid0(VALU_DEP_2) | instskip(SKIP_1) | instid1(SALU_CYCLE_1)
	v_cmp_ne_u32_e32 vcc_lo, 0x7c, v2
                                        ; implicit-def: $vgpr2
	s_and_saveexec_b32 s11, vcc_lo
	s_xor_b32 s11, exec_lo, s11
	s_cbranch_execz .LBB4_9246
; %bb.9243:                             ;   in Loop: Header=BB4_8282 Depth=2
	v_and_b32_e32 v2, 0xff, v62
	s_mov_b32 s28, exec_lo
	s_delay_alu instid0(VALU_DEP_1) | instskip(NEXT) | instid1(VALU_DEP_1)
	v_bfe_u32 v2, v2, 2, 5
	v_cmpx_eq_u32_e32 0, v2
	s_cbranch_execz .LBB4_9245
; %bb.9244:                             ;   in Loop: Header=BB4_8282 Depth=2
	v_clz_i32_u32_e32 v2, v20
	s_delay_alu instid0(VALU_DEP_1) | instskip(SKIP_1) | instid1(VALU_DEP_2)
	v_min_u32_e32 v2, 32, v2
	v_mov_b32_e32 v63, v37
	v_subrev_nc_u32_e32 v20, 29, v2
	v_sub_nc_u32_e32 v2, 30, v2
	s_delay_alu instid0(VALU_DEP_2) | instskip(NEXT) | instid1(VALU_DEP_1)
	v_lshlrev_b64_e32 v[20:21], v20, v[62:63]
	v_and_b32_e32 v20, 3, v20
.LBB4_9245:                             ;   in Loop: Header=BB4_8282 Depth=2
	s_or_b32 exec_lo, exec_lo, s28
	v_bfe_i32 v21, v62, 0, 16
                                        ; implicit-def: $vgpr62
	s_delay_alu instid0(VALU_DEP_1) | instskip(NEXT) | instid1(VALU_DEP_1)
	v_and_b32_e32 v21, 0x80000000, v21
	v_lshl_add_u32 v2, v2, 23, v21
	s_delay_alu instid0(VALU_DEP_1) | instskip(NEXT) | instid1(VALU_DEP_1)
	v_lshl_or_b32 v2, v20, 21, v2
                                        ; implicit-def: $vgpr20
	v_add_nc_u32_e32 v2, 0x38000000, v2
.LBB4_9246:                             ;   in Loop: Header=BB4_8282 Depth=2
	s_and_not1_saveexec_b32 s11, s11
; %bb.9247:                             ;   in Loop: Header=BB4_8282 Depth=2
	v_cmp_lt_i16_e32 vcc_lo, -1, v62
	v_cndmask_b32_e32 v2, 0xff800000, v109, vcc_lo
	v_cmp_eq_u32_e32 vcc_lo, 0, v20
	s_delay_alu instid0(VALU_DEP_2)
	v_cndmask_b32_e32 v2, 0x7f800001, v2, vcc_lo
; %bb.9248:                             ;   in Loop: Header=BB4_8282 Depth=2
	s_or_b32 exec_lo, exec_lo, s11
.LBB4_9249:                             ;   in Loop: Header=BB4_8282 Depth=2
	s_delay_alu instid0(SALU_CYCLE_1)
	s_or_b32 exec_lo, exec_lo, s10
.LBB4_9250:                             ;   in Loop: Header=BB4_8282 Depth=2
	s_delay_alu instid0(SALU_CYCLE_1) | instskip(NEXT) | instid1(VALU_DEP_1)
	s_or_b32 exec_lo, exec_lo, s7
	v_add_f32_e32 v17, v17, v2
	v_mov_b32_e32 v21, v37
                                        ; implicit-def: $vgpr100
	s_mov_b32 s7, exec_lo
	s_delay_alu instid0(VALU_DEP_2) | instskip(SKIP_1) | instid1(VALU_DEP_2)
	v_and_b32_e32 v20, 0x7f800000, v17
	v_and_b32_e32 v36, 0x7fffff, v17
	v_cmpx_ne_u64_e32 0x7f800000, v[20:21]
	s_xor_b32 s10, exec_lo, s7
	s_cbranch_execz .LBB4_9268
; %bb.9251:                             ;   in Loop: Header=BB4_8282 Depth=2
	v_dual_mov_b32 v21, v37 :: v_dual_lshrrev_b32 v2, 24, v17
	v_and_b32_e32 v20, 0x7fffffff, v17
                                        ; implicit-def: $vgpr100
	s_mov_b32 s7, exec_lo
	s_delay_alu instid0(VALU_DEP_2) | instskip(NEXT) | instid1(VALU_DEP_2)
	v_and_b32_e32 v2, 0x80, v2
	v_cmpx_gt_u64_e32 0x47600001, v[20:21]
	s_xor_b32 s11, exec_lo, s7
	s_cbranch_execz .LBB4_9265
; %bb.9252:                             ;   in Loop: Header=BB4_8282 Depth=2
	v_mov_b32_e32 v100, 0
	s_mov_b32 s28, exec_lo
	v_cmpx_ne_u32_e32 0, v17
	s_cbranch_execz .LBB4_9264
; %bb.9253:                             ;   in Loop: Header=BB4_8282 Depth=2
	v_bfe_u32 v17, v17, 23, 8
	v_or_b32_e32 v31, 0x800000, v36
	s_delay_alu instid0(VALU_DEP_2) | instskip(SKIP_1) | instid1(VALU_DEP_2)
	v_dual_mov_b32 v99, v37 :: v_dual_sub_nc_u32 v20, 0x71, v17
	v_cmp_gt_u32_e32 vcc_lo, 0x72, v17
	v_cndmask_b32_e32 v20, 0, v20, vcc_lo
	v_cmp_eq_u32_e32 vcc_lo, 0, v17
	s_delay_alu instid0(VALU_DEP_2) | instskip(SKIP_1) | instid1(VALU_DEP_2)
	v_cndmask_b32_e64 v20, v20, 0x70, vcc_lo
	v_cndmask_b32_e32 v98, v31, v36, vcc_lo
	v_add_nc_u32_e32 v21, 21, v20
	s_delay_alu instid0(VALU_DEP_1) | instskip(SKIP_1) | instid1(VALU_DEP_1)
	v_lshlrev_b64_e64 v[24:25], v21, -1
	v_add_nc_u32_e32 v21, 20, v20
	v_lshlrev_b64_e64 v[100:101], v21, 1
	s_delay_alu instid0(VALU_DEP_3) | instskip(SKIP_2) | instid1(VALU_DEP_1)
	v_bfi_b32 v24, v24, 0, v98
	v_lshrrev_b64 v[98:99], v20, v[98:99]
	v_bfi_b32 v25, v25, 0, 0
	v_cmp_eq_u64_e64 s7, v[24:25], v[100:101]
	s_delay_alu instid0(VALU_DEP_3)
	v_mov_b64_e32 v[100:101], v[98:99]
	s_and_saveexec_b32 s29, s7
; %bb.9254:                             ;   in Loop: Header=BB4_8282 Depth=2
	v_bfe_u32 v24, v98, 21, 1
	v_mov_b32_e32 v25, v37
	s_delay_alu instid0(VALU_DEP_1) | instskip(NEXT) | instid1(VALU_DEP_1)
	v_add_nc_u64_e32 v[24:25], v[98:99], v[24:25]
	v_add_nc_u64_e32 v[100:101], -1, v[24:25]
; %bb.9255:                             ;   in Loop: Header=BB4_8282 Depth=2
	s_or_b32 exec_lo, exec_lo, s29
	v_add_nc_u32_e32 v17, 0xffffff81, v17
	s_delay_alu instid0(VALU_DEP_2) | instskip(SKIP_2) | instid1(VALU_DEP_3)
	v_and_b32_e32 v24, 0x1fffff, v100
	v_lshrrev_b32_e32 v21, 23, v98
	s_mov_b32 s7, exec_lo
	v_cndmask_b32_e64 v17, v17, 0xffffff82, vcc_lo
	s_delay_alu instid0(VALU_DEP_3) | instskip(NEXT) | instid1(VALU_DEP_2)
	v_add_nc_u32_e32 v36, v24, v98
                                        ; implicit-def: $vgpr98_vgpr99
	v_add3_u32 v20, v20, v17, v21
                                        ; implicit-def: $vgpr17
	s_delay_alu instid0(VALU_DEP_1) | instskip(NEXT) | instid1(VALU_DEP_1)
	v_add_nc_u32_e32 v21, 14, v20
	v_cmpx_ne_u32_e32 0, v21
	s_xor_b32 s7, exec_lo, s7
; %bb.9256:                             ;   in Loop: Header=BB4_8282 Depth=2
	v_cmp_lt_u64_e32 vcc_lo, 0xffffff, v[36:37]
	v_add_nc_u32_e32 v17, 15, v20
	v_cndmask_b32_e64 v20, 0, 1, vcc_lo
	s_delay_alu instid0(VALU_DEP_2) | instskip(NEXT) | instid1(VALU_DEP_2)
	v_cndmask_b32_e32 v17, v21, v17, vcc_lo
	v_lshrrev_b64 v[98:99], v20, v[36:37]
; %bb.9257:                             ;   in Loop: Header=BB4_8282 Depth=2
	s_and_not1_saveexec_b32 s7, s7
; %bb.9258:                             ;   in Loop: Header=BB4_8282 Depth=2
	v_mov_b64_e32 v[98:99], v[36:37]
	v_bfe_u32 v17, v36, 23, 1
; %bb.9259:                             ;   in Loop: Header=BB4_8282 Depth=2
	s_or_b32 exec_lo, exec_lo, s7
	s_delay_alu instid0(VALU_DEP_2) | instskip(NEXT) | instid1(VALU_DEP_2)
	v_lshrrev_b64 v[20:21], 21, v[98:99]
	v_cmp_gt_i32_e32 vcc_lo, 32, v17
	v_cmp_ne_u32_e64 s7, 0, v17
                                        ; implicit-def: $vgpr100
	s_delay_alu instid0(VALU_DEP_3) | instskip(NEXT) | instid1(VALU_DEP_1)
	v_dual_cndmask_b32 v99, 0, v21 :: v_dual_cndmask_b32 v98, 3, v20
	v_cmp_ne_u64_e32 vcc_lo, 0, v[98:99]
	s_or_b32 s7, s7, vcc_lo
	s_delay_alu instid0(SALU_CYCLE_1) | instskip(NEXT) | instid1(SALU_CYCLE_1)
	s_and_saveexec_b32 s29, s7
	s_xor_b32 s7, exec_lo, s29
; %bb.9260:                             ;   in Loop: Header=BB4_8282 Depth=2
	v_min_i32_e32 v17, 31, v17
	s_delay_alu instid0(VALU_DEP_1) | instskip(NEXT) | instid1(VALU_DEP_1)
	v_lshl_or_b32 v2, v17, 2, v2
	v_and_or_b32 v100, v98, 3, v2
                                        ; implicit-def: $vgpr2
; %bb.9261:                             ;   in Loop: Header=BB4_8282 Depth=2
	s_and_not1_saveexec_b32 s7, s7
; %bb.9262:                             ;   in Loop: Header=BB4_8282 Depth=2
	v_mov_b32_e32 v100, v2
; %bb.9263:                             ;   in Loop: Header=BB4_8282 Depth=2
	s_or_b32 exec_lo, exec_lo, s7
.LBB4_9264:                             ;   in Loop: Header=BB4_8282 Depth=2
	s_delay_alu instid0(SALU_CYCLE_1)
	s_or_b32 exec_lo, exec_lo, s28
                                        ; implicit-def: $vgpr2
.LBB4_9265:                             ;   in Loop: Header=BB4_8282 Depth=2
	s_and_not1_saveexec_b32 s7, s11
; %bb.9266:                             ;   in Loop: Header=BB4_8282 Depth=2
	v_or_b32_e32 v100, 0x7b, v2
; %bb.9267:                             ;   in Loop: Header=BB4_8282 Depth=2
	s_or_b32 exec_lo, exec_lo, s7
                                        ; implicit-def: $vgpr17
.LBB4_9268:                             ;   in Loop: Header=BB4_8282 Depth=2
	s_and_not1_saveexec_b32 s7, s10
	s_cbranch_execz .LBB4_9274
; %bb.9269:                             ;   in Loop: Header=BB4_8282 Depth=2
	s_mov_b32 s10, exec_lo
                                        ; implicit-def: $vgpr100
	v_cmpx_ne_u64_e32 0, v[36:37]
	s_xor_b32 s10, exec_lo, s10
; %bb.9270:                             ;   in Loop: Header=BB4_8282 Depth=2
	v_lshrrev_b32_e32 v2, 24, v17
                                        ; implicit-def: $vgpr17
	s_delay_alu instid0(VALU_DEP_1)
	v_or_b32_e32 v100, 0x7f, v2
; %bb.9271:                             ;   in Loop: Header=BB4_8282 Depth=2
	s_and_not1_saveexec_b32 s10, s10
; %bb.9272:                             ;   in Loop: Header=BB4_8282 Depth=2
	v_cmp_lt_i32_e32 vcc_lo, -1, v17
	v_cndmask_b32_e64 v100, -4, 0x7c, vcc_lo
; %bb.9273:                             ;   in Loop: Header=BB4_8282 Depth=2
	s_or_b32 exec_lo, exec_lo, s10
.LBB4_9274:                             ;   in Loop: Header=BB4_8282 Depth=2
	s_delay_alu instid0(SALU_CYCLE_1) | instskip(SKIP_3) | instid1(VALU_DEP_2)
	s_or_b32 exec_lo, exec_lo, s7
	v_and_b32_e32 v21, 0xff, v86
	v_dual_mov_b32 v2, 0 :: v_dual_mov_b32 v17, 0
	s_mov_b32 s7, exec_lo
	v_cmpx_ne_u16_e32 0, v21
	s_cbranch_execz .LBB4_9284
; %bb.9275:                             ;   in Loop: Header=BB4_8282 Depth=2
	v_bfrev_b32_e32 v17, 1
	s_mov_b32 s10, exec_lo
	v_cmpx_ne_u16_e32 0x80, v21
	s_cbranch_execz .LBB4_9283
; %bb.9276:                             ;   in Loop: Header=BB4_8282 Depth=2
	v_and_b32_e32 v17, 0x7c, v86
	v_and_b32_e32 v20, 3, v86
	s_delay_alu instid0(VALU_DEP_2) | instskip(SKIP_1) | instid1(SALU_CYCLE_1)
	v_cmp_ne_u32_e32 vcc_lo, 0x7c, v17
                                        ; implicit-def: $vgpr17
	s_and_saveexec_b32 s11, vcc_lo
	s_xor_b32 s11, exec_lo, s11
	s_cbranch_execz .LBB4_9280
; %bb.9277:                             ;   in Loop: Header=BB4_8282 Depth=2
	v_bfe_u32 v17, v21, 2, 5
	s_mov_b32 s28, exec_lo
	s_delay_alu instid0(VALU_DEP_1)
	v_cmpx_eq_u32_e32 0, v17
	s_cbranch_execz .LBB4_9279
; %bb.9278:                             ;   in Loop: Header=BB4_8282 Depth=2
	v_clz_i32_u32_e32 v17, v20
	s_delay_alu instid0(VALU_DEP_1) | instskip(SKIP_1) | instid1(VALU_DEP_2)
	v_min_u32_e32 v17, 32, v17
	v_mov_b32_e32 v87, v37
	v_subrev_nc_u32_e32 v20, 29, v17
	v_sub_nc_u32_e32 v17, 30, v17
	s_delay_alu instid0(VALU_DEP_2) | instskip(NEXT) | instid1(VALU_DEP_1)
	v_lshlrev_b64_e32 v[20:21], v20, v[86:87]
	v_and_b32_e32 v20, 3, v20
.LBB4_9279:                             ;   in Loop: Header=BB4_8282 Depth=2
	s_or_b32 exec_lo, exec_lo, s28
	v_lshlrev_b32_e32 v21, 24, v86
                                        ; implicit-def: $vgpr86
	s_delay_alu instid0(VALU_DEP_1) | instskip(NEXT) | instid1(VALU_DEP_1)
	v_and_b32_e32 v21, 0x80000000, v21
	v_lshl_add_u32 v17, v17, 23, v21
	s_delay_alu instid0(VALU_DEP_1) | instskip(NEXT) | instid1(VALU_DEP_1)
	v_lshl_or_b32 v17, v20, 21, v17
                                        ; implicit-def: $vgpr20
	v_add_nc_u32_e32 v17, 0x38000000, v17
.LBB4_9280:                             ;   in Loop: Header=BB4_8282 Depth=2
	s_and_not1_saveexec_b32 s11, s11
; %bb.9281:                             ;   in Loop: Header=BB4_8282 Depth=2
	v_bfe_i32 v17, v86, 0, 8
	s_delay_alu instid0(VALU_DEP_1) | instskip(SKIP_2) | instid1(VALU_DEP_2)
	v_cmp_lt_i16_e32 vcc_lo, -1, v17
	v_cndmask_b32_e32 v17, 0xff800000, v109, vcc_lo
	v_cmp_eq_u32_e32 vcc_lo, 0, v20
	v_cndmask_b32_e32 v17, 0x7f800001, v17, vcc_lo
; %bb.9282:                             ;   in Loop: Header=BB4_8282 Depth=2
	s_or_b32 exec_lo, exec_lo, s11
.LBB4_9283:                             ;   in Loop: Header=BB4_8282 Depth=2
	s_delay_alu instid0(SALU_CYCLE_1)
	s_or_b32 exec_lo, exec_lo, s10
.LBB4_9284:                             ;   in Loop: Header=BB4_8282 Depth=2
	s_delay_alu instid0(SALU_CYCLE_1) | instskip(NEXT) | instid1(SALU_CYCLE_1)
	s_or_b32 exec_lo, exec_lo, s7
	s_mov_b32 s7, exec_lo
	s_wait_loadcnt_dscnt 0x505
	v_cmpx_ne_u16_e32 0, v60
	s_cbranch_execz .LBB4_9294
; %bb.9285:                             ;   in Loop: Header=BB4_8282 Depth=2
	v_bfrev_b32_e32 v2, 1
	s_mov_b32 s10, exec_lo
	v_cmpx_ne_u16_e32 0xff80, v60
	s_cbranch_execz .LBB4_9293
; %bb.9286:                             ;   in Loop: Header=BB4_8282 Depth=2
	v_and_b32_e32 v2, 0x7c, v60
	v_and_b32_e32 v20, 3, v60
	s_delay_alu instid0(VALU_DEP_2) | instskip(SKIP_1) | instid1(SALU_CYCLE_1)
	v_cmp_ne_u32_e32 vcc_lo, 0x7c, v2
                                        ; implicit-def: $vgpr2
	s_and_saveexec_b32 s11, vcc_lo
	s_xor_b32 s11, exec_lo, s11
	s_cbranch_execz .LBB4_9290
; %bb.9287:                             ;   in Loop: Header=BB4_8282 Depth=2
	v_and_b32_e32 v2, 0xff, v60
	s_mov_b32 s28, exec_lo
	s_delay_alu instid0(VALU_DEP_1) | instskip(NEXT) | instid1(VALU_DEP_1)
	v_bfe_u32 v2, v2, 2, 5
	v_cmpx_eq_u32_e32 0, v2
	s_cbranch_execz .LBB4_9289
; %bb.9288:                             ;   in Loop: Header=BB4_8282 Depth=2
	v_clz_i32_u32_e32 v2, v20
	s_delay_alu instid0(VALU_DEP_1) | instskip(SKIP_1) | instid1(VALU_DEP_2)
	v_min_u32_e32 v2, 32, v2
	v_mov_b32_e32 v61, v37
	v_subrev_nc_u32_e32 v20, 29, v2
	v_sub_nc_u32_e32 v2, 30, v2
	s_delay_alu instid0(VALU_DEP_2) | instskip(NEXT) | instid1(VALU_DEP_1)
	v_lshlrev_b64_e32 v[20:21], v20, v[60:61]
	v_and_b32_e32 v20, 3, v20
.LBB4_9289:                             ;   in Loop: Header=BB4_8282 Depth=2
	s_or_b32 exec_lo, exec_lo, s28
	v_bfe_i32 v21, v60, 0, 16
                                        ; implicit-def: $vgpr60
	s_delay_alu instid0(VALU_DEP_1) | instskip(NEXT) | instid1(VALU_DEP_1)
	v_and_b32_e32 v21, 0x80000000, v21
	v_lshl_add_u32 v2, v2, 23, v21
	s_delay_alu instid0(VALU_DEP_1) | instskip(NEXT) | instid1(VALU_DEP_1)
	v_lshl_or_b32 v2, v20, 21, v2
                                        ; implicit-def: $vgpr20
	v_add_nc_u32_e32 v2, 0x38000000, v2
.LBB4_9290:                             ;   in Loop: Header=BB4_8282 Depth=2
	s_and_not1_saveexec_b32 s11, s11
; %bb.9291:                             ;   in Loop: Header=BB4_8282 Depth=2
	v_cmp_lt_i16_e32 vcc_lo, -1, v60
	v_cndmask_b32_e32 v2, 0xff800000, v109, vcc_lo
	v_cmp_eq_u32_e32 vcc_lo, 0, v20
	s_delay_alu instid0(VALU_DEP_2)
	v_cndmask_b32_e32 v2, 0x7f800001, v2, vcc_lo
; %bb.9292:                             ;   in Loop: Header=BB4_8282 Depth=2
	s_or_b32 exec_lo, exec_lo, s11
.LBB4_9293:                             ;   in Loop: Header=BB4_8282 Depth=2
	s_delay_alu instid0(SALU_CYCLE_1)
	s_or_b32 exec_lo, exec_lo, s10
.LBB4_9294:                             ;   in Loop: Header=BB4_8282 Depth=2
	s_delay_alu instid0(SALU_CYCLE_1) | instskip(NEXT) | instid1(VALU_DEP_1)
	s_or_b32 exec_lo, exec_lo, s7
	v_add_f32_e32 v17, v17, v2
	v_mov_b32_e32 v21, v37
                                        ; implicit-def: $vgpr98
	s_mov_b32 s7, exec_lo
	s_delay_alu instid0(VALU_DEP_2) | instskip(SKIP_1) | instid1(VALU_DEP_2)
	v_and_b32_e32 v20, 0x7f800000, v17
	v_and_b32_e32 v36, 0x7fffff, v17
	v_cmpx_ne_u64_e32 0x7f800000, v[20:21]
	s_xor_b32 s10, exec_lo, s7
	s_cbranch_execz .LBB4_9312
; %bb.9295:                             ;   in Loop: Header=BB4_8282 Depth=2
	v_dual_mov_b32 v21, v37 :: v_dual_lshrrev_b32 v2, 24, v17
	v_and_b32_e32 v20, 0x7fffffff, v17
                                        ; implicit-def: $vgpr98
	s_mov_b32 s7, exec_lo
	s_delay_alu instid0(VALU_DEP_2) | instskip(NEXT) | instid1(VALU_DEP_2)
	v_and_b32_e32 v2, 0x80, v2
	v_cmpx_gt_u64_e32 0x47600001, v[20:21]
	s_xor_b32 s11, exec_lo, s7
	s_cbranch_execz .LBB4_9309
; %bb.9296:                             ;   in Loop: Header=BB4_8282 Depth=2
	v_mov_b32_e32 v98, 0
	s_mov_b32 s28, exec_lo
	v_cmpx_ne_u32_e32 0, v17
	s_cbranch_execz .LBB4_9308
; %bb.9297:                             ;   in Loop: Header=BB4_8282 Depth=2
	v_bfe_u32 v17, v17, 23, 8
	v_or_b32_e32 v31, 0x800000, v36
	s_delay_alu instid0(VALU_DEP_2) | instskip(SKIP_1) | instid1(VALU_DEP_2)
	v_dual_mov_b32 v87, v37 :: v_dual_sub_nc_u32 v20, 0x71, v17
	v_cmp_gt_u32_e32 vcc_lo, 0x72, v17
	v_cndmask_b32_e32 v20, 0, v20, vcc_lo
	v_cmp_eq_u32_e32 vcc_lo, 0, v17
	s_delay_alu instid0(VALU_DEP_2) | instskip(SKIP_1) | instid1(VALU_DEP_2)
	v_cndmask_b32_e64 v20, v20, 0x70, vcc_lo
	v_cndmask_b32_e32 v86, v31, v36, vcc_lo
	v_add_nc_u32_e32 v21, 21, v20
	s_delay_alu instid0(VALU_DEP_1) | instskip(SKIP_1) | instid1(VALU_DEP_1)
	v_lshlrev_b64_e64 v[24:25], v21, -1
	v_add_nc_u32_e32 v21, 20, v20
	v_lshlrev_b64_e64 v[98:99], v21, 1
	s_delay_alu instid0(VALU_DEP_3) | instskip(SKIP_2) | instid1(VALU_DEP_1)
	v_bfi_b32 v24, v24, 0, v86
	v_lshrrev_b64 v[86:87], v20, v[86:87]
	v_bfi_b32 v25, v25, 0, 0
	v_cmp_eq_u64_e64 s7, v[24:25], v[98:99]
	s_delay_alu instid0(VALU_DEP_3)
	v_mov_b64_e32 v[98:99], v[86:87]
	s_and_saveexec_b32 s29, s7
; %bb.9298:                             ;   in Loop: Header=BB4_8282 Depth=2
	v_bfe_u32 v24, v86, 21, 1
	v_mov_b32_e32 v25, v37
	s_delay_alu instid0(VALU_DEP_1) | instskip(NEXT) | instid1(VALU_DEP_1)
	v_add_nc_u64_e32 v[24:25], v[86:87], v[24:25]
	v_add_nc_u64_e32 v[98:99], -1, v[24:25]
; %bb.9299:                             ;   in Loop: Header=BB4_8282 Depth=2
	s_or_b32 exec_lo, exec_lo, s29
	v_add_nc_u32_e32 v17, 0xffffff81, v17
	s_delay_alu instid0(VALU_DEP_2) | instskip(SKIP_2) | instid1(VALU_DEP_3)
	v_and_b32_e32 v24, 0x1fffff, v98
	v_lshrrev_b32_e32 v21, 23, v86
	s_mov_b32 s7, exec_lo
	v_cndmask_b32_e64 v17, v17, 0xffffff82, vcc_lo
	s_delay_alu instid0(VALU_DEP_3) | instskip(NEXT) | instid1(VALU_DEP_2)
	v_add_nc_u32_e32 v36, v24, v86
                                        ; implicit-def: $vgpr86_vgpr87
	v_add3_u32 v20, v20, v17, v21
                                        ; implicit-def: $vgpr17
	s_delay_alu instid0(VALU_DEP_1) | instskip(NEXT) | instid1(VALU_DEP_1)
	v_add_nc_u32_e32 v21, 14, v20
	v_cmpx_ne_u32_e32 0, v21
	s_xor_b32 s7, exec_lo, s7
; %bb.9300:                             ;   in Loop: Header=BB4_8282 Depth=2
	v_cmp_lt_u64_e32 vcc_lo, 0xffffff, v[36:37]
	v_add_nc_u32_e32 v17, 15, v20
	v_cndmask_b32_e64 v20, 0, 1, vcc_lo
	s_delay_alu instid0(VALU_DEP_2) | instskip(NEXT) | instid1(VALU_DEP_2)
	v_cndmask_b32_e32 v17, v21, v17, vcc_lo
	v_lshrrev_b64 v[86:87], v20, v[36:37]
; %bb.9301:                             ;   in Loop: Header=BB4_8282 Depth=2
	s_and_not1_saveexec_b32 s7, s7
; %bb.9302:                             ;   in Loop: Header=BB4_8282 Depth=2
	v_mov_b64_e32 v[86:87], v[36:37]
	v_bfe_u32 v17, v36, 23, 1
; %bb.9303:                             ;   in Loop: Header=BB4_8282 Depth=2
	s_or_b32 exec_lo, exec_lo, s7
	s_delay_alu instid0(VALU_DEP_2) | instskip(NEXT) | instid1(VALU_DEP_2)
	v_lshrrev_b64 v[20:21], 21, v[86:87]
	v_cmp_gt_i32_e32 vcc_lo, 32, v17
	v_cmp_ne_u32_e64 s7, 0, v17
                                        ; implicit-def: $vgpr98
	s_delay_alu instid0(VALU_DEP_3) | instskip(NEXT) | instid1(VALU_DEP_1)
	v_dual_cndmask_b32 v87, 0, v21 :: v_dual_cndmask_b32 v86, 3, v20
	v_cmp_ne_u64_e32 vcc_lo, 0, v[86:87]
	s_or_b32 s7, s7, vcc_lo
	s_delay_alu instid0(SALU_CYCLE_1) | instskip(NEXT) | instid1(SALU_CYCLE_1)
	s_and_saveexec_b32 s29, s7
	s_xor_b32 s7, exec_lo, s29
; %bb.9304:                             ;   in Loop: Header=BB4_8282 Depth=2
	v_min_i32_e32 v17, 31, v17
	s_delay_alu instid0(VALU_DEP_1) | instskip(NEXT) | instid1(VALU_DEP_1)
	v_lshl_or_b32 v2, v17, 2, v2
	v_and_or_b32 v98, v86, 3, v2
                                        ; implicit-def: $vgpr2
; %bb.9305:                             ;   in Loop: Header=BB4_8282 Depth=2
	s_and_not1_saveexec_b32 s7, s7
; %bb.9306:                             ;   in Loop: Header=BB4_8282 Depth=2
	v_mov_b32_e32 v98, v2
; %bb.9307:                             ;   in Loop: Header=BB4_8282 Depth=2
	s_or_b32 exec_lo, exec_lo, s7
.LBB4_9308:                             ;   in Loop: Header=BB4_8282 Depth=2
	s_delay_alu instid0(SALU_CYCLE_1)
	s_or_b32 exec_lo, exec_lo, s28
                                        ; implicit-def: $vgpr2
.LBB4_9309:                             ;   in Loop: Header=BB4_8282 Depth=2
	s_and_not1_saveexec_b32 s7, s11
; %bb.9310:                             ;   in Loop: Header=BB4_8282 Depth=2
	v_or_b32_e32 v98, 0x7b, v2
; %bb.9311:                             ;   in Loop: Header=BB4_8282 Depth=2
	s_or_b32 exec_lo, exec_lo, s7
                                        ; implicit-def: $vgpr17
.LBB4_9312:                             ;   in Loop: Header=BB4_8282 Depth=2
	s_and_not1_saveexec_b32 s7, s10
	s_cbranch_execz .LBB4_9318
; %bb.9313:                             ;   in Loop: Header=BB4_8282 Depth=2
	s_mov_b32 s10, exec_lo
                                        ; implicit-def: $vgpr98
	v_cmpx_ne_u64_e32 0, v[36:37]
	s_xor_b32 s10, exec_lo, s10
; %bb.9314:                             ;   in Loop: Header=BB4_8282 Depth=2
	v_lshrrev_b32_e32 v2, 24, v17
                                        ; implicit-def: $vgpr17
	s_delay_alu instid0(VALU_DEP_1)
	v_or_b32_e32 v98, 0x7f, v2
; %bb.9315:                             ;   in Loop: Header=BB4_8282 Depth=2
	s_and_not1_saveexec_b32 s10, s10
; %bb.9316:                             ;   in Loop: Header=BB4_8282 Depth=2
	v_cmp_lt_i32_e32 vcc_lo, -1, v17
	v_cndmask_b32_e64 v98, -4, 0x7c, vcc_lo
; %bb.9317:                             ;   in Loop: Header=BB4_8282 Depth=2
	s_or_b32 exec_lo, exec_lo, s10
.LBB4_9318:                             ;   in Loop: Header=BB4_8282 Depth=2
	s_delay_alu instid0(SALU_CYCLE_1) | instskip(SKIP_3) | instid1(VALU_DEP_2)
	s_or_b32 exec_lo, exec_lo, s7
	v_and_b32_e32 v21, 0xff, v84
	v_dual_mov_b32 v2, 0 :: v_dual_mov_b32 v17, 0
	s_mov_b32 s7, exec_lo
	v_cmpx_ne_u16_e32 0, v21
	s_cbranch_execz .LBB4_9328
; %bb.9319:                             ;   in Loop: Header=BB4_8282 Depth=2
	v_bfrev_b32_e32 v17, 1
	s_mov_b32 s10, exec_lo
	v_cmpx_ne_u16_e32 0x80, v21
	s_cbranch_execz .LBB4_9327
; %bb.9320:                             ;   in Loop: Header=BB4_8282 Depth=2
	v_and_b32_e32 v17, 0x7c, v84
	v_and_b32_e32 v20, 3, v84
	s_delay_alu instid0(VALU_DEP_2) | instskip(SKIP_1) | instid1(SALU_CYCLE_1)
	v_cmp_ne_u32_e32 vcc_lo, 0x7c, v17
                                        ; implicit-def: $vgpr17
	s_and_saveexec_b32 s11, vcc_lo
	s_xor_b32 s11, exec_lo, s11
	s_cbranch_execz .LBB4_9324
; %bb.9321:                             ;   in Loop: Header=BB4_8282 Depth=2
	v_bfe_u32 v17, v21, 2, 5
	s_mov_b32 s28, exec_lo
	s_delay_alu instid0(VALU_DEP_1)
	v_cmpx_eq_u32_e32 0, v17
	s_cbranch_execz .LBB4_9323
; %bb.9322:                             ;   in Loop: Header=BB4_8282 Depth=2
	v_clz_i32_u32_e32 v17, v20
	s_delay_alu instid0(VALU_DEP_1) | instskip(SKIP_1) | instid1(VALU_DEP_2)
	v_min_u32_e32 v17, 32, v17
	v_mov_b32_e32 v85, v37
	v_subrev_nc_u32_e32 v20, 29, v17
	v_sub_nc_u32_e32 v17, 30, v17
	s_delay_alu instid0(VALU_DEP_2) | instskip(NEXT) | instid1(VALU_DEP_1)
	v_lshlrev_b64_e32 v[20:21], v20, v[84:85]
	v_and_b32_e32 v20, 3, v20
.LBB4_9323:                             ;   in Loop: Header=BB4_8282 Depth=2
	s_or_b32 exec_lo, exec_lo, s28
	v_lshlrev_b32_e32 v21, 24, v84
                                        ; implicit-def: $vgpr84
	s_delay_alu instid0(VALU_DEP_1) | instskip(NEXT) | instid1(VALU_DEP_1)
	v_and_b32_e32 v21, 0x80000000, v21
	v_lshl_add_u32 v17, v17, 23, v21
	s_delay_alu instid0(VALU_DEP_1) | instskip(NEXT) | instid1(VALU_DEP_1)
	v_lshl_or_b32 v17, v20, 21, v17
                                        ; implicit-def: $vgpr20
	v_add_nc_u32_e32 v17, 0x38000000, v17
.LBB4_9324:                             ;   in Loop: Header=BB4_8282 Depth=2
	s_and_not1_saveexec_b32 s11, s11
; %bb.9325:                             ;   in Loop: Header=BB4_8282 Depth=2
	v_bfe_i32 v17, v84, 0, 8
	s_delay_alu instid0(VALU_DEP_1) | instskip(SKIP_2) | instid1(VALU_DEP_2)
	v_cmp_lt_i16_e32 vcc_lo, -1, v17
	v_cndmask_b32_e32 v17, 0xff800000, v109, vcc_lo
	v_cmp_eq_u32_e32 vcc_lo, 0, v20
	v_cndmask_b32_e32 v17, 0x7f800001, v17, vcc_lo
; %bb.9326:                             ;   in Loop: Header=BB4_8282 Depth=2
	s_or_b32 exec_lo, exec_lo, s11
.LBB4_9327:                             ;   in Loop: Header=BB4_8282 Depth=2
	s_delay_alu instid0(SALU_CYCLE_1)
	s_or_b32 exec_lo, exec_lo, s10
.LBB4_9328:                             ;   in Loop: Header=BB4_8282 Depth=2
	s_delay_alu instid0(SALU_CYCLE_1) | instskip(NEXT) | instid1(SALU_CYCLE_1)
	s_or_b32 exec_lo, exec_lo, s7
	s_mov_b32 s7, exec_lo
	s_wait_loadcnt_dscnt 0x404
	v_cmpx_ne_u16_e32 0, v58
	s_cbranch_execz .LBB4_9338
; %bb.9329:                             ;   in Loop: Header=BB4_8282 Depth=2
	v_bfrev_b32_e32 v2, 1
	s_mov_b32 s10, exec_lo
	v_cmpx_ne_u16_e32 0xff80, v58
	s_cbranch_execz .LBB4_9337
; %bb.9330:                             ;   in Loop: Header=BB4_8282 Depth=2
	v_and_b32_e32 v2, 0x7c, v58
	v_and_b32_e32 v20, 3, v58
	s_delay_alu instid0(VALU_DEP_2) | instskip(SKIP_1) | instid1(SALU_CYCLE_1)
	v_cmp_ne_u32_e32 vcc_lo, 0x7c, v2
                                        ; implicit-def: $vgpr2
	s_and_saveexec_b32 s11, vcc_lo
	s_xor_b32 s11, exec_lo, s11
	s_cbranch_execz .LBB4_9334
; %bb.9331:                             ;   in Loop: Header=BB4_8282 Depth=2
	v_and_b32_e32 v2, 0xff, v58
	s_mov_b32 s28, exec_lo
	s_delay_alu instid0(VALU_DEP_1) | instskip(NEXT) | instid1(VALU_DEP_1)
	v_bfe_u32 v2, v2, 2, 5
	v_cmpx_eq_u32_e32 0, v2
	s_cbranch_execz .LBB4_9333
; %bb.9332:                             ;   in Loop: Header=BB4_8282 Depth=2
	v_clz_i32_u32_e32 v2, v20
	s_delay_alu instid0(VALU_DEP_1) | instskip(SKIP_1) | instid1(VALU_DEP_2)
	v_min_u32_e32 v2, 32, v2
	v_mov_b32_e32 v59, v37
	v_subrev_nc_u32_e32 v20, 29, v2
	v_sub_nc_u32_e32 v2, 30, v2
	s_delay_alu instid0(VALU_DEP_2) | instskip(NEXT) | instid1(VALU_DEP_1)
	v_lshlrev_b64_e32 v[20:21], v20, v[58:59]
	v_and_b32_e32 v20, 3, v20
.LBB4_9333:                             ;   in Loop: Header=BB4_8282 Depth=2
	s_or_b32 exec_lo, exec_lo, s28
	v_bfe_i32 v21, v58, 0, 16
                                        ; implicit-def: $vgpr58
	s_delay_alu instid0(VALU_DEP_1) | instskip(NEXT) | instid1(VALU_DEP_1)
	v_and_b32_e32 v21, 0x80000000, v21
	v_lshl_add_u32 v2, v2, 23, v21
	s_delay_alu instid0(VALU_DEP_1) | instskip(NEXT) | instid1(VALU_DEP_1)
	v_lshl_or_b32 v2, v20, 21, v2
                                        ; implicit-def: $vgpr20
	v_add_nc_u32_e32 v2, 0x38000000, v2
.LBB4_9334:                             ;   in Loop: Header=BB4_8282 Depth=2
	s_and_not1_saveexec_b32 s11, s11
; %bb.9335:                             ;   in Loop: Header=BB4_8282 Depth=2
	v_cmp_lt_i16_e32 vcc_lo, -1, v58
	v_cndmask_b32_e32 v2, 0xff800000, v109, vcc_lo
	v_cmp_eq_u32_e32 vcc_lo, 0, v20
	s_delay_alu instid0(VALU_DEP_2)
	v_cndmask_b32_e32 v2, 0x7f800001, v2, vcc_lo
; %bb.9336:                             ;   in Loop: Header=BB4_8282 Depth=2
	s_or_b32 exec_lo, exec_lo, s11
.LBB4_9337:                             ;   in Loop: Header=BB4_8282 Depth=2
	s_delay_alu instid0(SALU_CYCLE_1)
	s_or_b32 exec_lo, exec_lo, s10
.LBB4_9338:                             ;   in Loop: Header=BB4_8282 Depth=2
	s_delay_alu instid0(SALU_CYCLE_1) | instskip(NEXT) | instid1(VALU_DEP_1)
	s_or_b32 exec_lo, exec_lo, s7
	v_add_f32_e32 v17, v17, v2
	v_mov_b32_e32 v21, v37
                                        ; implicit-def: $vgpr86
	s_mov_b32 s7, exec_lo
	s_delay_alu instid0(VALU_DEP_2) | instskip(SKIP_1) | instid1(VALU_DEP_2)
	v_and_b32_e32 v20, 0x7f800000, v17
	v_and_b32_e32 v36, 0x7fffff, v17
	v_cmpx_ne_u64_e32 0x7f800000, v[20:21]
	s_xor_b32 s10, exec_lo, s7
	s_cbranch_execz .LBB4_9356
; %bb.9339:                             ;   in Loop: Header=BB4_8282 Depth=2
	v_dual_mov_b32 v21, v37 :: v_dual_lshrrev_b32 v2, 24, v17
	v_and_b32_e32 v20, 0x7fffffff, v17
                                        ; implicit-def: $vgpr86
	s_mov_b32 s7, exec_lo
	s_delay_alu instid0(VALU_DEP_2) | instskip(NEXT) | instid1(VALU_DEP_2)
	v_and_b32_e32 v2, 0x80, v2
	v_cmpx_gt_u64_e32 0x47600001, v[20:21]
	s_xor_b32 s11, exec_lo, s7
	s_cbranch_execz .LBB4_9353
; %bb.9340:                             ;   in Loop: Header=BB4_8282 Depth=2
	v_mov_b32_e32 v86, 0
	s_mov_b32 s28, exec_lo
	v_cmpx_ne_u32_e32 0, v17
	s_cbranch_execz .LBB4_9352
; %bb.9341:                             ;   in Loop: Header=BB4_8282 Depth=2
	v_bfe_u32 v17, v17, 23, 8
	v_or_b32_e32 v31, 0x800000, v36
	s_delay_alu instid0(VALU_DEP_2) | instskip(SKIP_1) | instid1(VALU_DEP_2)
	v_dual_mov_b32 v85, v37 :: v_dual_sub_nc_u32 v20, 0x71, v17
	v_cmp_gt_u32_e32 vcc_lo, 0x72, v17
	v_cndmask_b32_e32 v20, 0, v20, vcc_lo
	v_cmp_eq_u32_e32 vcc_lo, 0, v17
	s_delay_alu instid0(VALU_DEP_2) | instskip(SKIP_1) | instid1(VALU_DEP_2)
	v_cndmask_b32_e64 v20, v20, 0x70, vcc_lo
	v_cndmask_b32_e32 v84, v31, v36, vcc_lo
	v_add_nc_u32_e32 v21, 21, v20
	s_delay_alu instid0(VALU_DEP_1) | instskip(SKIP_1) | instid1(VALU_DEP_1)
	v_lshlrev_b64_e64 v[24:25], v21, -1
	v_add_nc_u32_e32 v21, 20, v20
	v_lshlrev_b64_e64 v[86:87], v21, 1
	s_delay_alu instid0(VALU_DEP_3) | instskip(SKIP_2) | instid1(VALU_DEP_1)
	v_bfi_b32 v24, v24, 0, v84
	v_lshrrev_b64 v[84:85], v20, v[84:85]
	v_bfi_b32 v25, v25, 0, 0
	v_cmp_eq_u64_e64 s7, v[24:25], v[86:87]
	s_delay_alu instid0(VALU_DEP_3)
	v_mov_b64_e32 v[86:87], v[84:85]
	s_and_saveexec_b32 s29, s7
; %bb.9342:                             ;   in Loop: Header=BB4_8282 Depth=2
	v_bfe_u32 v24, v84, 21, 1
	v_mov_b32_e32 v25, v37
	s_delay_alu instid0(VALU_DEP_1) | instskip(NEXT) | instid1(VALU_DEP_1)
	v_add_nc_u64_e32 v[24:25], v[84:85], v[24:25]
	v_add_nc_u64_e32 v[86:87], -1, v[24:25]
; %bb.9343:                             ;   in Loop: Header=BB4_8282 Depth=2
	s_or_b32 exec_lo, exec_lo, s29
	v_add_nc_u32_e32 v17, 0xffffff81, v17
	s_delay_alu instid0(VALU_DEP_2) | instskip(SKIP_2) | instid1(VALU_DEP_3)
	v_and_b32_e32 v24, 0x1fffff, v86
	v_lshrrev_b32_e32 v21, 23, v84
	s_mov_b32 s7, exec_lo
	v_cndmask_b32_e64 v17, v17, 0xffffff82, vcc_lo
	s_delay_alu instid0(VALU_DEP_3) | instskip(NEXT) | instid1(VALU_DEP_2)
	v_add_nc_u32_e32 v36, v24, v84
                                        ; implicit-def: $vgpr84_vgpr85
	v_add3_u32 v20, v20, v17, v21
                                        ; implicit-def: $vgpr17
	s_delay_alu instid0(VALU_DEP_1) | instskip(NEXT) | instid1(VALU_DEP_1)
	v_add_nc_u32_e32 v21, 14, v20
	v_cmpx_ne_u32_e32 0, v21
	s_xor_b32 s7, exec_lo, s7
; %bb.9344:                             ;   in Loop: Header=BB4_8282 Depth=2
	v_cmp_lt_u64_e32 vcc_lo, 0xffffff, v[36:37]
	v_add_nc_u32_e32 v17, 15, v20
	v_cndmask_b32_e64 v20, 0, 1, vcc_lo
	s_delay_alu instid0(VALU_DEP_2) | instskip(NEXT) | instid1(VALU_DEP_2)
	v_cndmask_b32_e32 v17, v21, v17, vcc_lo
	v_lshrrev_b64 v[84:85], v20, v[36:37]
; %bb.9345:                             ;   in Loop: Header=BB4_8282 Depth=2
	s_and_not1_saveexec_b32 s7, s7
; %bb.9346:                             ;   in Loop: Header=BB4_8282 Depth=2
	v_mov_b64_e32 v[84:85], v[36:37]
	v_bfe_u32 v17, v36, 23, 1
; %bb.9347:                             ;   in Loop: Header=BB4_8282 Depth=2
	s_or_b32 exec_lo, exec_lo, s7
	s_delay_alu instid0(VALU_DEP_2) | instskip(NEXT) | instid1(VALU_DEP_2)
	v_lshrrev_b64 v[20:21], 21, v[84:85]
	v_cmp_gt_i32_e32 vcc_lo, 32, v17
	v_cmp_ne_u32_e64 s7, 0, v17
                                        ; implicit-def: $vgpr86
	s_delay_alu instid0(VALU_DEP_3) | instskip(NEXT) | instid1(VALU_DEP_1)
	v_dual_cndmask_b32 v85, 0, v21 :: v_dual_cndmask_b32 v84, 3, v20
	v_cmp_ne_u64_e32 vcc_lo, 0, v[84:85]
	s_or_b32 s7, s7, vcc_lo
	s_delay_alu instid0(SALU_CYCLE_1) | instskip(NEXT) | instid1(SALU_CYCLE_1)
	s_and_saveexec_b32 s29, s7
	s_xor_b32 s7, exec_lo, s29
; %bb.9348:                             ;   in Loop: Header=BB4_8282 Depth=2
	v_min_i32_e32 v17, 31, v17
	s_delay_alu instid0(VALU_DEP_1) | instskip(NEXT) | instid1(VALU_DEP_1)
	v_lshl_or_b32 v2, v17, 2, v2
	v_and_or_b32 v86, v84, 3, v2
                                        ; implicit-def: $vgpr2
; %bb.9349:                             ;   in Loop: Header=BB4_8282 Depth=2
	s_and_not1_saveexec_b32 s7, s7
; %bb.9350:                             ;   in Loop: Header=BB4_8282 Depth=2
	v_mov_b32_e32 v86, v2
; %bb.9351:                             ;   in Loop: Header=BB4_8282 Depth=2
	s_or_b32 exec_lo, exec_lo, s7
.LBB4_9352:                             ;   in Loop: Header=BB4_8282 Depth=2
	s_delay_alu instid0(SALU_CYCLE_1)
	s_or_b32 exec_lo, exec_lo, s28
                                        ; implicit-def: $vgpr2
.LBB4_9353:                             ;   in Loop: Header=BB4_8282 Depth=2
	s_and_not1_saveexec_b32 s7, s11
; %bb.9354:                             ;   in Loop: Header=BB4_8282 Depth=2
	v_or_b32_e32 v86, 0x7b, v2
; %bb.9355:                             ;   in Loop: Header=BB4_8282 Depth=2
	s_or_b32 exec_lo, exec_lo, s7
                                        ; implicit-def: $vgpr17
.LBB4_9356:                             ;   in Loop: Header=BB4_8282 Depth=2
	s_and_not1_saveexec_b32 s7, s10
	s_cbranch_execz .LBB4_9362
; %bb.9357:                             ;   in Loop: Header=BB4_8282 Depth=2
	s_mov_b32 s10, exec_lo
                                        ; implicit-def: $vgpr86
	v_cmpx_ne_u64_e32 0, v[36:37]
	s_xor_b32 s10, exec_lo, s10
; %bb.9358:                             ;   in Loop: Header=BB4_8282 Depth=2
	v_lshrrev_b32_e32 v2, 24, v17
                                        ; implicit-def: $vgpr17
	s_delay_alu instid0(VALU_DEP_1)
	v_or_b32_e32 v86, 0x7f, v2
; %bb.9359:                             ;   in Loop: Header=BB4_8282 Depth=2
	s_and_not1_saveexec_b32 s10, s10
; %bb.9360:                             ;   in Loop: Header=BB4_8282 Depth=2
	v_cmp_lt_i32_e32 vcc_lo, -1, v17
	v_cndmask_b32_e64 v86, -4, 0x7c, vcc_lo
; %bb.9361:                             ;   in Loop: Header=BB4_8282 Depth=2
	s_or_b32 exec_lo, exec_lo, s10
.LBB4_9362:                             ;   in Loop: Header=BB4_8282 Depth=2
	s_delay_alu instid0(SALU_CYCLE_1) | instskip(SKIP_3) | instid1(VALU_DEP_2)
	s_or_b32 exec_lo, exec_lo, s7
	v_and_b32_e32 v21, 0xff, v82
	v_dual_mov_b32 v2, 0 :: v_dual_mov_b32 v17, 0
	s_mov_b32 s7, exec_lo
	v_cmpx_ne_u16_e32 0, v21
	s_cbranch_execz .LBB4_9372
; %bb.9363:                             ;   in Loop: Header=BB4_8282 Depth=2
	v_bfrev_b32_e32 v17, 1
	s_mov_b32 s10, exec_lo
	v_cmpx_ne_u16_e32 0x80, v21
	s_cbranch_execz .LBB4_9371
; %bb.9364:                             ;   in Loop: Header=BB4_8282 Depth=2
	v_and_b32_e32 v17, 0x7c, v82
	v_and_b32_e32 v20, 3, v82
	s_delay_alu instid0(VALU_DEP_2) | instskip(SKIP_1) | instid1(SALU_CYCLE_1)
	v_cmp_ne_u32_e32 vcc_lo, 0x7c, v17
                                        ; implicit-def: $vgpr17
	s_and_saveexec_b32 s11, vcc_lo
	s_xor_b32 s11, exec_lo, s11
	s_cbranch_execz .LBB4_9368
; %bb.9365:                             ;   in Loop: Header=BB4_8282 Depth=2
	v_bfe_u32 v17, v21, 2, 5
	s_mov_b32 s28, exec_lo
	s_delay_alu instid0(VALU_DEP_1)
	v_cmpx_eq_u32_e32 0, v17
	s_cbranch_execz .LBB4_9367
; %bb.9366:                             ;   in Loop: Header=BB4_8282 Depth=2
	v_clz_i32_u32_e32 v17, v20
	s_delay_alu instid0(VALU_DEP_1) | instskip(SKIP_1) | instid1(VALU_DEP_2)
	v_min_u32_e32 v17, 32, v17
	v_mov_b32_e32 v83, v37
	v_subrev_nc_u32_e32 v20, 29, v17
	v_sub_nc_u32_e32 v17, 30, v17
	s_delay_alu instid0(VALU_DEP_2) | instskip(NEXT) | instid1(VALU_DEP_1)
	v_lshlrev_b64_e32 v[20:21], v20, v[82:83]
	v_and_b32_e32 v20, 3, v20
.LBB4_9367:                             ;   in Loop: Header=BB4_8282 Depth=2
	s_or_b32 exec_lo, exec_lo, s28
	v_lshlrev_b32_e32 v21, 24, v82
                                        ; implicit-def: $vgpr82
	s_delay_alu instid0(VALU_DEP_1) | instskip(NEXT) | instid1(VALU_DEP_1)
	v_and_b32_e32 v21, 0x80000000, v21
	v_lshl_add_u32 v17, v17, 23, v21
	s_delay_alu instid0(VALU_DEP_1) | instskip(NEXT) | instid1(VALU_DEP_1)
	v_lshl_or_b32 v17, v20, 21, v17
                                        ; implicit-def: $vgpr20
	v_add_nc_u32_e32 v17, 0x38000000, v17
.LBB4_9368:                             ;   in Loop: Header=BB4_8282 Depth=2
	s_and_not1_saveexec_b32 s11, s11
; %bb.9369:                             ;   in Loop: Header=BB4_8282 Depth=2
	v_bfe_i32 v17, v82, 0, 8
	s_delay_alu instid0(VALU_DEP_1) | instskip(SKIP_2) | instid1(VALU_DEP_2)
	v_cmp_lt_i16_e32 vcc_lo, -1, v17
	v_cndmask_b32_e32 v17, 0xff800000, v109, vcc_lo
	v_cmp_eq_u32_e32 vcc_lo, 0, v20
	v_cndmask_b32_e32 v17, 0x7f800001, v17, vcc_lo
; %bb.9370:                             ;   in Loop: Header=BB4_8282 Depth=2
	s_or_b32 exec_lo, exec_lo, s11
.LBB4_9371:                             ;   in Loop: Header=BB4_8282 Depth=2
	s_delay_alu instid0(SALU_CYCLE_1)
	s_or_b32 exec_lo, exec_lo, s10
.LBB4_9372:                             ;   in Loop: Header=BB4_8282 Depth=2
	s_delay_alu instid0(SALU_CYCLE_1) | instskip(NEXT) | instid1(SALU_CYCLE_1)
	s_or_b32 exec_lo, exec_lo, s7
	s_mov_b32 s7, exec_lo
	s_wait_loadcnt_dscnt 0x303
	v_cmpx_ne_u16_e32 0, v46
	s_cbranch_execz .LBB4_9382
; %bb.9373:                             ;   in Loop: Header=BB4_8282 Depth=2
	v_bfrev_b32_e32 v2, 1
	s_mov_b32 s10, exec_lo
	v_cmpx_ne_u16_e32 0xff80, v46
	s_cbranch_execz .LBB4_9381
; %bb.9374:                             ;   in Loop: Header=BB4_8282 Depth=2
	v_and_b32_e32 v2, 0x7c, v46
	v_and_b32_e32 v20, 3, v46
	s_delay_alu instid0(VALU_DEP_2) | instskip(SKIP_1) | instid1(SALU_CYCLE_1)
	v_cmp_ne_u32_e32 vcc_lo, 0x7c, v2
                                        ; implicit-def: $vgpr2
	s_and_saveexec_b32 s11, vcc_lo
	s_xor_b32 s11, exec_lo, s11
	s_cbranch_execz .LBB4_9378
; %bb.9375:                             ;   in Loop: Header=BB4_8282 Depth=2
	v_and_b32_e32 v2, 0xff, v46
	s_mov_b32 s28, exec_lo
	s_delay_alu instid0(VALU_DEP_1) | instskip(NEXT) | instid1(VALU_DEP_1)
	v_bfe_u32 v2, v2, 2, 5
	v_cmpx_eq_u32_e32 0, v2
	s_cbranch_execz .LBB4_9377
; %bb.9376:                             ;   in Loop: Header=BB4_8282 Depth=2
	v_clz_i32_u32_e32 v2, v20
	s_delay_alu instid0(VALU_DEP_1) | instskip(SKIP_1) | instid1(VALU_DEP_2)
	v_min_u32_e32 v2, 32, v2
	v_mov_b32_e32 v47, v37
	v_subrev_nc_u32_e32 v20, 29, v2
	v_sub_nc_u32_e32 v2, 30, v2
	s_delay_alu instid0(VALU_DEP_2) | instskip(NEXT) | instid1(VALU_DEP_1)
	v_lshlrev_b64_e32 v[20:21], v20, v[46:47]
	v_and_b32_e32 v20, 3, v20
.LBB4_9377:                             ;   in Loop: Header=BB4_8282 Depth=2
	s_or_b32 exec_lo, exec_lo, s28
	v_bfe_i32 v21, v46, 0, 16
                                        ; implicit-def: $vgpr46
	s_delay_alu instid0(VALU_DEP_1) | instskip(NEXT) | instid1(VALU_DEP_1)
	v_and_b32_e32 v21, 0x80000000, v21
	v_lshl_add_u32 v2, v2, 23, v21
	s_delay_alu instid0(VALU_DEP_1) | instskip(NEXT) | instid1(VALU_DEP_1)
	v_lshl_or_b32 v2, v20, 21, v2
                                        ; implicit-def: $vgpr20
	v_add_nc_u32_e32 v2, 0x38000000, v2
.LBB4_9378:                             ;   in Loop: Header=BB4_8282 Depth=2
	s_and_not1_saveexec_b32 s11, s11
; %bb.9379:                             ;   in Loop: Header=BB4_8282 Depth=2
	v_cmp_lt_i16_e32 vcc_lo, -1, v46
	v_cndmask_b32_e32 v2, 0xff800000, v109, vcc_lo
	v_cmp_eq_u32_e32 vcc_lo, 0, v20
	s_delay_alu instid0(VALU_DEP_2)
	v_cndmask_b32_e32 v2, 0x7f800001, v2, vcc_lo
; %bb.9380:                             ;   in Loop: Header=BB4_8282 Depth=2
	s_or_b32 exec_lo, exec_lo, s11
.LBB4_9381:                             ;   in Loop: Header=BB4_8282 Depth=2
	s_delay_alu instid0(SALU_CYCLE_1)
	s_or_b32 exec_lo, exec_lo, s10
.LBB4_9382:                             ;   in Loop: Header=BB4_8282 Depth=2
	s_delay_alu instid0(SALU_CYCLE_1) | instskip(NEXT) | instid1(VALU_DEP_1)
	s_or_b32 exec_lo, exec_lo, s7
	v_add_f32_e32 v17, v17, v2
	v_mov_b32_e32 v21, v37
                                        ; implicit-def: $vgpr84
	s_mov_b32 s7, exec_lo
	s_delay_alu instid0(VALU_DEP_2) | instskip(SKIP_1) | instid1(VALU_DEP_2)
	v_and_b32_e32 v20, 0x7f800000, v17
	v_and_b32_e32 v36, 0x7fffff, v17
	v_cmpx_ne_u64_e32 0x7f800000, v[20:21]
	s_xor_b32 s10, exec_lo, s7
	s_cbranch_execz .LBB4_9400
; %bb.9383:                             ;   in Loop: Header=BB4_8282 Depth=2
	v_dual_mov_b32 v21, v37 :: v_dual_lshrrev_b32 v2, 24, v17
	v_and_b32_e32 v20, 0x7fffffff, v17
                                        ; implicit-def: $vgpr84
	s_mov_b32 s7, exec_lo
	s_delay_alu instid0(VALU_DEP_2) | instskip(NEXT) | instid1(VALU_DEP_2)
	v_and_b32_e32 v2, 0x80, v2
	v_cmpx_gt_u64_e32 0x47600001, v[20:21]
	s_xor_b32 s11, exec_lo, s7
	s_cbranch_execz .LBB4_9397
; %bb.9384:                             ;   in Loop: Header=BB4_8282 Depth=2
	v_mov_b32_e32 v84, 0
	s_mov_b32 s28, exec_lo
	v_cmpx_ne_u32_e32 0, v17
	s_cbranch_execz .LBB4_9396
; %bb.9385:                             ;   in Loop: Header=BB4_8282 Depth=2
	v_bfe_u32 v17, v17, 23, 8
	v_or_b32_e32 v31, 0x800000, v36
	s_delay_alu instid0(VALU_DEP_2) | instskip(SKIP_1) | instid1(VALU_DEP_2)
	v_dual_mov_b32 v83, v37 :: v_dual_sub_nc_u32 v20, 0x71, v17
	v_cmp_gt_u32_e32 vcc_lo, 0x72, v17
	v_cndmask_b32_e32 v20, 0, v20, vcc_lo
	v_cmp_eq_u32_e32 vcc_lo, 0, v17
	s_delay_alu instid0(VALU_DEP_2) | instskip(SKIP_1) | instid1(VALU_DEP_2)
	v_cndmask_b32_e64 v20, v20, 0x70, vcc_lo
	v_cndmask_b32_e32 v82, v31, v36, vcc_lo
	v_add_nc_u32_e32 v21, 21, v20
	s_delay_alu instid0(VALU_DEP_1) | instskip(SKIP_1) | instid1(VALU_DEP_1)
	v_lshlrev_b64_e64 v[24:25], v21, -1
	v_add_nc_u32_e32 v21, 20, v20
	v_lshlrev_b64_e64 v[84:85], v21, 1
	s_delay_alu instid0(VALU_DEP_3) | instskip(SKIP_2) | instid1(VALU_DEP_1)
	v_bfi_b32 v24, v24, 0, v82
	v_lshrrev_b64 v[82:83], v20, v[82:83]
	v_bfi_b32 v25, v25, 0, 0
	v_cmp_eq_u64_e64 s7, v[24:25], v[84:85]
	s_delay_alu instid0(VALU_DEP_3)
	v_mov_b64_e32 v[84:85], v[82:83]
	s_and_saveexec_b32 s29, s7
; %bb.9386:                             ;   in Loop: Header=BB4_8282 Depth=2
	v_bfe_u32 v24, v82, 21, 1
	v_mov_b32_e32 v25, v37
	s_delay_alu instid0(VALU_DEP_1) | instskip(NEXT) | instid1(VALU_DEP_1)
	v_add_nc_u64_e32 v[24:25], v[82:83], v[24:25]
	v_add_nc_u64_e32 v[84:85], -1, v[24:25]
; %bb.9387:                             ;   in Loop: Header=BB4_8282 Depth=2
	s_or_b32 exec_lo, exec_lo, s29
	v_add_nc_u32_e32 v17, 0xffffff81, v17
	s_delay_alu instid0(VALU_DEP_2) | instskip(SKIP_2) | instid1(VALU_DEP_3)
	v_and_b32_e32 v24, 0x1fffff, v84
	v_lshrrev_b32_e32 v21, 23, v82
	s_mov_b32 s7, exec_lo
	v_cndmask_b32_e64 v17, v17, 0xffffff82, vcc_lo
	s_delay_alu instid0(VALU_DEP_3) | instskip(NEXT) | instid1(VALU_DEP_2)
	v_add_nc_u32_e32 v36, v24, v82
                                        ; implicit-def: $vgpr82_vgpr83
	v_add3_u32 v20, v20, v17, v21
                                        ; implicit-def: $vgpr17
	s_delay_alu instid0(VALU_DEP_1) | instskip(NEXT) | instid1(VALU_DEP_1)
	v_add_nc_u32_e32 v21, 14, v20
	v_cmpx_ne_u32_e32 0, v21
	s_xor_b32 s7, exec_lo, s7
; %bb.9388:                             ;   in Loop: Header=BB4_8282 Depth=2
	v_cmp_lt_u64_e32 vcc_lo, 0xffffff, v[36:37]
	v_add_nc_u32_e32 v17, 15, v20
	v_cndmask_b32_e64 v20, 0, 1, vcc_lo
	s_delay_alu instid0(VALU_DEP_2) | instskip(NEXT) | instid1(VALU_DEP_2)
	v_cndmask_b32_e32 v17, v21, v17, vcc_lo
	v_lshrrev_b64 v[82:83], v20, v[36:37]
; %bb.9389:                             ;   in Loop: Header=BB4_8282 Depth=2
	s_and_not1_saveexec_b32 s7, s7
; %bb.9390:                             ;   in Loop: Header=BB4_8282 Depth=2
	v_mov_b64_e32 v[82:83], v[36:37]
	v_bfe_u32 v17, v36, 23, 1
; %bb.9391:                             ;   in Loop: Header=BB4_8282 Depth=2
	s_or_b32 exec_lo, exec_lo, s7
	s_delay_alu instid0(VALU_DEP_2) | instskip(NEXT) | instid1(VALU_DEP_2)
	v_lshrrev_b64 v[20:21], 21, v[82:83]
	v_cmp_gt_i32_e32 vcc_lo, 32, v17
	v_cmp_ne_u32_e64 s7, 0, v17
                                        ; implicit-def: $vgpr84
	s_delay_alu instid0(VALU_DEP_3) | instskip(NEXT) | instid1(VALU_DEP_1)
	v_dual_cndmask_b32 v83, 0, v21 :: v_dual_cndmask_b32 v82, 3, v20
	v_cmp_ne_u64_e32 vcc_lo, 0, v[82:83]
	s_or_b32 s7, s7, vcc_lo
	s_delay_alu instid0(SALU_CYCLE_1) | instskip(NEXT) | instid1(SALU_CYCLE_1)
	s_and_saveexec_b32 s29, s7
	s_xor_b32 s7, exec_lo, s29
; %bb.9392:                             ;   in Loop: Header=BB4_8282 Depth=2
	v_min_i32_e32 v17, 31, v17
	s_delay_alu instid0(VALU_DEP_1) | instskip(NEXT) | instid1(VALU_DEP_1)
	v_lshl_or_b32 v2, v17, 2, v2
	v_and_or_b32 v84, v82, 3, v2
                                        ; implicit-def: $vgpr2
; %bb.9393:                             ;   in Loop: Header=BB4_8282 Depth=2
	s_and_not1_saveexec_b32 s7, s7
; %bb.9394:                             ;   in Loop: Header=BB4_8282 Depth=2
	v_mov_b32_e32 v84, v2
; %bb.9395:                             ;   in Loop: Header=BB4_8282 Depth=2
	s_or_b32 exec_lo, exec_lo, s7
.LBB4_9396:                             ;   in Loop: Header=BB4_8282 Depth=2
	s_delay_alu instid0(SALU_CYCLE_1)
	s_or_b32 exec_lo, exec_lo, s28
                                        ; implicit-def: $vgpr2
.LBB4_9397:                             ;   in Loop: Header=BB4_8282 Depth=2
	s_and_not1_saveexec_b32 s7, s11
; %bb.9398:                             ;   in Loop: Header=BB4_8282 Depth=2
	v_or_b32_e32 v84, 0x7b, v2
; %bb.9399:                             ;   in Loop: Header=BB4_8282 Depth=2
	s_or_b32 exec_lo, exec_lo, s7
                                        ; implicit-def: $vgpr17
.LBB4_9400:                             ;   in Loop: Header=BB4_8282 Depth=2
	s_and_not1_saveexec_b32 s7, s10
	s_cbranch_execz .LBB4_9406
; %bb.9401:                             ;   in Loop: Header=BB4_8282 Depth=2
	s_mov_b32 s10, exec_lo
                                        ; implicit-def: $vgpr84
	v_cmpx_ne_u64_e32 0, v[36:37]
	s_xor_b32 s10, exec_lo, s10
; %bb.9402:                             ;   in Loop: Header=BB4_8282 Depth=2
	v_lshrrev_b32_e32 v2, 24, v17
                                        ; implicit-def: $vgpr17
	s_delay_alu instid0(VALU_DEP_1)
	v_or_b32_e32 v84, 0x7f, v2
; %bb.9403:                             ;   in Loop: Header=BB4_8282 Depth=2
	s_and_not1_saveexec_b32 s10, s10
; %bb.9404:                             ;   in Loop: Header=BB4_8282 Depth=2
	v_cmp_lt_i32_e32 vcc_lo, -1, v17
	v_cndmask_b32_e64 v84, -4, 0x7c, vcc_lo
; %bb.9405:                             ;   in Loop: Header=BB4_8282 Depth=2
	s_or_b32 exec_lo, exec_lo, s10
.LBB4_9406:                             ;   in Loop: Header=BB4_8282 Depth=2
	s_delay_alu instid0(SALU_CYCLE_1) | instskip(SKIP_3) | instid1(VALU_DEP_2)
	s_or_b32 exec_lo, exec_lo, s7
	v_and_b32_e32 v21, 0xff, v80
	v_dual_mov_b32 v2, 0 :: v_dual_mov_b32 v17, 0
	s_mov_b32 s7, exec_lo
	v_cmpx_ne_u16_e32 0, v21
	s_cbranch_execz .LBB4_9416
; %bb.9407:                             ;   in Loop: Header=BB4_8282 Depth=2
	v_bfrev_b32_e32 v17, 1
	s_mov_b32 s10, exec_lo
	v_cmpx_ne_u16_e32 0x80, v21
	s_cbranch_execz .LBB4_9415
; %bb.9408:                             ;   in Loop: Header=BB4_8282 Depth=2
	v_and_b32_e32 v17, 0x7c, v80
	v_and_b32_e32 v20, 3, v80
	s_delay_alu instid0(VALU_DEP_2) | instskip(SKIP_1) | instid1(SALU_CYCLE_1)
	v_cmp_ne_u32_e32 vcc_lo, 0x7c, v17
                                        ; implicit-def: $vgpr17
	s_and_saveexec_b32 s11, vcc_lo
	s_xor_b32 s11, exec_lo, s11
	s_cbranch_execz .LBB4_9412
; %bb.9409:                             ;   in Loop: Header=BB4_8282 Depth=2
	v_bfe_u32 v17, v21, 2, 5
	s_mov_b32 s28, exec_lo
	s_delay_alu instid0(VALU_DEP_1)
	v_cmpx_eq_u32_e32 0, v17
	s_cbranch_execz .LBB4_9411
; %bb.9410:                             ;   in Loop: Header=BB4_8282 Depth=2
	v_clz_i32_u32_e32 v17, v20
	s_delay_alu instid0(VALU_DEP_1) | instskip(SKIP_1) | instid1(VALU_DEP_2)
	v_min_u32_e32 v17, 32, v17
	v_mov_b32_e32 v81, v37
	v_subrev_nc_u32_e32 v20, 29, v17
	v_sub_nc_u32_e32 v17, 30, v17
	s_delay_alu instid0(VALU_DEP_2) | instskip(NEXT) | instid1(VALU_DEP_1)
	v_lshlrev_b64_e32 v[20:21], v20, v[80:81]
	v_and_b32_e32 v20, 3, v20
.LBB4_9411:                             ;   in Loop: Header=BB4_8282 Depth=2
	s_or_b32 exec_lo, exec_lo, s28
	v_lshlrev_b32_e32 v21, 24, v80
                                        ; implicit-def: $vgpr80
	s_delay_alu instid0(VALU_DEP_1) | instskip(NEXT) | instid1(VALU_DEP_1)
	v_and_b32_e32 v21, 0x80000000, v21
	v_lshl_add_u32 v17, v17, 23, v21
	s_delay_alu instid0(VALU_DEP_1) | instskip(NEXT) | instid1(VALU_DEP_1)
	v_lshl_or_b32 v17, v20, 21, v17
                                        ; implicit-def: $vgpr20
	v_add_nc_u32_e32 v17, 0x38000000, v17
.LBB4_9412:                             ;   in Loop: Header=BB4_8282 Depth=2
	s_and_not1_saveexec_b32 s11, s11
; %bb.9413:                             ;   in Loop: Header=BB4_8282 Depth=2
	v_bfe_i32 v17, v80, 0, 8
	s_delay_alu instid0(VALU_DEP_1) | instskip(SKIP_2) | instid1(VALU_DEP_2)
	v_cmp_lt_i16_e32 vcc_lo, -1, v17
	v_cndmask_b32_e32 v17, 0xff800000, v109, vcc_lo
	v_cmp_eq_u32_e32 vcc_lo, 0, v20
	v_cndmask_b32_e32 v17, 0x7f800001, v17, vcc_lo
; %bb.9414:                             ;   in Loop: Header=BB4_8282 Depth=2
	s_or_b32 exec_lo, exec_lo, s11
.LBB4_9415:                             ;   in Loop: Header=BB4_8282 Depth=2
	s_delay_alu instid0(SALU_CYCLE_1)
	s_or_b32 exec_lo, exec_lo, s10
.LBB4_9416:                             ;   in Loop: Header=BB4_8282 Depth=2
	s_delay_alu instid0(SALU_CYCLE_1) | instskip(NEXT) | instid1(SALU_CYCLE_1)
	s_or_b32 exec_lo, exec_lo, s7
	s_mov_b32 s7, exec_lo
	s_wait_loadcnt_dscnt 0x202
	v_cmpx_ne_u16_e32 0, v114
	s_cbranch_execz .LBB4_9426
; %bb.9417:                             ;   in Loop: Header=BB4_8282 Depth=2
	v_bfrev_b32_e32 v2, 1
	s_mov_b32 s10, exec_lo
	v_cmpx_ne_u16_e32 0xff80, v114
	s_cbranch_execz .LBB4_9425
; %bb.9418:                             ;   in Loop: Header=BB4_8282 Depth=2
	v_and_b32_e32 v2, 0x7c, v114
	v_and_b32_e32 v20, 3, v114
	s_delay_alu instid0(VALU_DEP_2) | instskip(SKIP_1) | instid1(SALU_CYCLE_1)
	v_cmp_ne_u32_e32 vcc_lo, 0x7c, v2
                                        ; implicit-def: $vgpr2
	s_and_saveexec_b32 s11, vcc_lo
	s_xor_b32 s11, exec_lo, s11
	s_cbranch_execz .LBB4_9422
; %bb.9419:                             ;   in Loop: Header=BB4_8282 Depth=2
	v_and_b32_e32 v2, 0xff, v114
	s_mov_b32 s28, exec_lo
	s_delay_alu instid0(VALU_DEP_1) | instskip(NEXT) | instid1(VALU_DEP_1)
	v_bfe_u32 v2, v2, 2, 5
	v_cmpx_eq_u32_e32 0, v2
	s_cbranch_execz .LBB4_9421
; %bb.9420:                             ;   in Loop: Header=BB4_8282 Depth=2
	v_clz_i32_u32_e32 v2, v20
	s_delay_alu instid0(VALU_DEP_1) | instskip(SKIP_1) | instid1(VALU_DEP_2)
	v_min_u32_e32 v2, 32, v2
	v_mov_b32_e32 v115, v37
	v_subrev_nc_u32_e32 v20, 29, v2
	v_sub_nc_u32_e32 v2, 30, v2
	s_delay_alu instid0(VALU_DEP_2) | instskip(NEXT) | instid1(VALU_DEP_1)
	v_lshlrev_b64_e32 v[20:21], v20, v[114:115]
	v_and_b32_e32 v20, 3, v20
.LBB4_9421:                             ;   in Loop: Header=BB4_8282 Depth=2
	s_or_b32 exec_lo, exec_lo, s28
	v_bfe_i32 v21, v114, 0, 16
                                        ; implicit-def: $vgpr114
	s_delay_alu instid0(VALU_DEP_1) | instskip(NEXT) | instid1(VALU_DEP_1)
	v_and_b32_e32 v21, 0x80000000, v21
	v_lshl_add_u32 v2, v2, 23, v21
	s_delay_alu instid0(VALU_DEP_1) | instskip(NEXT) | instid1(VALU_DEP_1)
	v_lshl_or_b32 v2, v20, 21, v2
                                        ; implicit-def: $vgpr20
	v_add_nc_u32_e32 v2, 0x38000000, v2
.LBB4_9422:                             ;   in Loop: Header=BB4_8282 Depth=2
	s_and_not1_saveexec_b32 s11, s11
; %bb.9423:                             ;   in Loop: Header=BB4_8282 Depth=2
	v_cmp_lt_i16_e32 vcc_lo, -1, v114
	v_cndmask_b32_e32 v2, 0xff800000, v109, vcc_lo
	v_cmp_eq_u32_e32 vcc_lo, 0, v20
	s_delay_alu instid0(VALU_DEP_2)
	v_cndmask_b32_e32 v2, 0x7f800001, v2, vcc_lo
; %bb.9424:                             ;   in Loop: Header=BB4_8282 Depth=2
	s_or_b32 exec_lo, exec_lo, s11
.LBB4_9425:                             ;   in Loop: Header=BB4_8282 Depth=2
	s_delay_alu instid0(SALU_CYCLE_1)
	s_or_b32 exec_lo, exec_lo, s10
.LBB4_9426:                             ;   in Loop: Header=BB4_8282 Depth=2
	s_delay_alu instid0(SALU_CYCLE_1) | instskip(NEXT) | instid1(VALU_DEP_1)
	s_or_b32 exec_lo, exec_lo, s7
	v_add_f32_e32 v17, v17, v2
	v_mov_b32_e32 v21, v37
                                        ; implicit-def: $vgpr82
	s_mov_b32 s7, exec_lo
	s_delay_alu instid0(VALU_DEP_2) | instskip(SKIP_1) | instid1(VALU_DEP_2)
	v_and_b32_e32 v20, 0x7f800000, v17
	v_and_b32_e32 v36, 0x7fffff, v17
	v_cmpx_ne_u64_e32 0x7f800000, v[20:21]
	s_xor_b32 s10, exec_lo, s7
	s_cbranch_execz .LBB4_9444
; %bb.9427:                             ;   in Loop: Header=BB4_8282 Depth=2
	v_dual_mov_b32 v21, v37 :: v_dual_lshrrev_b32 v2, 24, v17
	v_and_b32_e32 v20, 0x7fffffff, v17
                                        ; implicit-def: $vgpr82
	s_mov_b32 s7, exec_lo
	s_delay_alu instid0(VALU_DEP_2) | instskip(NEXT) | instid1(VALU_DEP_2)
	v_and_b32_e32 v2, 0x80, v2
	v_cmpx_gt_u64_e32 0x47600001, v[20:21]
	s_xor_b32 s11, exec_lo, s7
	s_cbranch_execz .LBB4_9441
; %bb.9428:                             ;   in Loop: Header=BB4_8282 Depth=2
	v_mov_b32_e32 v82, 0
	s_mov_b32 s28, exec_lo
	v_cmpx_ne_u32_e32 0, v17
	s_cbranch_execz .LBB4_9440
; %bb.9429:                             ;   in Loop: Header=BB4_8282 Depth=2
	v_bfe_u32 v17, v17, 23, 8
	v_or_b32_e32 v31, 0x800000, v36
	s_delay_alu instid0(VALU_DEP_2) | instskip(SKIP_1) | instid1(VALU_DEP_2)
	v_dual_mov_b32 v81, v37 :: v_dual_sub_nc_u32 v20, 0x71, v17
	v_cmp_gt_u32_e32 vcc_lo, 0x72, v17
	v_cndmask_b32_e32 v20, 0, v20, vcc_lo
	v_cmp_eq_u32_e32 vcc_lo, 0, v17
	s_delay_alu instid0(VALU_DEP_2) | instskip(SKIP_1) | instid1(VALU_DEP_2)
	v_cndmask_b32_e64 v20, v20, 0x70, vcc_lo
	v_cndmask_b32_e32 v80, v31, v36, vcc_lo
	v_add_nc_u32_e32 v21, 21, v20
	s_delay_alu instid0(VALU_DEP_1) | instskip(SKIP_1) | instid1(VALU_DEP_1)
	v_lshlrev_b64_e64 v[24:25], v21, -1
	v_add_nc_u32_e32 v21, 20, v20
	v_lshlrev_b64_e64 v[82:83], v21, 1
	s_delay_alu instid0(VALU_DEP_3) | instskip(SKIP_2) | instid1(VALU_DEP_1)
	v_bfi_b32 v24, v24, 0, v80
	v_lshrrev_b64 v[80:81], v20, v[80:81]
	v_bfi_b32 v25, v25, 0, 0
	v_cmp_eq_u64_e64 s7, v[24:25], v[82:83]
	s_delay_alu instid0(VALU_DEP_3)
	v_mov_b64_e32 v[82:83], v[80:81]
	s_and_saveexec_b32 s29, s7
; %bb.9430:                             ;   in Loop: Header=BB4_8282 Depth=2
	v_bfe_u32 v24, v80, 21, 1
	v_mov_b32_e32 v25, v37
	s_delay_alu instid0(VALU_DEP_1) | instskip(NEXT) | instid1(VALU_DEP_1)
	v_add_nc_u64_e32 v[24:25], v[80:81], v[24:25]
	v_add_nc_u64_e32 v[82:83], -1, v[24:25]
; %bb.9431:                             ;   in Loop: Header=BB4_8282 Depth=2
	s_or_b32 exec_lo, exec_lo, s29
	v_add_nc_u32_e32 v17, 0xffffff81, v17
	s_delay_alu instid0(VALU_DEP_2) | instskip(SKIP_2) | instid1(VALU_DEP_3)
	v_and_b32_e32 v24, 0x1fffff, v82
	v_lshrrev_b32_e32 v21, 23, v80
	s_mov_b32 s7, exec_lo
	v_cndmask_b32_e64 v17, v17, 0xffffff82, vcc_lo
	s_delay_alu instid0(VALU_DEP_3) | instskip(NEXT) | instid1(VALU_DEP_2)
	v_add_nc_u32_e32 v36, v24, v80
                                        ; implicit-def: $vgpr80_vgpr81
	v_add3_u32 v20, v20, v17, v21
                                        ; implicit-def: $vgpr17
	s_delay_alu instid0(VALU_DEP_1) | instskip(NEXT) | instid1(VALU_DEP_1)
	v_add_nc_u32_e32 v21, 14, v20
	v_cmpx_ne_u32_e32 0, v21
	s_xor_b32 s7, exec_lo, s7
; %bb.9432:                             ;   in Loop: Header=BB4_8282 Depth=2
	v_cmp_lt_u64_e32 vcc_lo, 0xffffff, v[36:37]
	v_add_nc_u32_e32 v17, 15, v20
	v_cndmask_b32_e64 v20, 0, 1, vcc_lo
	s_delay_alu instid0(VALU_DEP_2) | instskip(NEXT) | instid1(VALU_DEP_2)
	v_cndmask_b32_e32 v17, v21, v17, vcc_lo
	v_lshrrev_b64 v[80:81], v20, v[36:37]
; %bb.9433:                             ;   in Loop: Header=BB4_8282 Depth=2
	s_and_not1_saveexec_b32 s7, s7
; %bb.9434:                             ;   in Loop: Header=BB4_8282 Depth=2
	v_mov_b64_e32 v[80:81], v[36:37]
	v_bfe_u32 v17, v36, 23, 1
; %bb.9435:                             ;   in Loop: Header=BB4_8282 Depth=2
	s_or_b32 exec_lo, exec_lo, s7
	s_delay_alu instid0(VALU_DEP_2) | instskip(NEXT) | instid1(VALU_DEP_2)
	v_lshrrev_b64 v[20:21], 21, v[80:81]
	v_cmp_gt_i32_e32 vcc_lo, 32, v17
	v_cmp_ne_u32_e64 s7, 0, v17
                                        ; implicit-def: $vgpr82
	s_delay_alu instid0(VALU_DEP_3) | instskip(NEXT) | instid1(VALU_DEP_1)
	v_dual_cndmask_b32 v81, 0, v21 :: v_dual_cndmask_b32 v80, 3, v20
	v_cmp_ne_u64_e32 vcc_lo, 0, v[80:81]
	s_or_b32 s7, s7, vcc_lo
	s_delay_alu instid0(SALU_CYCLE_1) | instskip(NEXT) | instid1(SALU_CYCLE_1)
	s_and_saveexec_b32 s29, s7
	s_xor_b32 s7, exec_lo, s29
; %bb.9436:                             ;   in Loop: Header=BB4_8282 Depth=2
	v_min_i32_e32 v17, 31, v17
	s_delay_alu instid0(VALU_DEP_1) | instskip(NEXT) | instid1(VALU_DEP_1)
	v_lshl_or_b32 v2, v17, 2, v2
	v_and_or_b32 v82, v80, 3, v2
                                        ; implicit-def: $vgpr2
; %bb.9437:                             ;   in Loop: Header=BB4_8282 Depth=2
	s_and_not1_saveexec_b32 s7, s7
; %bb.9438:                             ;   in Loop: Header=BB4_8282 Depth=2
	v_mov_b32_e32 v82, v2
; %bb.9439:                             ;   in Loop: Header=BB4_8282 Depth=2
	s_or_b32 exec_lo, exec_lo, s7
.LBB4_9440:                             ;   in Loop: Header=BB4_8282 Depth=2
	s_delay_alu instid0(SALU_CYCLE_1)
	s_or_b32 exec_lo, exec_lo, s28
                                        ; implicit-def: $vgpr2
.LBB4_9441:                             ;   in Loop: Header=BB4_8282 Depth=2
	s_and_not1_saveexec_b32 s7, s11
; %bb.9442:                             ;   in Loop: Header=BB4_8282 Depth=2
	v_or_b32_e32 v82, 0x7b, v2
; %bb.9443:                             ;   in Loop: Header=BB4_8282 Depth=2
	s_or_b32 exec_lo, exec_lo, s7
                                        ; implicit-def: $vgpr17
.LBB4_9444:                             ;   in Loop: Header=BB4_8282 Depth=2
	s_and_not1_saveexec_b32 s7, s10
	s_cbranch_execz .LBB4_9450
; %bb.9445:                             ;   in Loop: Header=BB4_8282 Depth=2
	s_mov_b32 s10, exec_lo
                                        ; implicit-def: $vgpr82
	v_cmpx_ne_u64_e32 0, v[36:37]
	s_xor_b32 s10, exec_lo, s10
; %bb.9446:                             ;   in Loop: Header=BB4_8282 Depth=2
	v_lshrrev_b32_e32 v2, 24, v17
                                        ; implicit-def: $vgpr17
	s_delay_alu instid0(VALU_DEP_1)
	v_or_b32_e32 v82, 0x7f, v2
; %bb.9447:                             ;   in Loop: Header=BB4_8282 Depth=2
	s_and_not1_saveexec_b32 s10, s10
; %bb.9448:                             ;   in Loop: Header=BB4_8282 Depth=2
	v_cmp_lt_i32_e32 vcc_lo, -1, v17
	v_cndmask_b32_e64 v82, -4, 0x7c, vcc_lo
; %bb.9449:                             ;   in Loop: Header=BB4_8282 Depth=2
	s_or_b32 exec_lo, exec_lo, s10
.LBB4_9450:                             ;   in Loop: Header=BB4_8282 Depth=2
	s_delay_alu instid0(SALU_CYCLE_1) | instskip(SKIP_3) | instid1(VALU_DEP_2)
	s_or_b32 exec_lo, exec_lo, s7
	v_and_b32_e32 v21, 0xff, v70
	v_dual_mov_b32 v2, 0 :: v_dual_mov_b32 v17, 0
	s_mov_b32 s7, exec_lo
	v_cmpx_ne_u16_e32 0, v21
	s_cbranch_execz .LBB4_9460
; %bb.9451:                             ;   in Loop: Header=BB4_8282 Depth=2
	v_bfrev_b32_e32 v17, 1
	s_mov_b32 s10, exec_lo
	v_cmpx_ne_u16_e32 0x80, v21
	s_cbranch_execz .LBB4_9459
; %bb.9452:                             ;   in Loop: Header=BB4_8282 Depth=2
	v_and_b32_e32 v17, 0x7c, v70
	v_and_b32_e32 v20, 3, v70
	s_delay_alu instid0(VALU_DEP_2) | instskip(SKIP_1) | instid1(SALU_CYCLE_1)
	v_cmp_ne_u32_e32 vcc_lo, 0x7c, v17
                                        ; implicit-def: $vgpr17
	s_and_saveexec_b32 s11, vcc_lo
	s_xor_b32 s11, exec_lo, s11
	s_cbranch_execz .LBB4_9456
; %bb.9453:                             ;   in Loop: Header=BB4_8282 Depth=2
	v_bfe_u32 v17, v21, 2, 5
	s_mov_b32 s28, exec_lo
	s_delay_alu instid0(VALU_DEP_1)
	v_cmpx_eq_u32_e32 0, v17
	s_cbranch_execz .LBB4_9455
; %bb.9454:                             ;   in Loop: Header=BB4_8282 Depth=2
	v_clz_i32_u32_e32 v17, v20
	s_delay_alu instid0(VALU_DEP_1) | instskip(SKIP_1) | instid1(VALU_DEP_2)
	v_min_u32_e32 v17, 32, v17
	v_mov_b32_e32 v71, v37
	v_subrev_nc_u32_e32 v20, 29, v17
	v_sub_nc_u32_e32 v17, 30, v17
	s_delay_alu instid0(VALU_DEP_2) | instskip(NEXT) | instid1(VALU_DEP_1)
	v_lshlrev_b64_e32 v[20:21], v20, v[70:71]
	v_and_b32_e32 v20, 3, v20
.LBB4_9455:                             ;   in Loop: Header=BB4_8282 Depth=2
	s_or_b32 exec_lo, exec_lo, s28
	v_lshlrev_b32_e32 v21, 24, v70
                                        ; implicit-def: $vgpr70
	s_delay_alu instid0(VALU_DEP_1) | instskip(NEXT) | instid1(VALU_DEP_1)
	v_and_b32_e32 v21, 0x80000000, v21
	v_lshl_add_u32 v17, v17, 23, v21
	s_delay_alu instid0(VALU_DEP_1) | instskip(NEXT) | instid1(VALU_DEP_1)
	v_lshl_or_b32 v17, v20, 21, v17
                                        ; implicit-def: $vgpr20
	v_add_nc_u32_e32 v17, 0x38000000, v17
.LBB4_9456:                             ;   in Loop: Header=BB4_8282 Depth=2
	s_and_not1_saveexec_b32 s11, s11
; %bb.9457:                             ;   in Loop: Header=BB4_8282 Depth=2
	v_bfe_i32 v17, v70, 0, 8
	s_delay_alu instid0(VALU_DEP_1) | instskip(SKIP_2) | instid1(VALU_DEP_2)
	v_cmp_lt_i16_e32 vcc_lo, -1, v17
	v_cndmask_b32_e32 v17, 0xff800000, v109, vcc_lo
	v_cmp_eq_u32_e32 vcc_lo, 0, v20
	v_cndmask_b32_e32 v17, 0x7f800001, v17, vcc_lo
; %bb.9458:                             ;   in Loop: Header=BB4_8282 Depth=2
	s_or_b32 exec_lo, exec_lo, s11
.LBB4_9459:                             ;   in Loop: Header=BB4_8282 Depth=2
	s_delay_alu instid0(SALU_CYCLE_1)
	s_or_b32 exec_lo, exec_lo, s10
.LBB4_9460:                             ;   in Loop: Header=BB4_8282 Depth=2
	s_delay_alu instid0(SALU_CYCLE_1) | instskip(NEXT) | instid1(SALU_CYCLE_1)
	s_or_b32 exec_lo, exec_lo, s7
	s_mov_b32 s7, exec_lo
	s_wait_loadcnt_dscnt 0x101
	v_cmpx_ne_u16_e32 0, v96
	s_cbranch_execz .LBB4_9470
; %bb.9461:                             ;   in Loop: Header=BB4_8282 Depth=2
	v_bfrev_b32_e32 v2, 1
	s_mov_b32 s10, exec_lo
	v_cmpx_ne_u16_e32 0xff80, v96
	s_cbranch_execz .LBB4_9469
; %bb.9462:                             ;   in Loop: Header=BB4_8282 Depth=2
	v_and_b32_e32 v2, 0x7c, v96
	v_and_b32_e32 v20, 3, v96
	s_delay_alu instid0(VALU_DEP_2) | instskip(SKIP_1) | instid1(SALU_CYCLE_1)
	v_cmp_ne_u32_e32 vcc_lo, 0x7c, v2
                                        ; implicit-def: $vgpr2
	s_and_saveexec_b32 s11, vcc_lo
	s_xor_b32 s11, exec_lo, s11
	s_cbranch_execz .LBB4_9466
; %bb.9463:                             ;   in Loop: Header=BB4_8282 Depth=2
	v_and_b32_e32 v2, 0xff, v96
	s_mov_b32 s28, exec_lo
	s_delay_alu instid0(VALU_DEP_1) | instskip(NEXT) | instid1(VALU_DEP_1)
	v_bfe_u32 v2, v2, 2, 5
	v_cmpx_eq_u32_e32 0, v2
	s_cbranch_execz .LBB4_9465
; %bb.9464:                             ;   in Loop: Header=BB4_8282 Depth=2
	v_clz_i32_u32_e32 v2, v20
	s_delay_alu instid0(VALU_DEP_1) | instskip(SKIP_1) | instid1(VALU_DEP_2)
	v_min_u32_e32 v2, 32, v2
	v_mov_b32_e32 v97, v37
	v_subrev_nc_u32_e32 v20, 29, v2
	v_sub_nc_u32_e32 v2, 30, v2
	s_delay_alu instid0(VALU_DEP_2) | instskip(NEXT) | instid1(VALU_DEP_1)
	v_lshlrev_b64_e32 v[20:21], v20, v[96:97]
	v_and_b32_e32 v20, 3, v20
.LBB4_9465:                             ;   in Loop: Header=BB4_8282 Depth=2
	s_or_b32 exec_lo, exec_lo, s28
	v_bfe_i32 v21, v96, 0, 16
                                        ; implicit-def: $vgpr96
	s_delay_alu instid0(VALU_DEP_1) | instskip(NEXT) | instid1(VALU_DEP_1)
	v_and_b32_e32 v21, 0x80000000, v21
	v_lshl_add_u32 v2, v2, 23, v21
	s_delay_alu instid0(VALU_DEP_1) | instskip(NEXT) | instid1(VALU_DEP_1)
	v_lshl_or_b32 v2, v20, 21, v2
                                        ; implicit-def: $vgpr20
	v_add_nc_u32_e32 v2, 0x38000000, v2
.LBB4_9466:                             ;   in Loop: Header=BB4_8282 Depth=2
	s_and_not1_saveexec_b32 s11, s11
; %bb.9467:                             ;   in Loop: Header=BB4_8282 Depth=2
	v_cmp_lt_i16_e32 vcc_lo, -1, v96
	v_cndmask_b32_e32 v2, 0xff800000, v109, vcc_lo
	v_cmp_eq_u32_e32 vcc_lo, 0, v20
	s_delay_alu instid0(VALU_DEP_2)
	v_cndmask_b32_e32 v2, 0x7f800001, v2, vcc_lo
; %bb.9468:                             ;   in Loop: Header=BB4_8282 Depth=2
	s_or_b32 exec_lo, exec_lo, s11
.LBB4_9469:                             ;   in Loop: Header=BB4_8282 Depth=2
	s_delay_alu instid0(SALU_CYCLE_1)
	s_or_b32 exec_lo, exec_lo, s10
.LBB4_9470:                             ;   in Loop: Header=BB4_8282 Depth=2
	s_delay_alu instid0(SALU_CYCLE_1) | instskip(NEXT) | instid1(VALU_DEP_1)
	s_or_b32 exec_lo, exec_lo, s7
	v_add_f32_e32 v69, v17, v2
	v_mov_b32_e32 v21, v37
                                        ; implicit-def: $vgpr2
	s_mov_b32 s7, exec_lo
	s_delay_alu instid0(VALU_DEP_2) | instskip(SKIP_1) | instid1(VALU_DEP_2)
	v_and_b32_e32 v20, 0x7f800000, v69
	v_and_b32_e32 v36, 0x7fffff, v69
	v_cmpx_ne_u64_e32 0x7f800000, v[20:21]
	s_xor_b32 s10, exec_lo, s7
	s_cbranch_execz .LBB4_9488
; %bb.9471:                             ;   in Loop: Header=BB4_8282 Depth=2
	v_dual_mov_b32 v21, v37 :: v_dual_lshrrev_b32 v2, 24, v69
	v_and_b32_e32 v20, 0x7fffffff, v69
	s_mov_b32 s7, exec_lo
	s_delay_alu instid0(VALU_DEP_2) | instskip(NEXT) | instid1(VALU_DEP_2)
	v_and_b32_e32 v17, 0x80, v2
                                        ; implicit-def: $vgpr2
	v_cmpx_gt_u64_e32 0x47600001, v[20:21]
	s_xor_b32 s11, exec_lo, s7
	s_cbranch_execz .LBB4_9485
; %bb.9472:                             ;   in Loop: Header=BB4_8282 Depth=2
	v_mov_b32_e32 v2, 0
	s_mov_b32 s28, exec_lo
	v_cmpx_ne_u32_e32 0, v69
	s_cbranch_execz .LBB4_9484
; %bb.9473:                             ;   in Loop: Header=BB4_8282 Depth=2
	v_bfe_u32 v2, v69, 23, 8
	v_or_b32_e32 v31, 0x800000, v36
	s_delay_alu instid0(VALU_DEP_2) | instskip(SKIP_1) | instid1(VALU_DEP_2)
	v_dual_mov_b32 v71, v37 :: v_dual_sub_nc_u32 v20, 0x71, v2
	v_cmp_gt_u32_e32 vcc_lo, 0x72, v2
	v_cndmask_b32_e32 v20, 0, v20, vcc_lo
	v_cmp_eq_u32_e32 vcc_lo, 0, v2
	s_delay_alu instid0(VALU_DEP_2) | instskip(SKIP_1) | instid1(VALU_DEP_2)
	v_cndmask_b32_e64 v20, v20, 0x70, vcc_lo
	v_cndmask_b32_e32 v70, v31, v36, vcc_lo
	v_add_nc_u32_e32 v21, 21, v20
	s_delay_alu instid0(VALU_DEP_1) | instskip(SKIP_1) | instid1(VALU_DEP_1)
	v_lshlrev_b64_e64 v[24:25], v21, -1
	v_add_nc_u32_e32 v21, 20, v20
	v_lshlrev_b64_e64 v[80:81], v21, 1
	s_delay_alu instid0(VALU_DEP_3) | instskip(SKIP_2) | instid1(VALU_DEP_1)
	v_bfi_b32 v24, v24, 0, v70
	v_lshrrev_b64 v[70:71], v20, v[70:71]
	v_bfi_b32 v25, v25, 0, 0
	v_cmp_eq_u64_e64 s7, v[24:25], v[80:81]
	s_delay_alu instid0(VALU_DEP_3)
	v_mov_b64_e32 v[80:81], v[70:71]
	s_and_saveexec_b32 s29, s7
; %bb.9474:                             ;   in Loop: Header=BB4_8282 Depth=2
	v_bfe_u32 v24, v70, 21, 1
	v_mov_b32_e32 v25, v37
	s_delay_alu instid0(VALU_DEP_1) | instskip(NEXT) | instid1(VALU_DEP_1)
	v_add_nc_u64_e32 v[24:25], v[70:71], v[24:25]
	v_add_nc_u64_e32 v[80:81], -1, v[24:25]
; %bb.9475:                             ;   in Loop: Header=BB4_8282 Depth=2
	s_or_b32 exec_lo, exec_lo, s29
	v_add_nc_u32_e32 v2, 0xffffff81, v2
	s_delay_alu instid0(VALU_DEP_2) | instskip(SKIP_2) | instid1(VALU_DEP_3)
	v_and_b32_e32 v24, 0x1fffff, v80
	v_lshrrev_b32_e32 v21, 23, v70
	s_mov_b32 s7, exec_lo
	v_cndmask_b32_e64 v2, v2, 0xffffff82, vcc_lo
	s_delay_alu instid0(VALU_DEP_3) | instskip(NEXT) | instid1(VALU_DEP_2)
	v_add_nc_u32_e32 v36, v24, v70
                                        ; implicit-def: $vgpr70_vgpr71
	v_add3_u32 v2, v20, v2, v21
                                        ; implicit-def: $vgpr20
	s_delay_alu instid0(VALU_DEP_1) | instskip(NEXT) | instid1(VALU_DEP_1)
	v_add_nc_u32_e32 v21, 14, v2
	v_cmpx_ne_u32_e32 0, v21
	s_xor_b32 s7, exec_lo, s7
; %bb.9476:                             ;   in Loop: Header=BB4_8282 Depth=2
	v_cmp_lt_u64_e32 vcc_lo, 0xffffff, v[36:37]
	v_add_nc_u32_e32 v2, 15, v2
	s_delay_alu instid0(VALU_DEP_1) | instskip(SKIP_1) | instid1(VALU_DEP_1)
	v_cndmask_b32_e32 v20, v21, v2, vcc_lo
	v_cndmask_b32_e64 v2, 0, 1, vcc_lo
	v_lshrrev_b64 v[70:71], v2, v[36:37]
; %bb.9477:                             ;   in Loop: Header=BB4_8282 Depth=2
	s_and_not1_saveexec_b32 s7, s7
; %bb.9478:                             ;   in Loop: Header=BB4_8282 Depth=2
	v_mov_b64_e32 v[70:71], v[36:37]
	v_bfe_u32 v20, v36, 23, 1
; %bb.9479:                             ;   in Loop: Header=BB4_8282 Depth=2
	s_or_b32 exec_lo, exec_lo, s7
	s_delay_alu instid0(VALU_DEP_2) | instskip(NEXT) | instid1(VALU_DEP_2)
	v_lshrrev_b64 v[24:25], 21, v[70:71]
	v_cmp_gt_i32_e32 vcc_lo, 32, v20
	v_cmp_ne_u32_e64 s7, 0, v20
                                        ; implicit-def: $vgpr2
	s_delay_alu instid0(VALU_DEP_3) | instskip(NEXT) | instid1(VALU_DEP_1)
	v_dual_cndmask_b32 v71, 0, v25 :: v_dual_cndmask_b32 v70, 3, v24
	v_cmp_ne_u64_e32 vcc_lo, 0, v[70:71]
	s_or_b32 s7, s7, vcc_lo
	s_delay_alu instid0(SALU_CYCLE_1) | instskip(NEXT) | instid1(SALU_CYCLE_1)
	s_and_saveexec_b32 s29, s7
	s_xor_b32 s7, exec_lo, s29
; %bb.9480:                             ;   in Loop: Header=BB4_8282 Depth=2
	v_min_i32_e32 v2, 31, v20
	s_delay_alu instid0(VALU_DEP_1) | instskip(NEXT) | instid1(VALU_DEP_1)
	v_lshl_or_b32 v2, v2, 2, v17
                                        ; implicit-def: $vgpr17
	v_and_or_b32 v2, v70, 3, v2
; %bb.9481:                             ;   in Loop: Header=BB4_8282 Depth=2
	s_and_not1_saveexec_b32 s7, s7
; %bb.9482:                             ;   in Loop: Header=BB4_8282 Depth=2
	v_mov_b32_e32 v2, v17
; %bb.9483:                             ;   in Loop: Header=BB4_8282 Depth=2
	s_or_b32 exec_lo, exec_lo, s7
.LBB4_9484:                             ;   in Loop: Header=BB4_8282 Depth=2
	s_delay_alu instid0(SALU_CYCLE_1)
	s_or_b32 exec_lo, exec_lo, s28
                                        ; implicit-def: $vgpr17
.LBB4_9485:                             ;   in Loop: Header=BB4_8282 Depth=2
	s_and_not1_saveexec_b32 s7, s11
; %bb.9486:                             ;   in Loop: Header=BB4_8282 Depth=2
	v_or_b32_e32 v2, 0x7b, v17
; %bb.9487:                             ;   in Loop: Header=BB4_8282 Depth=2
	s_or_b32 exec_lo, exec_lo, s7
                                        ; implicit-def: $vgpr69
.LBB4_9488:                             ;   in Loop: Header=BB4_8282 Depth=2
	s_and_not1_saveexec_b32 s7, s10
	s_cbranch_execz .LBB4_9494
; %bb.9489:                             ;   in Loop: Header=BB4_8282 Depth=2
	s_mov_b32 s10, exec_lo
                                        ; implicit-def: $vgpr2
	v_cmpx_ne_u64_e32 0, v[36:37]
	s_xor_b32 s10, exec_lo, s10
; %bb.9490:                             ;   in Loop: Header=BB4_8282 Depth=2
	v_lshrrev_b32_e32 v2, 24, v69
                                        ; implicit-def: $vgpr69
	s_delay_alu instid0(VALU_DEP_1)
	v_or_b32_e32 v2, 0x7f, v2
; %bb.9491:                             ;   in Loop: Header=BB4_8282 Depth=2
	s_and_not1_saveexec_b32 s10, s10
; %bb.9492:                             ;   in Loop: Header=BB4_8282 Depth=2
	v_cmp_lt_i32_e32 vcc_lo, -1, v69
	v_cndmask_b32_e64 v2, -4, 0x7c, vcc_lo
; %bb.9493:                             ;   in Loop: Header=BB4_8282 Depth=2
	s_or_b32 exec_lo, exec_lo, s10
.LBB4_9494:                             ;   in Loop: Header=BB4_8282 Depth=2
	s_delay_alu instid0(SALU_CYCLE_1) | instskip(SKIP_3) | instid1(VALU_DEP_2)
	s_or_b32 exec_lo, exec_lo, s7
	v_and_b32_e32 v21, 0xff, v16
	v_dual_mov_b32 v36, 0 :: v_dual_mov_b32 v17, 0
	s_mov_b32 s7, exec_lo
	v_cmpx_ne_u16_e32 0, v21
	s_cbranch_execz .LBB4_9504
; %bb.9495:                             ;   in Loop: Header=BB4_8282 Depth=2
	v_bfrev_b32_e32 v17, 1
	s_mov_b32 s10, exec_lo
	v_cmpx_ne_u16_e32 0x80, v21
	s_cbranch_execz .LBB4_9503
; %bb.9496:                             ;   in Loop: Header=BB4_8282 Depth=2
	v_and_b32_e32 v17, 0x7c, v16
	v_and_b32_e32 v20, 3, v16
	s_delay_alu instid0(VALU_DEP_2) | instskip(SKIP_1) | instid1(SALU_CYCLE_1)
	v_cmp_ne_u32_e32 vcc_lo, 0x7c, v17
                                        ; implicit-def: $vgpr17
	s_and_saveexec_b32 s11, vcc_lo
	s_xor_b32 s11, exec_lo, s11
	s_cbranch_execz .LBB4_9500
; %bb.9497:                             ;   in Loop: Header=BB4_8282 Depth=2
	v_bfe_u32 v17, v21, 2, 5
	s_mov_b32 s28, exec_lo
	s_delay_alu instid0(VALU_DEP_1)
	v_cmpx_eq_u32_e32 0, v17
	s_cbranch_execz .LBB4_9499
; %bb.9498:                             ;   in Loop: Header=BB4_8282 Depth=2
	v_clz_i32_u32_e32 v17, v20
	s_delay_alu instid0(VALU_DEP_1) | instskip(SKIP_1) | instid1(VALU_DEP_2)
	v_min_u32_e32 v24, 32, v17
	v_mov_b32_e32 v17, v37
	v_subrev_nc_u32_e32 v20, 29, v24
	s_delay_alu instid0(VALU_DEP_1) | instskip(SKIP_1) | instid1(VALU_DEP_2)
	v_lshlrev_b64_e32 v[20:21], v20, v[16:17]
	v_sub_nc_u32_e32 v17, 30, v24
	v_and_b32_e32 v20, 3, v20
.LBB4_9499:                             ;   in Loop: Header=BB4_8282 Depth=2
	s_or_b32 exec_lo, exec_lo, s28
	v_lshlrev_b32_e32 v16, 24, v16
	s_delay_alu instid0(VALU_DEP_1) | instskip(NEXT) | instid1(VALU_DEP_1)
	v_and_b32_e32 v16, 0x80000000, v16
	v_lshl_add_u32 v16, v17, 23, v16
	s_delay_alu instid0(VALU_DEP_1) | instskip(NEXT) | instid1(VALU_DEP_1)
	v_lshl_or_b32 v16, v20, 21, v16
                                        ; implicit-def: $vgpr20
	v_add_nc_u32_e32 v17, 0x38000000, v16
                                        ; implicit-def: $vgpr16
.LBB4_9500:                             ;   in Loop: Header=BB4_8282 Depth=2
	s_and_not1_saveexec_b32 s11, s11
; %bb.9501:                             ;   in Loop: Header=BB4_8282 Depth=2
	v_bfe_i32 v16, v16, 0, 8
	s_delay_alu instid0(VALU_DEP_1) | instskip(SKIP_2) | instid1(VALU_DEP_2)
	v_cmp_lt_i16_e32 vcc_lo, -1, v16
	v_cndmask_b32_e32 v16, 0xff800000, v109, vcc_lo
	v_cmp_eq_u32_e32 vcc_lo, 0, v20
	v_cndmask_b32_e32 v17, 0x7f800001, v16, vcc_lo
; %bb.9502:                             ;   in Loop: Header=BB4_8282 Depth=2
	s_or_b32 exec_lo, exec_lo, s11
.LBB4_9503:                             ;   in Loop: Header=BB4_8282 Depth=2
	s_delay_alu instid0(SALU_CYCLE_1)
	s_or_b32 exec_lo, exec_lo, s10
.LBB4_9504:                             ;   in Loop: Header=BB4_8282 Depth=2
	s_delay_alu instid0(SALU_CYCLE_1) | instskip(NEXT) | instid1(SALU_CYCLE_1)
	s_or_b32 exec_lo, exec_lo, s7
	s_mov_b32 s7, exec_lo
	s_wait_loadcnt_dscnt 0x0
	v_cmpx_ne_u16_e32 0, v68
	s_cbranch_execz .LBB4_9514
; %bb.9505:                             ;   in Loop: Header=BB4_8282 Depth=2
	v_bfrev_b32_e32 v36, 1
	s_mov_b32 s10, exec_lo
	v_cmpx_ne_u16_e32 0xff80, v68
	s_cbranch_execz .LBB4_9513
; %bb.9506:                             ;   in Loop: Header=BB4_8282 Depth=2
	v_and_b32_e32 v20, 0x7c, v68
	v_and_b32_e32 v16, 3, v68
	s_mov_b32 s11, exec_lo
                                        ; implicit-def: $vgpr36
	s_delay_alu instid0(VALU_DEP_2)
	v_cmpx_ne_u32_e32 0x7c, v20
	s_xor_b32 s11, exec_lo, s11
	s_cbranch_execz .LBB4_9510
; %bb.9507:                             ;   in Loop: Header=BB4_8282 Depth=2
	v_and_b32_e32 v20, 0xff, v68
	s_mov_b32 s28, exec_lo
	s_delay_alu instid0(VALU_DEP_1) | instskip(NEXT) | instid1(VALU_DEP_1)
	v_bfe_u32 v20, v20, 2, 5
	v_cmpx_eq_u32_e32 0, v20
	s_cbranch_execz .LBB4_9509
; %bb.9508:                             ;   in Loop: Header=BB4_8282 Depth=2
	v_clz_i32_u32_e32 v16, v16
	s_delay_alu instid0(VALU_DEP_1) | instskip(SKIP_1) | instid1(VALU_DEP_2)
	v_min_u32_e32 v16, 32, v16
	v_mov_b32_e32 v69, v37
	v_subrev_nc_u32_e32 v20, 29, v16
	s_delay_alu instid0(VALU_DEP_1) | instskip(SKIP_1) | instid1(VALU_DEP_2)
	v_lshlrev_b64_e32 v[24:25], v20, v[68:69]
	v_sub_nc_u32_e32 v20, 30, v16
	v_and_b32_e32 v16, 3, v24
.LBB4_9509:                             ;   in Loop: Header=BB4_8282 Depth=2
	s_or_b32 exec_lo, exec_lo, s28
	v_bfe_i32 v21, v68, 0, 16
                                        ; implicit-def: $vgpr68
	s_delay_alu instid0(VALU_DEP_1) | instskip(NEXT) | instid1(VALU_DEP_1)
	v_and_b32_e32 v21, 0x80000000, v21
	v_lshl_add_u32 v20, v20, 23, v21
	s_delay_alu instid0(VALU_DEP_1) | instskip(NEXT) | instid1(VALU_DEP_1)
	v_lshl_or_b32 v16, v16, 21, v20
	v_add_nc_u32_e32 v36, 0x38000000, v16
                                        ; implicit-def: $vgpr16
.LBB4_9510:                             ;   in Loop: Header=BB4_8282 Depth=2
	s_and_not1_saveexec_b32 s11, s11
; %bb.9511:                             ;   in Loop: Header=BB4_8282 Depth=2
	v_cmp_lt_i16_e32 vcc_lo, -1, v68
	v_cndmask_b32_e32 v20, 0xff800000, v109, vcc_lo
	v_cmp_eq_u32_e32 vcc_lo, 0, v16
	s_delay_alu instid0(VALU_DEP_2)
	v_cndmask_b32_e32 v36, 0x7f800001, v20, vcc_lo
; %bb.9512:                             ;   in Loop: Header=BB4_8282 Depth=2
	s_or_b32 exec_lo, exec_lo, s11
.LBB4_9513:                             ;   in Loop: Header=BB4_8282 Depth=2
	s_delay_alu instid0(SALU_CYCLE_1)
	s_or_b32 exec_lo, exec_lo, s10
.LBB4_9514:                             ;   in Loop: Header=BB4_8282 Depth=2
	s_delay_alu instid0(SALU_CYCLE_1) | instskip(NEXT) | instid1(VALU_DEP_1)
	s_or_b32 exec_lo, exec_lo, s7
	v_add_f32_e32 v16, v17, v36
	v_mov_b32_e32 v21, v37
                                        ; implicit-def: $vgpr17
	s_mov_b32 s7, exec_lo
	s_delay_alu instid0(VALU_DEP_2) | instskip(SKIP_1) | instid1(VALU_DEP_2)
	v_and_b32_e32 v20, 0x7f800000, v16
	v_and_b32_e32 v36, 0x7fffff, v16
	v_cmpx_ne_u64_e32 0x7f800000, v[20:21]
	s_xor_b32 s10, exec_lo, s7
	s_cbranch_execz .LBB4_9532
; %bb.9515:                             ;   in Loop: Header=BB4_8282 Depth=2
	v_dual_mov_b32 v21, v37 :: v_dual_lshrrev_b32 v17, 24, v16
	v_and_b32_e32 v20, 0x7fffffff, v16
	s_mov_b32 s7, exec_lo
	s_delay_alu instid0(VALU_DEP_2) | instskip(NEXT) | instid1(VALU_DEP_2)
	v_and_b32_e32 v70, 0x80, v17
                                        ; implicit-def: $vgpr17
	v_cmpx_gt_u64_e32 0x47600001, v[20:21]
	s_xor_b32 s11, exec_lo, s7
	s_cbranch_execz .LBB4_9529
; %bb.9516:                             ;   in Loop: Header=BB4_8282 Depth=2
	v_mov_b32_e32 v17, 0
	s_mov_b32 s28, exec_lo
	v_cmpx_ne_u32_e32 0, v16
	s_cbranch_execz .LBB4_9528
; %bb.9517:                             ;   in Loop: Header=BB4_8282 Depth=2
	v_bfe_u32 v20, v16, 23, 8
	v_or_b32_e32 v24, 0x800000, v36
	s_delay_alu instid0(VALU_DEP_2) | instskip(SKIP_1) | instid1(VALU_DEP_2)
	v_dual_mov_b32 v25, v37 :: v_dual_sub_nc_u32 v16, 0x71, v20
	v_cmp_gt_u32_e32 vcc_lo, 0x72, v20
	v_cndmask_b32_e32 v16, 0, v16, vcc_lo
	v_cmp_eq_u32_e32 vcc_lo, 0, v20
	s_delay_alu instid0(VALU_DEP_2) | instskip(NEXT) | instid1(VALU_DEP_1)
	v_cndmask_b32_e64 v21, v16, 0x70, vcc_lo
	v_dual_cndmask_b32 v24, v24, v36, vcc_lo :: v_dual_add_nc_u32 v16, 21, v21
	v_add_nc_u32_e32 v31, 20, v21
	s_delay_alu instid0(VALU_DEP_2) | instskip(NEXT) | instid1(VALU_DEP_2)
	v_lshlrev_b64_e64 v[16:17], v16, -1
	v_lshlrev_b64_e64 v[68:69], v31, 1
	s_delay_alu instid0(VALU_DEP_2) | instskip(NEXT) | instid1(VALU_DEP_3)
	v_bfi_b32 v81, v17, 0, 0
	v_bfi_b32 v80, v16, 0, v24
	v_lshrrev_b64 v[16:17], v21, v[24:25]
	s_delay_alu instid0(VALU_DEP_2) | instskip(NEXT) | instid1(VALU_DEP_2)
	v_cmp_eq_u64_e64 s7, v[80:81], v[68:69]
	v_mov_b64_e32 v[68:69], v[16:17]
	s_and_saveexec_b32 s29, s7
; %bb.9518:                             ;   in Loop: Header=BB4_8282 Depth=2
	v_bfe_u32 v24, v16, 21, 1
	v_mov_b32_e32 v25, v37
	s_delay_alu instid0(VALU_DEP_1) | instskip(NEXT) | instid1(VALU_DEP_1)
	v_add_nc_u64_e32 v[24:25], v[16:17], v[24:25]
	v_add_nc_u64_e32 v[68:69], -1, v[24:25]
; %bb.9519:                             ;   in Loop: Header=BB4_8282 Depth=2
	s_or_b32 exec_lo, exec_lo, s29
	v_add_nc_u32_e32 v17, 0xffffff81, v20
	s_delay_alu instid0(VALU_DEP_2) | instskip(SKIP_2) | instid1(VALU_DEP_3)
	v_and_b32_e32 v24, 0x1fffff, v68
	v_lshrrev_b32_e32 v20, 23, v16
	s_mov_b32 s7, exec_lo
	v_cndmask_b32_e64 v17, v17, 0xffffff82, vcc_lo
	s_delay_alu instid0(VALU_DEP_3) | instskip(NEXT) | instid1(VALU_DEP_2)
	v_add_nc_u32_e32 v36, v24, v16
	v_add3_u32 v21, v21, v17, v20
                                        ; implicit-def: $vgpr16_vgpr17
                                        ; implicit-def: $vgpr20
	s_delay_alu instid0(VALU_DEP_1) | instskip(NEXT) | instid1(VALU_DEP_1)
	v_add_nc_u32_e32 v68, 14, v21
	v_cmpx_ne_u32_e32 0, v68
	s_xor_b32 s7, exec_lo, s7
; %bb.9520:                             ;   in Loop: Header=BB4_8282 Depth=2
	v_cmp_lt_u64_e32 vcc_lo, 0xffffff, v[36:37]
	v_add_nc_u32_e32 v16, 15, v21
	s_delay_alu instid0(VALU_DEP_1) | instskip(SKIP_1) | instid1(VALU_DEP_1)
	v_cndmask_b32_e32 v20, v68, v16, vcc_lo
	v_cndmask_b32_e64 v16, 0, 1, vcc_lo
	v_lshrrev_b64 v[16:17], v16, v[36:37]
; %bb.9521:                             ;   in Loop: Header=BB4_8282 Depth=2
	s_and_not1_saveexec_b32 s7, s7
; %bb.9522:                             ;   in Loop: Header=BB4_8282 Depth=2
	v_mov_b64_e32 v[16:17], v[36:37]
	v_bfe_u32 v20, v36, 23, 1
; %bb.9523:                             ;   in Loop: Header=BB4_8282 Depth=2
	s_or_b32 exec_lo, exec_lo, s7
	s_delay_alu instid0(VALU_DEP_2) | instskip(NEXT) | instid1(VALU_DEP_2)
	v_lshrrev_b64 v[16:17], 21, v[16:17]
	v_cmp_gt_i32_e32 vcc_lo, 32, v20
	v_cmp_ne_u32_e64 s7, 0, v20
	s_delay_alu instid0(VALU_DEP_3) | instskip(NEXT) | instid1(VALU_DEP_1)
	v_dual_cndmask_b32 v17, 0, v17 :: v_dual_cndmask_b32 v16, 3, v16
	v_cmp_ne_u64_e32 vcc_lo, 0, v[16:17]
                                        ; implicit-def: $vgpr17
	s_or_b32 s7, s7, vcc_lo
	s_delay_alu instid0(SALU_CYCLE_1) | instskip(NEXT) | instid1(SALU_CYCLE_1)
	s_and_saveexec_b32 s29, s7
	s_xor_b32 s7, exec_lo, s29
; %bb.9524:                             ;   in Loop: Header=BB4_8282 Depth=2
	v_min_i32_e32 v17, 31, v20
	s_delay_alu instid0(VALU_DEP_1) | instskip(NEXT) | instid1(VALU_DEP_1)
	v_lshl_or_b32 v17, v17, 2, v70
                                        ; implicit-def: $vgpr70
	v_and_or_b32 v17, v16, 3, v17
; %bb.9525:                             ;   in Loop: Header=BB4_8282 Depth=2
	s_and_not1_saveexec_b32 s7, s7
; %bb.9526:                             ;   in Loop: Header=BB4_8282 Depth=2
	v_mov_b32_e32 v17, v70
; %bb.9527:                             ;   in Loop: Header=BB4_8282 Depth=2
	s_or_b32 exec_lo, exec_lo, s7
.LBB4_9528:                             ;   in Loop: Header=BB4_8282 Depth=2
	s_delay_alu instid0(SALU_CYCLE_1)
	s_or_b32 exec_lo, exec_lo, s28
                                        ; implicit-def: $vgpr70
.LBB4_9529:                             ;   in Loop: Header=BB4_8282 Depth=2
	s_and_not1_saveexec_b32 s7, s11
; %bb.9530:                             ;   in Loop: Header=BB4_8282 Depth=2
	v_or_b32_e32 v17, 0x7b, v70
; %bb.9531:                             ;   in Loop: Header=BB4_8282 Depth=2
	s_or_b32 exec_lo, exec_lo, s7
                                        ; implicit-def: $vgpr16
.LBB4_9532:                             ;   in Loop: Header=BB4_8282 Depth=2
	s_and_not1_saveexec_b32 s7, s10
	s_cbranch_execz .LBB4_8281
; %bb.9533:                             ;   in Loop: Header=BB4_8282 Depth=2
	s_mov_b32 s10, exec_lo
                                        ; implicit-def: $vgpr17
	v_cmpx_ne_u64_e32 0, v[36:37]
	s_xor_b32 s10, exec_lo, s10
; %bb.9534:                             ;   in Loop: Header=BB4_8282 Depth=2
	v_lshrrev_b32_e32 v16, 24, v16
	s_delay_alu instid0(VALU_DEP_1)
	v_or_b32_e32 v17, 0x7f, v16
                                        ; implicit-def: $vgpr16
; %bb.9535:                             ;   in Loop: Header=BB4_8282 Depth=2
	s_and_not1_saveexec_b32 s10, s10
	s_cbranch_execz .LBB4_8280
; %bb.9536:                             ;   in Loop: Header=BB4_8282 Depth=2
	v_cmp_lt_i32_e32 vcc_lo, -1, v16
	v_cndmask_b32_e64 v17, -4, 0x7c, vcc_lo
	s_branch .LBB4_8280
.LBB4_9537:                             ;   in Loop: Header=BB4_4883 Depth=1
	s_or_b32 exec_lo, exec_lo, s27
.LBB4_9538:                             ;   in Loop: Header=BB4_4883 Depth=1
	s_delay_alu instid0(SALU_CYCLE_1) | instskip(SKIP_1) | instid1(VALU_DEP_1)
	s_or_b32 exec_lo, exec_lo, s26
	v_and_b32_e32 v2, 0xfffffe00, v122
	v_cmp_ne_u32_e32 vcc_lo, v122, v2
	s_and_b32 exec_lo, exec_lo, vcc_lo
	s_cbranch_execz .LBB4_9628
; %bb.9539:                             ;   in Loop: Header=BB4_4883 Depth=1
	v_dual_lshlrev_b32 v0, 5, v0 :: v_dual_lshlrev_b32 v3, 5, v3
	s_delay_alu instid0(VALU_DEP_1) | instskip(NEXT) | instid1(VALU_DEP_1)
	v_sub_nc_u32_e32 v0, v123, v0
	v_sub_nc_u32_e32 v3, v0, v3
	v_and_b32_e32 v0, 0x1ff, v122
	s_delay_alu instid0(VALU_DEP_1) | instskip(NEXT) | instid1(VALU_DEP_1)
	v_sub_nc_u32_e32 v0, v0, v3
	v_cmp_lt_i32_e32 vcc_lo, 0, v0
	s_and_b32 exec_lo, exec_lo, vcc_lo
	s_cbranch_execz .LBB4_9628
; %bb.9540:                             ;   in Loop: Header=BB4_4883 Depth=1
	s_trap 2
	ds_load_b128 v[10:13], v0
	ds_load_b64 v[14:15], v0
	v_add3_u32 v2, v2, v30, v3
	s_mov_b32 s26, 0
	s_delay_alu instid0(VALU_DEP_1) | instskip(SKIP_1) | instid1(VALU_DEP_1)
	v_ashrrev_i32_e32 v3, 31, v2
	s_wait_dscnt 0x1
	v_add_nc_u64_e32 v[10:11], v[10:11], v[2:3]
	v_add_nc_u64_e32 v[12:13], v[12:13], v[2:3]
	s_wait_dscnt 0x0
	v_add_nc_u64_e32 v[14:15], v[14:15], v[2:3]
	s_branch .LBB4_9543
.LBB4_9541:                             ;   in Loop: Header=BB4_9543 Depth=2
	s_or_b32 exec_lo, exec_lo, s10
.LBB4_9542:                             ;   in Loop: Header=BB4_9543 Depth=2
	s_delay_alu instid0(SALU_CYCLE_1)
	s_or_b32 exec_lo, exec_lo, s7
	v_sub_nc_u32_e32 v0, v0, v54
	flat_store_b8 v[14:15], v3 th:TH_STORE_NT
	v_add_nc_u64_e32 v[10:11], v[10:11], v[54:55]
	v_add_nc_u64_e32 v[12:13], v[12:13], v[54:55]
	s_wait_xcnt 0x0
	v_add_nc_u64_e32 v[14:15], v[14:15], v[54:55]
	v_cmp_gt_i32_e32 vcc_lo, 1, v0
	s_or_b32 s26, vcc_lo, s26
	s_delay_alu instid0(SALU_CYCLE_1)
	s_and_not1_b32 exec_lo, exec_lo, s26
	s_cbranch_execz .LBB4_9628
.LBB4_9543:                             ;   Parent Loop BB4_4883 Depth=1
                                        ; =>  This Inner Loop Header: Depth=2
	s_trap 2
	ds_load_b64 v[2:3], v0
	s_mov_b32 s7, 0
	s_wait_dscnt 0x0
	v_and_b32_e32 v16, 0xff, v2
	v_readfirstlane_b32 s10, v2
	v_readfirstlane_b32 s11, v3
	s_delay_alu instid0(VALU_DEP_3)
	v_cmp_eq_u32_e32 vcc_lo, 0, v16
	s_cbranch_vccnz .LBB4_9551
; %bb.9544:                             ;   in Loop: Header=BB4_9543 Depth=2
	s_bfe_i32 s28, s10, 0x80000
	s_delay_alu instid0(SALU_CYCLE_1) | instskip(NEXT) | instid1(SALU_CYCLE_1)
	s_and_b32 s7, 0xffff, s28
	s_cmp_eq_u32 s7, 0xff80
	s_brev_b32 s7, 1
	s_cbranch_scc1 .LBB4_9551
; %bb.9545:                             ;   in Loop: Header=BB4_9543 Depth=2
	s_and_b32 s7, s10, 0x7c
	s_and_b32 s27, s10, 3
	s_mov_b32 s29, -1
	s_cmp_lg_u32 s7, 0x7c
	s_sext_i32_i16 s28, s28
                                        ; implicit-def: $sgpr7
	s_cbranch_scc0 .LBB4_9549
; %bb.9546:                             ;   in Loop: Header=BB4_9543 Depth=2
	s_bfe_u32 s7, s10, 0x50002
	s_mov_b32 s29, s27
	s_cmp_lg_u32 s7, 0
	s_cbranch_scc1 .LBB4_9548
; %bb.9547:                             ;   in Loop: Header=BB4_9543 Depth=2
	s_clz_i32_u32 s7, s27
	s_delay_alu instid0(SALU_CYCLE_1) | instskip(NEXT) | instid1(SALU_CYCLE_1)
	s_min_u32 s7, s7, 32
	s_sub_co_i32 s29, s7, 29
	s_sub_co_i32 s7, 30, s7
	s_lshl_b64 s[10:11], s[10:11], s29
	s_delay_alu instid0(SALU_CYCLE_1)
	s_and_b32 s29, s10, 3
.LBB4_9548:                             ;   in Loop: Header=BB4_9543 Depth=2
	s_and_b32 s10, s28, 0x80000000
	s_lshl_b32 s7, s7, 23
	s_lshl_b32 s11, s29, 21
	s_add_co_i32 s7, s7, s10
	s_mov_b32 s29, 0
	s_or_b32 s7, s7, s11
	s_delay_alu instid0(SALU_CYCLE_1)
	s_add_co_i32 s7, s7, 0x38000000
.LBB4_9549:                             ;   in Loop: Header=BB4_9543 Depth=2
	s_and_b32 vcc_lo, exec_lo, s29
	s_cbranch_vccz .LBB4_9551
; %bb.9550:                             ;   in Loop: Header=BB4_9543 Depth=2
	s_cmp_gt_i32 s28, -1
	s_cselect_b32 s7, s22, 0xff800000
	s_cmp_eq_u32 s27, 0
	s_cselect_b32 s7, s7, 0x7f800001
.LBB4_9551:                             ;   in Loop: Header=BB4_9543 Depth=2
	flat_load_i8 v16, v[10:11] th:TH_LOAD_NT
	v_mov_b32_e32 v3, 0
	s_mov_b32 s10, exec_lo
	s_wait_loadcnt_dscnt 0x0
	v_cmpx_ne_u16_e32 0, v16
	s_cbranch_execz .LBB4_9561
; %bb.9552:                             ;   in Loop: Header=BB4_9543 Depth=2
	v_bfrev_b32_e32 v3, 1
	s_mov_b32 s11, exec_lo
	v_cmpx_ne_u16_e32 0xff80, v16
	s_cbranch_execz .LBB4_9560
; %bb.9553:                             ;   in Loop: Header=BB4_9543 Depth=2
	v_and_b32_e32 v3, 0x7c, v16
	v_and_b32_e32 v2, 3, v16
	s_delay_alu instid0(VALU_DEP_2) | instskip(SKIP_1) | instid1(SALU_CYCLE_1)
	v_cmp_ne_u32_e32 vcc_lo, 0x7c, v3
                                        ; implicit-def: $vgpr3
	s_and_saveexec_b32 s27, vcc_lo
	s_xor_b32 s27, exec_lo, s27
	s_cbranch_execz .LBB4_9557
; %bb.9554:                             ;   in Loop: Header=BB4_9543 Depth=2
	v_and_b32_e32 v3, 0xff, v16
	s_mov_b32 s28, exec_lo
	s_delay_alu instid0(VALU_DEP_1) | instskip(NEXT) | instid1(VALU_DEP_1)
	v_bfe_u32 v3, v3, 2, 5
	v_cmpx_eq_u32_e32 0, v3
; %bb.9555:                             ;   in Loop: Header=BB4_9543 Depth=2
	v_clz_i32_u32_e32 v2, v2
	s_delay_alu instid0(VALU_DEP_1) | instskip(SKIP_1) | instid1(VALU_DEP_2)
	v_min_u32_e32 v20, 32, v2
	v_mov_b32_e32 v17, v37
	v_subrev_nc_u32_e32 v2, 29, v20
	s_delay_alu instid0(VALU_DEP_1) | instskip(NEXT) | instid1(VALU_DEP_1)
	v_lshlrev_b64_e32 v[2:3], v2, v[16:17]
	v_dual_sub_nc_u32 v3, 30, v20 :: v_dual_bitop2_b32 v2, 3, v2 bitop3:0x40
; %bb.9556:                             ;   in Loop: Header=BB4_9543 Depth=2
	s_or_b32 exec_lo, exec_lo, s28
	v_bfe_i32 v16, v16, 0, 16
	s_delay_alu instid0(VALU_DEP_1) | instskip(NEXT) | instid1(VALU_DEP_1)
	v_and_b32_e32 v16, 0x80000000, v16
	v_lshl_add_u32 v3, v3, 23, v16
                                        ; implicit-def: $vgpr16
	s_delay_alu instid0(VALU_DEP_1) | instskip(NEXT) | instid1(VALU_DEP_1)
	v_lshl_or_b32 v2, v2, 21, v3
	v_add_nc_u32_e32 v3, 0x38000000, v2
                                        ; implicit-def: $vgpr2
.LBB4_9557:                             ;   in Loop: Header=BB4_9543 Depth=2
	s_and_not1_saveexec_b32 s27, s27
; %bb.9558:                             ;   in Loop: Header=BB4_9543 Depth=2
	v_cmp_lt_i16_e32 vcc_lo, -1, v16
	v_cndmask_b32_e32 v3, 0xff800000, v109, vcc_lo
	v_cmp_eq_u32_e32 vcc_lo, 0, v2
	s_delay_alu instid0(VALU_DEP_2)
	v_cndmask_b32_e32 v3, 0x7f800001, v3, vcc_lo
; %bb.9559:                             ;   in Loop: Header=BB4_9543 Depth=2
	s_or_b32 exec_lo, exec_lo, s27
.LBB4_9560:                             ;   in Loop: Header=BB4_9543 Depth=2
	s_delay_alu instid0(SALU_CYCLE_1)
	s_or_b32 exec_lo, exec_lo, s11
.LBB4_9561:                             ;   in Loop: Header=BB4_9543 Depth=2
	s_delay_alu instid0(SALU_CYCLE_1) | instskip(NEXT) | instid1(VALU_DEP_1)
	s_or_b32 exec_lo, exec_lo, s10
	v_dual_mul_f32 v3, s7, v3 :: v_dual_mov_b32 v17, v37
	s_delay_alu instid0(VALU_DEP_1) | instskip(SKIP_1) | instid1(VALU_DEP_2)
	v_and_b32_e32 v16, 0x7f800000, v3
	v_and_b32_e32 v36, 0x7fffff, v3
	v_cmp_ne_u64_e32 vcc_lo, 0x7f800000, v[16:17]
                                        ; implicit-def: $vgpr16
	s_and_saveexec_b32 s7, vcc_lo
	s_delay_alu instid0(SALU_CYCLE_1)
	s_xor_b32 s10, exec_lo, s7
	s_cbranch_execz .LBB4_9579
; %bb.9562:                             ;   in Loop: Header=BB4_9543 Depth=2
	v_and_b32_e32 v16, 0x7fffffff, v3
	v_dual_mov_b32 v17, v37 :: v_dual_lshrrev_b32 v2, 24, v3
	s_delay_alu instid0(VALU_DEP_1) | instskip(NEXT) | instid1(VALU_DEP_2)
	v_cmp_gt_u64_e32 vcc_lo, 0x47600001, v[16:17]
	v_and_b32_e32 v2, 0x80, v2
                                        ; implicit-def: $vgpr16
	s_and_saveexec_b32 s7, vcc_lo
	s_delay_alu instid0(SALU_CYCLE_1)
	s_xor_b32 s11, exec_lo, s7
	s_cbranch_execz .LBB4_9576
; %bb.9563:                             ;   in Loop: Header=BB4_9543 Depth=2
	v_mov_b32_e32 v16, 0
	s_mov_b32 s27, exec_lo
	v_cmpx_ne_u32_e32 0, v3
	s_cbranch_execz .LBB4_9575
; %bb.9564:                             ;   in Loop: Header=BB4_9543 Depth=2
	v_bfe_u32 v3, v3, 23, 8
	v_or_b32_e32 v21, 0x800000, v36
	s_delay_alu instid0(VALU_DEP_2) | instskip(SKIP_1) | instid1(VALU_DEP_2)
	v_dual_mov_b32 v25, v37 :: v_dual_sub_nc_u32 v16, 0x71, v3
	v_cmp_gt_u32_e32 vcc_lo, 0x72, v3
	v_cndmask_b32_e32 v16, 0, v16, vcc_lo
	v_cmp_eq_u32_e32 vcc_lo, 0, v3
	s_delay_alu instid0(VALU_DEP_2) | instskip(SKIP_1) | instid1(VALU_DEP_2)
	v_cndmask_b32_e64 v20, v16, 0x70, vcc_lo
	v_cndmask_b32_e32 v24, v21, v36, vcc_lo
	v_dual_add_nc_u32 v16, 21, v20 :: v_dual_add_nc_u32 v30, 20, v20
	s_delay_alu instid0(VALU_DEP_1) | instskip(NEXT) | instid1(VALU_DEP_2)
	v_lshlrev_b64_e64 v[16:17], v16, -1
	v_lshlrev_b64_e64 v[30:31], v30, 1
	s_delay_alu instid0(VALU_DEP_2) | instskip(NEXT) | instid1(VALU_DEP_3)
	v_bfi_b32 v69, v17, 0, 0
	v_bfi_b32 v68, v16, 0, v24
	v_lshrrev_b64 v[16:17], v20, v[24:25]
	s_delay_alu instid0(VALU_DEP_2) | instskip(NEXT) | instid1(VALU_DEP_2)
	v_cmp_eq_u64_e64 s7, v[68:69], v[30:31]
	v_mov_b64_e32 v[68:69], v[16:17]
	s_and_saveexec_b32 s28, s7
; %bb.9565:                             ;   in Loop: Header=BB4_9543 Depth=2
	v_bfe_u32 v24, v16, 21, 1
	v_mov_b32_e32 v25, v37
	s_delay_alu instid0(VALU_DEP_1) | instskip(NEXT) | instid1(VALU_DEP_1)
	v_add_nc_u64_e32 v[24:25], v[16:17], v[24:25]
	v_add_nc_u64_e32 v[68:69], -1, v[24:25]
; %bb.9566:                             ;   in Loop: Header=BB4_9543 Depth=2
	s_or_b32 exec_lo, exec_lo, s28
	v_add_nc_u32_e32 v3, 0xffffff81, v3
	s_delay_alu instid0(VALU_DEP_2) | instskip(SKIP_2) | instid1(VALU_DEP_3)
	v_and_b32_e32 v21, 0x1fffff, v68
	v_lshrrev_b32_e32 v17, 23, v16
	s_mov_b32 s7, exec_lo
	v_cndmask_b32_e64 v3, v3, 0xffffff82, vcc_lo
	s_delay_alu instid0(VALU_DEP_3) | instskip(NEXT) | instid1(VALU_DEP_2)
	v_add_nc_u32_e32 v36, v21, v16
	v_add3_u32 v20, v20, v3, v17
                                        ; implicit-def: $vgpr16_vgpr17
                                        ; implicit-def: $vgpr3
	s_delay_alu instid0(VALU_DEP_1) | instskip(NEXT) | instid1(VALU_DEP_1)
	v_add_nc_u32_e32 v21, 14, v20
	v_cmpx_ne_u32_e32 0, v21
	s_xor_b32 s7, exec_lo, s7
; %bb.9567:                             ;   in Loop: Header=BB4_9543 Depth=2
	v_cmp_lt_u64_e32 vcc_lo, 0xffffff, v[36:37]
	v_add_nc_u32_e32 v3, 15, v20
	v_cndmask_b32_e64 v16, 0, 1, vcc_lo
	s_delay_alu instid0(VALU_DEP_2) | instskip(NEXT) | instid1(VALU_DEP_2)
	v_cndmask_b32_e32 v3, v21, v3, vcc_lo
	v_lshrrev_b64 v[16:17], v16, v[36:37]
; %bb.9568:                             ;   in Loop: Header=BB4_9543 Depth=2
	s_and_not1_saveexec_b32 s7, s7
; %bb.9569:                             ;   in Loop: Header=BB4_9543 Depth=2
	v_mov_b64_e32 v[16:17], v[36:37]
	v_bfe_u32 v3, v36, 23, 1
; %bb.9570:                             ;   in Loop: Header=BB4_9543 Depth=2
	s_or_b32 exec_lo, exec_lo, s7
	s_delay_alu instid0(VALU_DEP_2) | instskip(NEXT) | instid1(VALU_DEP_2)
	v_lshrrev_b64 v[16:17], 21, v[16:17]
	v_cmp_gt_i32_e32 vcc_lo, 32, v3
	v_cmp_ne_u32_e64 s7, 0, v3
	s_delay_alu instid0(VALU_DEP_3) | instskip(NEXT) | instid1(VALU_DEP_1)
	v_dual_cndmask_b32 v69, 0, v17 :: v_dual_cndmask_b32 v68, 3, v16
                                        ; implicit-def: $vgpr16
	v_cmp_ne_u64_e32 vcc_lo, 0, v[68:69]
	s_or_b32 s7, s7, vcc_lo
	s_delay_alu instid0(SALU_CYCLE_1) | instskip(NEXT) | instid1(SALU_CYCLE_1)
	s_and_saveexec_b32 s28, s7
	s_xor_b32 s7, exec_lo, s28
; %bb.9571:                             ;   in Loop: Header=BB4_9543 Depth=2
	v_min_i32_e32 v3, 31, v3
	s_delay_alu instid0(VALU_DEP_1) | instskip(NEXT) | instid1(VALU_DEP_1)
	v_lshl_or_b32 v2, v3, 2, v2
	v_and_or_b32 v16, v68, 3, v2
                                        ; implicit-def: $vgpr2
; %bb.9572:                             ;   in Loop: Header=BB4_9543 Depth=2
	s_and_not1_saveexec_b32 s7, s7
; %bb.9573:                             ;   in Loop: Header=BB4_9543 Depth=2
	v_mov_b32_e32 v16, v2
; %bb.9574:                             ;   in Loop: Header=BB4_9543 Depth=2
	s_or_b32 exec_lo, exec_lo, s7
.LBB4_9575:                             ;   in Loop: Header=BB4_9543 Depth=2
	s_delay_alu instid0(SALU_CYCLE_1)
	s_or_b32 exec_lo, exec_lo, s27
                                        ; implicit-def: $vgpr2
.LBB4_9576:                             ;   in Loop: Header=BB4_9543 Depth=2
	s_and_not1_saveexec_b32 s7, s11
; %bb.9577:                             ;   in Loop: Header=BB4_9543 Depth=2
	v_or_b32_e32 v16, 0x7b, v2
; %bb.9578:                             ;   in Loop: Header=BB4_9543 Depth=2
	s_or_b32 exec_lo, exec_lo, s7
                                        ; implicit-def: $vgpr3
.LBB4_9579:                             ;   in Loop: Header=BB4_9543 Depth=2
	s_and_not1_saveexec_b32 s7, s10
	s_cbranch_execz .LBB4_9585
; %bb.9580:                             ;   in Loop: Header=BB4_9543 Depth=2
	s_mov_b32 s10, exec_lo
                                        ; implicit-def: $vgpr16
	v_cmpx_ne_u64_e32 0, v[36:37]
	s_xor_b32 s10, exec_lo, s10
; %bb.9581:                             ;   in Loop: Header=BB4_9543 Depth=2
	v_lshrrev_b32_e32 v2, 24, v3
                                        ; implicit-def: $vgpr3
	s_delay_alu instid0(VALU_DEP_1)
	v_or_b32_e32 v16, 0x7f, v2
; %bb.9582:                             ;   in Loop: Header=BB4_9543 Depth=2
	s_and_not1_saveexec_b32 s10, s10
; %bb.9583:                             ;   in Loop: Header=BB4_9543 Depth=2
	v_cmp_lt_i32_e32 vcc_lo, -1, v3
	v_cndmask_b32_e64 v16, -4, 0x7c, vcc_lo
; %bb.9584:                             ;   in Loop: Header=BB4_9543 Depth=2
	s_or_b32 exec_lo, exec_lo, s10
.LBB4_9585:                             ;   in Loop: Header=BB4_9543 Depth=2
	s_delay_alu instid0(SALU_CYCLE_1)
	s_or_b32 exec_lo, exec_lo, s7
	flat_load_i8 v68, v[12:13] th:TH_LOAD_NT
	v_and_b32_e32 v20, 0xff, v16
	v_dual_mov_b32 v2, 0 :: v_dual_mov_b32 v3, 0
	s_mov_b32 s7, exec_lo
	s_wait_xcnt 0x0
	s_delay_alu instid0(VALU_DEP_2)
	v_cmpx_ne_u16_e32 0, v20
	s_cbranch_execz .LBB4_9595
; %bb.9586:                             ;   in Loop: Header=BB4_9543 Depth=2
	v_bfrev_b32_e32 v3, 1
	s_mov_b32 s10, exec_lo
	v_cmpx_ne_u16_e32 0x80, v20
	s_cbranch_execz .LBB4_9594
; %bb.9587:                             ;   in Loop: Header=BB4_9543 Depth=2
	v_and_b32_e32 v3, 0x7c, v16
	v_and_b32_e32 v17, 3, v16
	s_delay_alu instid0(VALU_DEP_2) | instskip(SKIP_1) | instid1(SALU_CYCLE_1)
	v_cmp_ne_u32_e32 vcc_lo, 0x7c, v3
                                        ; implicit-def: $vgpr3
	s_and_saveexec_b32 s11, vcc_lo
	s_xor_b32 s11, exec_lo, s11
	s_cbranch_execz .LBB4_9591
; %bb.9588:                             ;   in Loop: Header=BB4_9543 Depth=2
	v_bfe_u32 v3, v20, 2, 5
	s_mov_b32 s27, exec_lo
	s_delay_alu instid0(VALU_DEP_1)
	v_cmpx_eq_u32_e32 0, v3
	s_cbranch_execz .LBB4_9590
; %bb.9589:                             ;   in Loop: Header=BB4_9543 Depth=2
	v_clz_i32_u32_e32 v3, v17
	s_delay_alu instid0(VALU_DEP_1) | instskip(SKIP_1) | instid1(VALU_DEP_2)
	v_min_u32_e32 v3, 32, v3
	v_mov_b32_e32 v17, v37
	v_subrev_nc_u32_e32 v20, 29, v3
	v_sub_nc_u32_e32 v3, 30, v3
	s_delay_alu instid0(VALU_DEP_2) | instskip(NEXT) | instid1(VALU_DEP_1)
	v_lshlrev_b64_e32 v[20:21], v20, v[16:17]
	v_and_b32_e32 v17, 3, v20
.LBB4_9590:                             ;   in Loop: Header=BB4_9543 Depth=2
	s_or_b32 exec_lo, exec_lo, s27
	v_lshlrev_b32_e32 v16, 24, v16
	s_delay_alu instid0(VALU_DEP_1) | instskip(NEXT) | instid1(VALU_DEP_1)
	v_and_b32_e32 v16, 0x80000000, v16
	v_lshl_add_u32 v3, v3, 23, v16
                                        ; implicit-def: $vgpr16
	s_delay_alu instid0(VALU_DEP_1) | instskip(NEXT) | instid1(VALU_DEP_1)
	v_lshl_or_b32 v3, v17, 21, v3
                                        ; implicit-def: $vgpr17
	v_add_nc_u32_e32 v3, 0x38000000, v3
.LBB4_9591:                             ;   in Loop: Header=BB4_9543 Depth=2
	s_and_not1_saveexec_b32 s11, s11
; %bb.9592:                             ;   in Loop: Header=BB4_9543 Depth=2
	v_bfe_i32 v3, v16, 0, 8
	s_delay_alu instid0(VALU_DEP_1) | instskip(SKIP_2) | instid1(VALU_DEP_2)
	v_cmp_lt_i16_e32 vcc_lo, -1, v3
	v_cndmask_b32_e32 v3, 0xff800000, v109, vcc_lo
	v_cmp_eq_u32_e32 vcc_lo, 0, v17
	v_cndmask_b32_e32 v3, 0x7f800001, v3, vcc_lo
; %bb.9593:                             ;   in Loop: Header=BB4_9543 Depth=2
	s_or_b32 exec_lo, exec_lo, s11
.LBB4_9594:                             ;   in Loop: Header=BB4_9543 Depth=2
	s_delay_alu instid0(SALU_CYCLE_1)
	s_or_b32 exec_lo, exec_lo, s10
.LBB4_9595:                             ;   in Loop: Header=BB4_9543 Depth=2
	s_delay_alu instid0(SALU_CYCLE_1) | instskip(NEXT) | instid1(SALU_CYCLE_1)
	s_or_b32 exec_lo, exec_lo, s7
	s_mov_b32 s7, exec_lo
	s_wait_loadcnt_dscnt 0x0
	v_cmpx_ne_u16_e32 0, v68
	s_cbranch_execz .LBB4_9605
; %bb.9596:                             ;   in Loop: Header=BB4_9543 Depth=2
	v_bfrev_b32_e32 v2, 1
	s_mov_b32 s10, exec_lo
	v_cmpx_ne_u16_e32 0xff80, v68
	s_cbranch_execz .LBB4_9604
; %bb.9597:                             ;   in Loop: Header=BB4_9543 Depth=2
	v_and_b32_e32 v2, 0x7c, v68
	v_and_b32_e32 v16, 3, v68
	s_delay_alu instid0(VALU_DEP_2) | instskip(SKIP_1) | instid1(SALU_CYCLE_1)
	v_cmp_ne_u32_e32 vcc_lo, 0x7c, v2
                                        ; implicit-def: $vgpr2
	s_and_saveexec_b32 s11, vcc_lo
	s_xor_b32 s11, exec_lo, s11
	s_cbranch_execz .LBB4_9601
; %bb.9598:                             ;   in Loop: Header=BB4_9543 Depth=2
	v_and_b32_e32 v2, 0xff, v68
	s_mov_b32 s27, exec_lo
	s_delay_alu instid0(VALU_DEP_1) | instskip(NEXT) | instid1(VALU_DEP_1)
	v_bfe_u32 v2, v2, 2, 5
	v_cmpx_eq_u32_e32 0, v2
	s_cbranch_execz .LBB4_9600
; %bb.9599:                             ;   in Loop: Header=BB4_9543 Depth=2
	v_clz_i32_u32_e32 v2, v16
	s_delay_alu instid0(VALU_DEP_1) | instskip(SKIP_1) | instid1(VALU_DEP_2)
	v_min_u32_e32 v2, 32, v2
	v_mov_b32_e32 v69, v37
	v_subrev_nc_u32_e32 v16, 29, v2
	v_sub_nc_u32_e32 v2, 30, v2
	s_delay_alu instid0(VALU_DEP_2) | instskip(NEXT) | instid1(VALU_DEP_1)
	v_lshlrev_b64_e32 v[16:17], v16, v[68:69]
	v_and_b32_e32 v16, 3, v16
.LBB4_9600:                             ;   in Loop: Header=BB4_9543 Depth=2
	s_or_b32 exec_lo, exec_lo, s27
	v_bfe_i32 v17, v68, 0, 16
                                        ; implicit-def: $vgpr68
	s_delay_alu instid0(VALU_DEP_1) | instskip(NEXT) | instid1(VALU_DEP_1)
	v_and_b32_e32 v17, 0x80000000, v17
	v_lshl_add_u32 v2, v2, 23, v17
	s_delay_alu instid0(VALU_DEP_1) | instskip(NEXT) | instid1(VALU_DEP_1)
	v_lshl_or_b32 v2, v16, 21, v2
                                        ; implicit-def: $vgpr16
	v_add_nc_u32_e32 v2, 0x38000000, v2
.LBB4_9601:                             ;   in Loop: Header=BB4_9543 Depth=2
	s_and_not1_saveexec_b32 s11, s11
; %bb.9602:                             ;   in Loop: Header=BB4_9543 Depth=2
	v_cmp_lt_i16_e32 vcc_lo, -1, v68
	v_cndmask_b32_e32 v2, 0xff800000, v109, vcc_lo
	v_cmp_eq_u32_e32 vcc_lo, 0, v16
	s_delay_alu instid0(VALU_DEP_2)
	v_cndmask_b32_e32 v2, 0x7f800001, v2, vcc_lo
; %bb.9603:                             ;   in Loop: Header=BB4_9543 Depth=2
	s_or_b32 exec_lo, exec_lo, s11
.LBB4_9604:                             ;   in Loop: Header=BB4_9543 Depth=2
	s_delay_alu instid0(SALU_CYCLE_1)
	s_or_b32 exec_lo, exec_lo, s10
.LBB4_9605:                             ;   in Loop: Header=BB4_9543 Depth=2
	s_delay_alu instid0(SALU_CYCLE_1) | instskip(NEXT) | instid1(VALU_DEP_1)
	s_or_b32 exec_lo, exec_lo, s7
	v_dual_add_f32 v16, v3, v2 :: v_dual_mov_b32 v3, v37
	s_delay_alu instid0(VALU_DEP_1) | instskip(SKIP_1) | instid1(VALU_DEP_2)
	v_and_b32_e32 v2, 0x7f800000, v16
	v_and_b32_e32 v36, 0x7fffff, v16
	v_cmp_ne_u64_e32 vcc_lo, 0x7f800000, v[2:3]
                                        ; implicit-def: $vgpr3
	s_and_saveexec_b32 s7, vcc_lo
	s_delay_alu instid0(SALU_CYCLE_1)
	s_xor_b32 s10, exec_lo, s7
	s_cbranch_execz .LBB4_9623
; %bb.9606:                             ;   in Loop: Header=BB4_9543 Depth=2
	v_and_b32_e32 v2, 0x7fffffff, v16
	v_dual_mov_b32 v3, v37 :: v_dual_lshrrev_b32 v17, 24, v16
	s_delay_alu instid0(VALU_DEP_1) | instskip(NEXT) | instid1(VALU_DEP_2)
	v_cmp_gt_u64_e32 vcc_lo, 0x47600001, v[2:3]
	v_and_b32_e32 v2, 0x80, v17
                                        ; implicit-def: $vgpr3
	s_and_saveexec_b32 s7, vcc_lo
	s_delay_alu instid0(SALU_CYCLE_1)
	s_xor_b32 s11, exec_lo, s7
	s_cbranch_execz .LBB4_9620
; %bb.9607:                             ;   in Loop: Header=BB4_9543 Depth=2
	v_mov_b32_e32 v3, 0
	s_mov_b32 s27, exec_lo
	v_cmpx_ne_u32_e32 0, v16
	s_cbranch_execz .LBB4_9619
; %bb.9608:                             ;   in Loop: Header=BB4_9543 Depth=2
	v_bfe_u32 v3, v16, 23, 8
	v_or_b32_e32 v21, 0x800000, v36
	s_delay_alu instid0(VALU_DEP_2) | instskip(SKIP_1) | instid1(VALU_DEP_2)
	v_dual_mov_b32 v25, v37 :: v_dual_sub_nc_u32 v16, 0x71, v3
	v_cmp_gt_u32_e32 vcc_lo, 0x72, v3
	v_cndmask_b32_e32 v16, 0, v16, vcc_lo
	v_cmp_eq_u32_e32 vcc_lo, 0, v3
	s_delay_alu instid0(VALU_DEP_2) | instskip(SKIP_1) | instid1(VALU_DEP_2)
	v_cndmask_b32_e64 v20, v16, 0x70, vcc_lo
	v_cndmask_b32_e32 v24, v21, v36, vcc_lo
	v_dual_add_nc_u32 v16, 21, v20 :: v_dual_add_nc_u32 v30, 20, v20
	s_delay_alu instid0(VALU_DEP_1) | instskip(NEXT) | instid1(VALU_DEP_2)
	v_lshlrev_b64_e64 v[16:17], v16, -1
	v_lshlrev_b64_e64 v[30:31], v30, 1
	s_delay_alu instid0(VALU_DEP_2) | instskip(NEXT) | instid1(VALU_DEP_3)
	v_bfi_b32 v69, v17, 0, 0
	v_bfi_b32 v68, v16, 0, v24
	v_lshrrev_b64 v[16:17], v20, v[24:25]
	s_delay_alu instid0(VALU_DEP_2) | instskip(NEXT) | instid1(VALU_DEP_2)
	v_cmp_eq_u64_e64 s7, v[68:69], v[30:31]
	v_mov_b64_e32 v[68:69], v[16:17]
	s_and_saveexec_b32 s28, s7
; %bb.9609:                             ;   in Loop: Header=BB4_9543 Depth=2
	v_bfe_u32 v24, v16, 21, 1
	v_mov_b32_e32 v25, v37
	s_delay_alu instid0(VALU_DEP_1) | instskip(NEXT) | instid1(VALU_DEP_1)
	v_add_nc_u64_e32 v[24:25], v[16:17], v[24:25]
	v_add_nc_u64_e32 v[68:69], -1, v[24:25]
; %bb.9610:                             ;   in Loop: Header=BB4_9543 Depth=2
	s_or_b32 exec_lo, exec_lo, s28
	v_add_nc_u32_e32 v3, 0xffffff81, v3
	s_delay_alu instid0(VALU_DEP_2) | instskip(SKIP_2) | instid1(VALU_DEP_3)
	v_and_b32_e32 v21, 0x1fffff, v68
	v_lshrrev_b32_e32 v17, 23, v16
	s_mov_b32 s7, exec_lo
	v_cndmask_b32_e64 v3, v3, 0xffffff82, vcc_lo
	s_delay_alu instid0(VALU_DEP_3) | instskip(NEXT) | instid1(VALU_DEP_2)
	v_add_nc_u32_e32 v36, v21, v16
	v_add3_u32 v3, v20, v3, v17
                                        ; implicit-def: $vgpr16_vgpr17
                                        ; implicit-def: $vgpr20
	s_delay_alu instid0(VALU_DEP_1) | instskip(NEXT) | instid1(VALU_DEP_1)
	v_add_nc_u32_e32 v21, 14, v3
	v_cmpx_ne_u32_e32 0, v21
	s_xor_b32 s7, exec_lo, s7
; %bb.9611:                             ;   in Loop: Header=BB4_9543 Depth=2
	v_cmp_lt_u64_e32 vcc_lo, 0xffffff, v[36:37]
	v_add_nc_u32_e32 v3, 15, v3
	s_delay_alu instid0(VALU_DEP_1) | instskip(SKIP_1) | instid1(VALU_DEP_1)
	v_cndmask_b32_e32 v20, v21, v3, vcc_lo
	v_cndmask_b32_e64 v3, 0, 1, vcc_lo
	v_lshrrev_b64 v[16:17], v3, v[36:37]
; %bb.9612:                             ;   in Loop: Header=BB4_9543 Depth=2
	s_and_not1_saveexec_b32 s7, s7
; %bb.9613:                             ;   in Loop: Header=BB4_9543 Depth=2
	v_mov_b64_e32 v[16:17], v[36:37]
	v_bfe_u32 v20, v36, 23, 1
; %bb.9614:                             ;   in Loop: Header=BB4_9543 Depth=2
	s_or_b32 exec_lo, exec_lo, s7
	s_delay_alu instid0(VALU_DEP_2) | instskip(NEXT) | instid1(VALU_DEP_2)
	v_lshrrev_b64 v[16:17], 21, v[16:17]
	v_cmp_gt_i32_e32 vcc_lo, 32, v20
	v_cmp_ne_u32_e64 s7, 0, v20
                                        ; implicit-def: $vgpr3
	s_delay_alu instid0(VALU_DEP_3) | instskip(NEXT) | instid1(VALU_DEP_1)
	v_dual_cndmask_b32 v17, 0, v17 :: v_dual_cndmask_b32 v16, 3, v16
	v_cmp_ne_u64_e32 vcc_lo, 0, v[16:17]
	s_or_b32 s7, s7, vcc_lo
	s_delay_alu instid0(SALU_CYCLE_1) | instskip(NEXT) | instid1(SALU_CYCLE_1)
	s_and_saveexec_b32 s28, s7
	s_xor_b32 s7, exec_lo, s28
; %bb.9615:                             ;   in Loop: Header=BB4_9543 Depth=2
	v_min_i32_e32 v3, 31, v20
	s_delay_alu instid0(VALU_DEP_1) | instskip(NEXT) | instid1(VALU_DEP_1)
	v_lshl_or_b32 v2, v3, 2, v2
	v_and_or_b32 v3, v16, 3, v2
                                        ; implicit-def: $vgpr2
; %bb.9616:                             ;   in Loop: Header=BB4_9543 Depth=2
	s_and_not1_saveexec_b32 s7, s7
; %bb.9617:                             ;   in Loop: Header=BB4_9543 Depth=2
	v_mov_b32_e32 v3, v2
; %bb.9618:                             ;   in Loop: Header=BB4_9543 Depth=2
	s_or_b32 exec_lo, exec_lo, s7
.LBB4_9619:                             ;   in Loop: Header=BB4_9543 Depth=2
	s_delay_alu instid0(SALU_CYCLE_1)
	s_or_b32 exec_lo, exec_lo, s27
                                        ; implicit-def: $vgpr2
.LBB4_9620:                             ;   in Loop: Header=BB4_9543 Depth=2
	s_and_not1_saveexec_b32 s7, s11
; %bb.9621:                             ;   in Loop: Header=BB4_9543 Depth=2
	v_or_b32_e32 v3, 0x7b, v2
; %bb.9622:                             ;   in Loop: Header=BB4_9543 Depth=2
	s_or_b32 exec_lo, exec_lo, s7
                                        ; implicit-def: $vgpr16
.LBB4_9623:                             ;   in Loop: Header=BB4_9543 Depth=2
	s_and_not1_saveexec_b32 s7, s10
	s_cbranch_execz .LBB4_9542
; %bb.9624:                             ;   in Loop: Header=BB4_9543 Depth=2
	s_mov_b32 s10, exec_lo
                                        ; implicit-def: $vgpr3
	v_cmpx_ne_u64_e32 0, v[36:37]
	s_xor_b32 s10, exec_lo, s10
; %bb.9625:                             ;   in Loop: Header=BB4_9543 Depth=2
	v_lshrrev_b32_e32 v2, 24, v16
                                        ; implicit-def: $vgpr16
	s_delay_alu instid0(VALU_DEP_1)
	v_or_b32_e32 v3, 0x7f, v2
; %bb.9626:                             ;   in Loop: Header=BB4_9543 Depth=2
	s_and_not1_saveexec_b32 s10, s10
	s_cbranch_execz .LBB4_9541
; %bb.9627:                             ;   in Loop: Header=BB4_9543 Depth=2
	v_cmp_lt_i32_e32 vcc_lo, -1, v16
	v_cndmask_b32_e64 v3, -4, 0x7c, vcc_lo
	s_branch .LBB4_9541
.LBB4_9628:                             ;   in Loop: Header=BB4_4883 Depth=1
	s_or_b32 exec_lo, exec_lo, s25
	v_cmp_ne_u32_e64 s7, 0, v111
	s_and_saveexec_b32 s10, s2
	s_cbranch_execz .LBB4_9647
.LBB4_9629:                             ;   in Loop: Header=BB4_4883 Depth=1
	s_and_saveexec_b32 s11, s3
	s_delay_alu instid0(SALU_CYCLE_1)
	s_xor_b32 s11, exec_lo, s11
	s_cbranch_execz .LBB4_9644
; %bb.9630:                             ;   in Loop: Header=BB4_4883 Depth=1
	s_and_saveexec_b32 s25, s4
	s_cbranch_execz .LBB4_9643
; %bb.9631:                             ;   in Loop: Header=BB4_4883 Depth=1
	s_mov_b32 s27, exec_lo
	s_mov_b32 s26, exec_lo
	v_mbcnt_lo_u32_b32 v0, s27, 0
	global_wb scope:SCOPE_DEV
	s_wait_storecnt 0x0
	s_wait_loadcnt_dscnt 0x0
	global_inv scope:SCOPE_DEV
	v_cmpx_eq_u32_e32 0, v0
	s_cbranch_execz .LBB4_9633
; %bb.9632:                             ;   in Loop: Header=BB4_4883 Depth=1
	s_bcnt1_i32_b32 s27, s27
	s_delay_alu instid0(SALU_CYCLE_1)
	v_dual_mov_b32 v3, v37 :: v_dual_mov_b32 v2, s27
	s_wait_loadcnt 0x0
	ds_add_u64 v0, v[2:3]
	s_trap 2
.LBB4_9633:                             ;   in Loop: Header=BB4_4883 Depth=1
	s_or_b32 exec_lo, exec_lo, s26
	s_trap 2
	ds_load_b64 v[2:3], v0
	s_wait_dscnt 0x0
	v_add_nc_u64_e32 v[28:29], v[28:29], v[38:39]
	s_mov_b32 s26, exec_lo
	s_delay_alu instid0(VALU_DEP_1)
	v_cmpx_lt_u64_e64 v[2:3], v[28:29]
	s_cbranch_execz .LBB4_9642
; %bb.9634:                             ;   in Loop: Header=BB4_4883 Depth=1
	s_mov_b32 s27, 0
	s_mov_b32 s40, 0
                                        ; implicit-def: $sgpr28
                                        ; implicit-def: $sgpr29
	s_branch .LBB4_9636
.LBB4_9635:                             ;   in Loop: Header=BB4_9636 Depth=2
	s_or_b32 exec_lo, exec_lo, s42
	s_delay_alu instid0(SALU_CYCLE_1) | instskip(NEXT) | instid1(SALU_CYCLE_1)
	s_and_b32 s41, exec_lo, s43
	s_or_b32 s27, s41, s27
	s_and_not1_b32 s28, s28, exec_lo
	s_and_b32 s41, s29, exec_lo
	s_delay_alu instid0(SALU_CYCLE_1)
	s_or_b32 s28, s28, s41
	s_and_not1_b32 exec_lo, exec_lo, s27
	s_cbranch_execz .LBB4_9640
.LBB4_9636:                             ;   Parent Loop BB4_4883 Depth=1
                                        ; =>  This Inner Loop Header: Depth=2
	s_add_co_i32 s40, s40, 1
	s_delay_alu instid0(SALU_CYCLE_1) | instskip(SKIP_1) | instid1(SALU_CYCLE_1)
	s_cmp_lg_u32 s40, 0x2710
	s_cselect_b32 s41, -1, 0
	s_and_b32 vcc_lo, exec_lo, s41
	s_cbranch_vccz .LBB4_9638
; %bb.9637:                             ;   in Loop: Header=BB4_9636 Depth=2
	s_mov_b32 s43, -1
	s_or_b32 s29, s29, exec_lo
	s_and_saveexec_b32 s42, s41
	s_cbranch_execz .LBB4_9635
	s_branch .LBB4_9639
.LBB4_9638:                             ;   in Loop: Header=BB4_9636 Depth=2
	s_trap 2
	ds_load_b64 v[2:3], v0
	s_and_not1_b32 s41, s41, exec_lo
	s_mov_b32 s40, 0
	s_wait_loadcnt_dscnt 0x0
	flat_load_b32 v0, v[2:3] scope:SCOPE_SYS
	s_wait_loadcnt_dscnt 0x0
	global_inv scope:SCOPE_SYS
	v_cmp_eq_u32_e32 vcc_lo, 0, v0
	s_and_b32 s42, vcc_lo, exec_lo
	s_delay_alu instid0(SALU_CYCLE_1)
	s_or_b32 s41, s41, s42
	s_mov_b32 s43, -1
	s_or_b32 s29, s29, exec_lo
	s_and_saveexec_b32 s42, s41
	s_cbranch_execz .LBB4_9635
.LBB4_9639:                             ;   in Loop: Header=BB4_9636 Depth=2
	s_sleep 1
	s_trap 2
	ds_load_b64 v[2:3], v0
	s_wait_dscnt 0x0
	s_and_not1_b32 s29, s29, exec_lo
	v_cmp_ge_u64_e32 vcc_lo, v[2:3], v[28:29]
	s_or_not1_b32 s43, vcc_lo, exec_lo
	s_branch .LBB4_9635
.LBB4_9640:                             ;   in Loop: Header=BB4_4883 Depth=1
	s_or_b32 exec_lo, exec_lo, s27
	s_and_saveexec_b32 s27, s28
	s_delay_alu instid0(SALU_CYCLE_1)
	s_xor_b32 s27, exec_lo, s27
	s_cbranch_execz .LBB4_9642
; %bb.9641:                             ;   in Loop: Header=BB4_4883 Depth=1
	ds_store_b32 v0, v108
	s_trap 2
.LBB4_9642:                             ;   in Loop: Header=BB4_4883 Depth=1
	s_or_b32 exec_lo, exec_lo, s26
	;;#ASMSTART
	s_wakeup
	;;#ASMEND
.LBB4_9643:                             ;   in Loop: Header=BB4_4883 Depth=1
	s_or_b32 exec_lo, exec_lo, s25
.LBB4_9644:                             ;   in Loop: Header=BB4_4883 Depth=1
	s_and_not1_saveexec_b32 s11, s11
	s_cbranch_execz .LBB4_9646
; %bb.9645:                             ;   in Loop: Header=BB4_4883 Depth=1
	global_wb scope:SCOPE_DEV
	s_wait_storecnt 0x0
	s_wait_loadcnt_dscnt 0x0
	global_inv scope:SCOPE_DEV
	s_barrier_signal -1
	s_barrier_wait -1
.LBB4_9646:                             ;   in Loop: Header=BB4_4883 Depth=1
	s_or_b32 exec_lo, exec_lo, s11
.LBB4_9647:                             ;   in Loop: Header=BB4_4883 Depth=1
	s_delay_alu instid0(SALU_CYCLE_1) | instskip(SKIP_1) | instid1(VALU_DEP_1)
	s_or_b32 exec_lo, exec_lo, s10
	v_and_b32_e32 v0, 16, v120
	v_cmp_ne_u32_e32 vcc_lo, 0, v0
	s_and_b32 s10, vcc_lo, s7
	s_delay_alu instid0(SALU_CYCLE_1)
	s_and_saveexec_b32 s7, s10
	s_cbranch_execz .LBB4_9649
; %bb.9648:                             ;   in Loop: Header=BB4_4883 Depth=1
	global_wb scope:SCOPE_SYS
	s_wait_storecnt 0x0
	s_wait_loadcnt_dscnt 0x0
	global_inv scope:SCOPE_SYS
.LBB4_9649:                             ;   in Loop: Header=BB4_4883 Depth=1
	s_or_b32 exec_lo, exec_lo, s7
	v_and_b32_e32 v0, 32, v120
	s_mov_b32 s7, exec_lo
	s_delay_alu instid0(VALU_DEP_1)
	v_cmpx_ne_u32_e32 0, v0
	s_cbranch_execz .LBB4_9651
; %bb.9650:                             ;   in Loop: Header=BB4_4883 Depth=1
	v_add_nc_u64_e32 v[8:9], 1, v[8:9]
	global_wb scope:SCOPE_SYS
	s_wait_storecnt 0x0
	s_wait_loadcnt_dscnt 0x0
	flat_store_b64 v[22:23], v[8:9] scope:SCOPE_SYS
.LBB4_9651:                             ;   in Loop: Header=BB4_4883 Depth=1
	s_wait_xcnt 0x0
	s_or_b32 exec_lo, exec_lo, s7
	v_mov_b32_e32 v0, v67
.LBB4_9652:                             ;   in Loop: Header=BB4_4883 Depth=1
	s_or_b32 exec_lo, exec_lo, s24
	s_and_saveexec_b32 s10, s23
	s_cbranch_execnz .LBB4_9653
; %bb.12948:                            ;   in Loop: Header=BB4_4883 Depth=1
	s_add_pc_i64 .LBB4_4882-.Lpost_addpc16
.Lpost_addpc16:
.LBB4_9653:                             ;   in Loop: Header=BB4_4883 Depth=1
	v_and_b32_e32 v2, 4, v120
	s_mov_b32 s11, exec_lo
	s_delay_alu instid0(VALU_DEP_1)
	v_cmpx_ne_u32_e32 0, v2
	s_cbranch_execz .LBB4_9675
; %bb.9654:                             ;   in Loop: Header=BB4_4883 Depth=1
	v_add_nc_u64_e32 v[10:11], 1, v[8:9]
	s_mov_b32 s23, exec_lo
	s_wait_loadcnt 0x0
	s_delay_alu instid0(VALU_DEP_1)
	v_cmpx_lt_u64_e64 v[32:33], v[10:11]
	s_cbranch_execz .LBB4_9666
; %bb.9655:                             ;   in Loop: Header=BB4_4883 Depth=1
	v_and_b32_e32 v2, 64, v120
	s_mov_b32 s24, 0
	s_mov_b32 s28, 0
                                        ; implicit-def: $sgpr25
                                        ; implicit-def: $sgpr26
                                        ; implicit-def: $sgpr27
	s_delay_alu instid0(VALU_DEP_1)
	v_cmp_eq_u32_e32 vcc_lo, 0, v2
	s_branch .LBB4_9658
.LBB4_9656:                             ;   in Loop: Header=BB4_9658 Depth=2
	s_or_b32 exec_lo, exec_lo, s43
	s_delay_alu instid0(SALU_CYCLE_1)
	s_and_not1_b32 s7, s27, exec_lo
	s_and_b32 s27, s41, exec_lo
	s_and_not1_b32 s26, s26, exec_lo
	s_and_b32 s40, s40, exec_lo
	s_or_b32 s27, s7, s27
	s_or_b32 s26, s26, s40
.LBB4_9657:                             ;   in Loop: Header=BB4_9658 Depth=2
	s_or_b32 exec_lo, exec_lo, s29
	s_delay_alu instid0(SALU_CYCLE_1) | instskip(NEXT) | instid1(SALU_CYCLE_1)
	s_and_b32 s7, exec_lo, s26
	s_or_b32 s24, s7, s24
	s_and_not1_b32 s7, s25, exec_lo
	s_and_b32 s25, s27, exec_lo
	s_delay_alu instid0(SALU_CYCLE_1)
	s_or_b32 s25, s7, s25
	s_and_not1_b32 exec_lo, exec_lo, s24
	s_cbranch_execz .LBB4_9663
.LBB4_9658:                             ;   Parent Loop BB4_4883 Depth=1
                                        ; =>  This Inner Loop Header: Depth=2
	s_sleep 1
	s_wait_loadcnt_dscnt 0x0
	flat_load_b64 v[32:33], v[22:23] scope:SCOPE_SYS
	s_or_b32 s27, s27, exec_lo
	s_or_b32 s26, s26, exec_lo
                                        ; implicit-def: $vgpr2
	s_wait_xcnt 0x0
	s_and_saveexec_b32 s29, vcc_lo
	s_cbranch_execz .LBB4_9657
; %bb.9659:                             ;   in Loop: Header=BB4_9658 Depth=2
	s_cmp_lt_i32 s28, 0x270f
	s_mov_b32 s40, -1
	s_cselect_b32 s42, -1, 0
	s_cmp_gt_i32 s28, 0x270e
	s_cbranch_scc0 .LBB4_9661
; %bb.9660:                             ;   in Loop: Header=BB4_9658 Depth=2
	s_trap 2
	ds_load_b64 v[2:3], v0
	s_and_not1_b32 s28, s42, exec_lo
	s_mov_b32 s41, 0
	s_wait_storecnt 0x0
	s_wait_loadcnt_dscnt 0x0
	flat_load_b32 v2, v[2:3] scope:SCOPE_SYS
	s_wait_loadcnt_dscnt 0x0
	global_inv scope:SCOPE_SYS
	v_cmp_eq_u32_e64 s7, 0, v2
	s_and_b32 s7, s7, exec_lo
	s_delay_alu instid0(SALU_CYCLE_1)
	s_or_b32 s42, s28, s7
	s_mov_b32 s28, 0
	s_and_saveexec_b32 s43, s42
	s_cbranch_execz .LBB4_9656
	s_branch .LBB4_9662
.LBB4_9661:                             ;   in Loop: Header=BB4_9658 Depth=2
	s_add_co_i32 s28, s28, 1
	s_mov_b32 s41, -1
                                        ; implicit-def: $vgpr2
	s_and_saveexec_b32 s43, s42
	s_cbranch_execz .LBB4_9656
.LBB4_9662:                             ;   in Loop: Header=BB4_9658 Depth=2
	s_wait_loadcnt_dscnt 0x0
	v_cmp_ge_u64_e64 s7, v[32:33], v[10:11]
	s_or_b32 s41, s41, exec_lo
	s_or_not1_b32 s40, s7, exec_lo
	s_branch .LBB4_9656
.LBB4_9663:                             ;   in Loop: Header=BB4_4883 Depth=1
	s_or_b32 exec_lo, exec_lo, s24
	s_xor_b32 s7, s25, -1
	s_delay_alu instid0(SALU_CYCLE_1) | instskip(NEXT) | instid1(SALU_CYCLE_1)
	s_and_saveexec_b32 s24, s7
	s_xor_b32 s7, exec_lo, s24
	s_cbranch_execz .LBB4_9665
; %bb.9664:                             ;   in Loop: Header=BB4_4883 Depth=1
	v_or_b32_e32 v120, 64, v120
	s_wait_storecnt 0x0
	s_wait_loadcnt_dscnt 0x0
	ds_store_b32 v0, v2
	s_trap 2
.LBB4_9665:                             ;   in Loop: Header=BB4_4883 Depth=1
	s_or_b32 exec_lo, exec_lo, s7
.LBB4_9666:                             ;   in Loop: Header=BB4_4883 Depth=1
	s_delay_alu instid0(SALU_CYCLE_1)
	s_or_b32 exec_lo, exec_lo, s23
	v_and_b32_e32 v2, 0x100, v120
	v_dual_mov_b32 v9, v37 :: v_dual_bitop2_b32 v8, 7, v8 bitop3:0x40
	s_mov_b32 s7, -1
	s_mov_b32 s23, exec_lo
	;;#ASMSTART
	s_wakeup
	;;#ASMEND
                                        ; implicit-def: $vgpr12_vgpr13
	v_cmpx_ne_u32_e32 0, v2
	s_cbranch_execz .LBB4_9670
; %bb.9667:                             ;   in Loop: Header=BB4_4883 Depth=1
	v_mad_nc_u64_u32 v[14:15], v8, 24, v[6:7]
	s_mov_b32 s24, exec_lo
                                        ; implicit-def: $vgpr12_vgpr13
	flat_load_b32 v2, v[14:15]
	s_wait_loadcnt_dscnt 0x0
	v_cmp_ne_u32_e32 vcc_lo, 1, v2
	s_wait_xcnt 0x0
	v_cmpx_eq_u32_e32 1, v2
	s_cbranch_execz .LBB4_9669
; %bb.9668:                             ;   in Loop: Header=BB4_4883 Depth=1
	flat_load_b32 v12, v[14:15] offset:4 scope:SCOPE_SYS
	s_wait_loadcnt_dscnt 0x0
	v_ashrrev_i32_e32 v13, 31, v12
.LBB4_9669:                             ;   in Loop: Header=BB4_4883 Depth=1
	s_wait_xcnt 0x0
	s_or_b32 exec_lo, exec_lo, s24
	s_delay_alu instid0(SALU_CYCLE_1)
	s_or_not1_b32 s7, vcc_lo, exec_lo
.LBB4_9670:                             ;   in Loop: Header=BB4_4883 Depth=1
	s_or_b32 exec_lo, exec_lo, s23
	s_and_saveexec_b32 s23, s7
	s_cbranch_execz .LBB4_9672
; %bb.9671:                             ;   in Loop: Header=BB4_4883 Depth=1
	scratch_load_b64 v[2:3], off, s33 offset:188 ; 8-byte Folded Reload
	s_wait_loadcnt 0x0
	v_mul_u64_e32 v[12:13], v[8:9], v[2:3]
.LBB4_9672:                             ;   in Loop: Header=BB4_4883 Depth=1
	s_wait_xcnt 0x0
	s_or_b32 exec_lo, exec_lo, s23
	s_delay_alu instid0(VALU_DEP_1)
	v_add_nc_u64_e32 v[2:3], v[26:27], v[12:13]
	v_and_b32_e32 v8, 0x2000, v120
	s_mov_b32 s7, exec_lo
	ds_store_b64 v0, v[2:3] offset:728
	v_cmpx_ne_u32_e32 0, v8
	s_cbranch_execz .LBB4_9674
; %bb.9673:                             ;   in Loop: Header=BB4_4883 Depth=1
	ds_load_b64 v[2:3], v0 offset:872
	s_wait_dscnt 0x0
	v_add_nc_u64_e32 v[2:3], 1, v[2:3]
	ds_store_b64 v0, v[2:3] offset:872
.LBB4_9674:                             ;   in Loop: Header=BB4_4883 Depth=1
	s_or_b32 exec_lo, exec_lo, s7
	v_mov_b64_e32 v[8:9], v[10:11]
.LBB4_9675:                             ;   in Loop: Header=BB4_4883 Depth=1
	s_or_b32 exec_lo, exec_lo, s11
	s_and_saveexec_b32 s7, s2
	s_cbranch_execz .LBB4_9694
; %bb.9676:                             ;   in Loop: Header=BB4_4883 Depth=1
	s_and_saveexec_b32 s11, s3
	s_delay_alu instid0(SALU_CYCLE_1)
	s_xor_b32 s11, exec_lo, s11
	s_cbranch_execz .LBB4_9691
; %bb.9677:                             ;   in Loop: Header=BB4_4883 Depth=1
	s_and_saveexec_b32 s23, s4
	s_cbranch_execz .LBB4_9690
; %bb.9678:                             ;   in Loop: Header=BB4_4883 Depth=1
	s_mov_b32 s25, exec_lo
	s_mov_b32 s24, exec_lo
	v_mbcnt_lo_u32_b32 v2, s25, 0
	global_wb scope:SCOPE_DEV
	s_wait_storecnt 0x0
	s_wait_loadcnt_dscnt 0x0
	global_inv scope:SCOPE_DEV
	v_cmpx_eq_u32_e32 0, v2
	s_cbranch_execz .LBB4_9680
; %bb.9679:                             ;   in Loop: Header=BB4_4883 Depth=1
	s_bcnt1_i32_b32 s25, s25
	s_delay_alu instid0(SALU_CYCLE_1)
	v_dual_mov_b32 v3, v37 :: v_dual_mov_b32 v2, s25
	s_wait_loadcnt 0x0
	ds_add_u64 v0, v[2:3]
	s_trap 2
.LBB4_9680:                             ;   in Loop: Header=BB4_4883 Depth=1
	s_or_b32 exec_lo, exec_lo, s24
	s_trap 2
	ds_load_b64 v[2:3], v0
	s_wait_dscnt 0x0
	v_add_nc_u64_e32 v[28:29], v[28:29], v[38:39]
	s_mov_b32 s24, exec_lo
	s_delay_alu instid0(VALU_DEP_1)
	v_cmpx_lt_u64_e64 v[2:3], v[28:29]
	s_cbranch_execz .LBB4_9689
; %bb.9681:                             ;   in Loop: Header=BB4_4883 Depth=1
	s_mov_b32 s25, 0
	s_mov_b32 s28, 0
                                        ; implicit-def: $sgpr26
                                        ; implicit-def: $sgpr27
	s_branch .LBB4_9683
.LBB4_9682:                             ;   in Loop: Header=BB4_9683 Depth=2
	s_or_b32 exec_lo, exec_lo, s40
	s_delay_alu instid0(SALU_CYCLE_1) | instskip(NEXT) | instid1(SALU_CYCLE_1)
	s_and_b32 s29, exec_lo, s41
	s_or_b32 s25, s29, s25
	s_and_not1_b32 s26, s26, exec_lo
	s_and_b32 s29, s27, exec_lo
	s_delay_alu instid0(SALU_CYCLE_1)
	s_or_b32 s26, s26, s29
	s_and_not1_b32 exec_lo, exec_lo, s25
	s_cbranch_execz .LBB4_9687
.LBB4_9683:                             ;   Parent Loop BB4_4883 Depth=1
                                        ; =>  This Inner Loop Header: Depth=2
	s_add_co_i32 s28, s28, 1
	s_delay_alu instid0(SALU_CYCLE_1) | instskip(SKIP_1) | instid1(SALU_CYCLE_1)
	s_cmp_lg_u32 s28, 0x2710
	s_cselect_b32 s29, -1, 0
	s_and_b32 vcc_lo, exec_lo, s29
	s_cbranch_vccz .LBB4_9685
; %bb.9684:                             ;   in Loop: Header=BB4_9683 Depth=2
	s_mov_b32 s41, -1
	s_or_b32 s27, s27, exec_lo
	s_and_saveexec_b32 s40, s29
	s_cbranch_execz .LBB4_9682
	s_branch .LBB4_9686
.LBB4_9685:                             ;   in Loop: Header=BB4_9683 Depth=2
	s_trap 2
	ds_load_b64 v[2:3], v0
	s_and_not1_b32 s29, s29, exec_lo
	s_mov_b32 s28, 0
	s_wait_loadcnt_dscnt 0x0
	flat_load_b32 v2, v[2:3] scope:SCOPE_SYS
	s_wait_loadcnt_dscnt 0x0
	global_inv scope:SCOPE_SYS
	v_cmp_eq_u32_e32 vcc_lo, 0, v2
	s_and_b32 s40, vcc_lo, exec_lo
	s_delay_alu instid0(SALU_CYCLE_1)
	s_or_b32 s29, s29, s40
	s_mov_b32 s41, -1
	s_or_b32 s27, s27, exec_lo
	s_and_saveexec_b32 s40, s29
	s_cbranch_execz .LBB4_9682
.LBB4_9686:                             ;   in Loop: Header=BB4_9683 Depth=2
	s_sleep 1
	s_trap 2
	ds_load_b64 v[2:3], v0
	s_wait_dscnt 0x0
	s_and_not1_b32 s27, s27, exec_lo
	v_cmp_ge_u64_e32 vcc_lo, v[2:3], v[28:29]
	s_or_not1_b32 s41, vcc_lo, exec_lo
	s_branch .LBB4_9682
.LBB4_9687:                             ;   in Loop: Header=BB4_4883 Depth=1
	s_or_b32 exec_lo, exec_lo, s25
	s_and_saveexec_b32 s25, s26
	s_delay_alu instid0(SALU_CYCLE_1)
	s_xor_b32 s25, exec_lo, s25
	s_cbranch_execz .LBB4_9689
; %bb.9688:                             ;   in Loop: Header=BB4_4883 Depth=1
	ds_store_b32 v0, v108
	s_trap 2
.LBB4_9689:                             ;   in Loop: Header=BB4_4883 Depth=1
	s_or_b32 exec_lo, exec_lo, s24
	;;#ASMSTART
	s_wakeup
	;;#ASMEND
.LBB4_9690:                             ;   in Loop: Header=BB4_4883 Depth=1
	s_or_b32 exec_lo, exec_lo, s23
.LBB4_9691:                             ;   in Loop: Header=BB4_4883 Depth=1
	s_and_not1_saveexec_b32 s11, s11
	s_cbranch_execz .LBB4_9693
; %bb.9692:                             ;   in Loop: Header=BB4_4883 Depth=1
	global_wb scope:SCOPE_DEV
	s_wait_storecnt 0x0
	s_wait_loadcnt_dscnt 0x0
	global_inv scope:SCOPE_DEV
	s_barrier_signal -1
	s_barrier_wait -1
.LBB4_9693:                             ;   in Loop: Header=BB4_4883 Depth=1
	s_or_b32 exec_lo, exec_lo, s11
.LBB4_9694:                             ;   in Loop: Header=BB4_4883 Depth=1
	s_delay_alu instid0(SALU_CYCLE_1) | instskip(SKIP_3) | instid1(VALU_DEP_1)
	s_or_b32 exec_lo, exec_lo, s7
	s_trap 2
	ds_load_b32 v2, v0
	v_sub_nc_u32_e32 v0, v66, v0
	v_min_i32_e32 v0, v67, v0
	s_delay_alu instid0(VALU_DEP_1) | instskip(SKIP_4) | instid1(VALU_DEP_1)
	v_cmp_lt_i32_e32 vcc_lo, 0, v0
	s_wait_dscnt 0x0
	v_readfirstlane_b32 s7, v2
	v_and_b32_e32 v2, 16, v120
	s_cmp_eq_u32 s7, 0
	v_cmp_ne_u32_e64 s7, 0, v2
	s_cselect_b32 s11, -1, 0
	s_delay_alu instid0(SALU_CYCLE_1) | instskip(NEXT) | instid1(SALU_CYCLE_1)
	s_and_b32 s11, vcc_lo, s11
	s_and_b32 s11, s7, s11
	s_delay_alu instid0(SALU_CYCLE_1)
	s_and_saveexec_b32 s7, s11
	s_cbranch_execz .LBB4_9696
; %bb.9695:                             ;   in Loop: Header=BB4_4883 Depth=1
	global_wb scope:SCOPE_SYS
	s_wait_loadcnt 0x0
	s_wait_storecnt 0x0
	global_inv scope:SCOPE_SYS
.LBB4_9696:                             ;   in Loop: Header=BB4_4883 Depth=1
	s_or_b32 exec_lo, exec_lo, s7
	v_and_b32_e32 v0, 32, v120
	s_mov_b32 s7, exec_lo
	s_delay_alu instid0(VALU_DEP_1)
	v_cmpx_ne_u32_e32 0, v0
	s_cbranch_execnz .LBB4_9697
; %bb.12950:                            ;   in Loop: Header=BB4_4883 Depth=1
	s_add_pc_i64 .LBB4_4881-.Lpost_addpc17
.Lpost_addpc17:
.LBB4_9697:                             ;   in Loop: Header=BB4_4883 Depth=1
	v_add_nc_u64_e32 v[8:9], 1, v[8:9]
	global_wb scope:SCOPE_SYS
	s_wait_loadcnt 0x0
	s_wait_storecnt 0x0
	flat_store_b64 v[22:23], v[8:9] scope:SCOPE_SYS
; %bb.12922:                            ;   in Loop: Header=BB4_4883 Depth=1
	s_add_pc_i64 .LBB4_4881-.Lpost_addpc3
.Lpost_addpc3:
.LBB4_9698:
	s_or_b32 exec_lo, exec_lo, s20
	scratch_load_b64 v[38:39], off, s33 offset:196 ; 8-byte Folded Reload
	v_dual_mov_b32 v31, v124 :: v_dual_mov_b32 v10, v125
.LBB4_9699:
	s_wait_xcnt 0x0
	s_or_b32 exec_lo, exec_lo, s18
.LBB4_9700:
	s_delay_alu instid0(SALU_CYCLE_1)
	s_or_b32 exec_lo, exec_lo, s17
                                        ; implicit-def: $vgpr0
                                        ; implicit-def: $vgpr18_vgpr19
                                        ; implicit-def: $vgpr4_vgpr5
                                        ; implicit-def: $vgpr36_vgpr37
	scratch_store_b64 off, v[0:1], s33 offset:188 ; 8-byte Folded Spill
                                        ; implicit-def: $vgpr32_vgpr33
                                        ; implicit-def: $vgpr26_vgpr27
                                        ; implicit-def: $vgpr22_vgpr23
                                        ; implicit-def: $vgpr121
                                        ; implicit-def: $vgpr0
                                        ; implicit-def: $vgpr34_vgpr35
.LBB4_9701:
	s_wait_xcnt 0x0
	s_and_not1_saveexec_b32 s16, s16
	s_cbranch_execz .LBB4_12883
; %bb.9702:
	v_mov_b64_e32 v[28:29], 0
	s_mov_b32 s17, exec_lo
	v_cmpx_ne_u64_e32 0, v[4:5]
	s_cbranch_execz .LBB4_12882
; %bb.9703:
	scratch_load_b64 v[2:3], off, s33 offset:188 ; 8-byte Folded Reload
	v_mov_b32_e32 v15, 0
	s_ashr_i32 s2, s15, 31
	v_cmp_eq_u32_e32 vcc_lo, 32, v1
	s_lshr_b32 s2, s2, 24
	v_cmp_ne_u64_e64 s7, 0, v[36:37]
	v_mov_b64_e32 v[54:55], 0
	v_mov_b64_e32 v[28:29], 0
	v_cmp_ge_u32_e64 s1, v121, v1
	s_add_co_i32 s15, s15, s2
	v_cmp_ne_u32_e64 s2, 32, v1
	s_wait_loadcnt 0x1
	v_cmp_ne_u32_e64 s3, v1, v10
	v_and_b32_e32 v50, 0x1fe0, v1
	v_mov_b32_e32 v101, 0x7c
	s_ashr_i32 s15, s15, 8
	s_mov_b64 s[12:13], 0xffffffffffffff
	s_mov_b32 s18, 0
	s_xor_b32 s19, vcc_lo, -1
	s_mov_b32 s20, 0x7f800000
	s_clause 0x1
	scratch_store_b32 off, v31, s33 offset:204
	scratch_store_b32 off, v10, s33 offset:208
	s_wait_loadcnt 0x0
	v_dual_mov_b32 v100, 0x7f800000 :: v_dual_ashrrev_i32 v3, 31, v2
	s_clause 0x1
	scratch_store_b64 off, v[38:39], s33 offset:196
	scratch_store_b64 off, v[2:3], s33 offset:188
	s_wait_xcnt 0x0
	v_and_b32_e32 v2, 31, v31
	v_and_b32_e32 v3, 31, v121
	v_dual_mov_b32 v17, v15 :: v_dual_lshrrev_b32 v16, 5, v1
	v_mov_b32_e32 v39, v15
	s_delay_alu instid0(VALU_DEP_4) | instskip(NEXT) | instid1(VALU_DEP_4)
	v_cmp_eq_u32_e64 s4, 0, v2
	v_cmp_lt_u32_e64 s6, v3, v0
	v_dual_lshrrev_b32 v2, 5, v121 :: v_dual_lshlrev_b32 v0, 4, v3
	v_cmp_eq_u32_e64 s5, 0, v3
	v_dual_lshlrev_b32 v38, 11, v16 :: v_dual_lshlrev_b32 v48, 9, v16
	v_dual_mov_b32 v49, v15 :: v_dual_mov_b32 v51, v15
	v_mov_b32_e32 v53, v15
	v_lshl_or_b32 v52, v2, 11, v0
	v_mov_b32_e32 v31, 1
	s_trap 2
	s_branch .LBB4_9707
.LBB4_9704:                             ;   in Loop: Header=BB4_9707 Depth=1
	s_wait_xcnt 0x0
	s_or_b32 exec_lo, exec_lo, s21
	v_add_nc_u64_e32 v[8:9], 1, v[8:9]
	global_wb scope:SCOPE_SYS
	s_wait_storecnt 0x0
	s_wait_loadcnt_dscnt 0x0
	flat_store_b64 v[22:23], v[8:9] scope:SCOPE_SYS
.LBB4_9705:                             ;   in Loop: Header=BB4_9707 Depth=1
	s_wait_xcnt 0x0
	s_or_b32 exec_lo, exec_lo, s10
.LBB4_9706:                             ;   in Loop: Header=BB4_9707 Depth=1
	s_delay_alu instid0(SALU_CYCLE_1) | instskip(SKIP_1) | instid1(VALU_DEP_1)
	s_or_b32 exec_lo, exec_lo, s11
	v_add_nc_u64_e32 v[54:55], v[54:55], v[34:35]
	v_cmp_ge_u64_e32 vcc_lo, v[54:55], v[4:5]
	s_or_b32 s18, vcc_lo, s18
	s_delay_alu instid0(SALU_CYCLE_1)
	s_and_not1_b32 exec_lo, exec_lo, s18
	s_cbranch_execz .LBB4_12881
.LBB4_9707:                             ; =>This Loop Header: Depth=1
                                        ;     Child Loop BB4_9715 Depth 2
                                        ;     Child Loop BB4_9740 Depth 2
	;; [unrolled: 1-line block ×10, first 2 shown]
	v_sub_nc_u64_e32 v[2:3], v[4:5], v[54:55]
	s_delay_alu instid0(VALU_DEP_1) | instskip(NEXT) | instid1(VALU_DEP_1)
	v_min_u64 v[64:65], v[34:35], v[2:3]
	v_add_nc_u32_e32 v0, 15, v64
	s_delay_alu instid0(VALU_DEP_2) | instskip(NEXT) | instid1(VALU_DEP_2)
	v_cmp_eq_u64_e32 vcc_lo, 0, v[64:65]
	v_and_b32_e32 v0, 0x7ffffff0, v0
	s_or_b32 s21, s1, vcc_lo
	s_delay_alu instid0(SALU_CYCLE_1) | instskip(NEXT) | instid1(VALU_DEP_1)
	s_xor_b32 s10, s21, -1
	v_dual_mov_b32 v0, v15 :: v_dual_max_i32 v66, s15, v0
	s_and_saveexec_b32 s22, s10
	s_cbranch_execz .LBB4_12834
; %bb.9708:                             ;   in Loop: Header=BB4_9707 Depth=1
	s_and_saveexec_b32 s10, s0
	s_cbranch_execz .LBB4_9710
; %bb.9709:                             ;   in Loop: Header=BB4_9707 Depth=1
	s_trap 2
	ds_load_b64 v[2:3], v0
	v_mov_b64_e32 v[10:11], 0
	s_wait_dscnt 0x0
	v_add_nc_u64_e32 v[2:3], v[2:3], v[18:19]
	s_delay_alu instid0(VALU_DEP_1)
	v_add_nc_u64_e32 v[2:3], v[2:3], v[54:55]
	ds_store_b64 v0, v[2:3]
	ds_store_b64 v0, v[10:11]
.LBB4_9710:                             ;   in Loop: Header=BB4_9707 Depth=1
	s_or_b32 exec_lo, exec_lo, s10
	v_and_b32_e32 v0, 8, v120
	v_min_u32_e32 v66, v66, v64
	s_mov_b32 s11, exec_lo
	s_delay_alu instid0(VALU_DEP_2)
	v_cmpx_ne_u32_e32 0, v0
	s_cbranch_execz .LBB4_9732
; %bb.9711:                             ;   in Loop: Header=BB4_9707 Depth=1
	s_wait_loadcnt 0x0
	v_add_nc_u64_e32 v[2:3], 8, v[32:33]
	v_add_nc_u64_e32 v[10:11], 1, v[8:9]
	s_mov_b32 s23, exec_lo
	s_delay_alu instid0(VALU_DEP_1)
	v_cmpx_lt_u64_e64 v[2:3], v[10:11]
	s_cbranch_execz .LBB4_9723
; %bb.9712:                             ;   in Loop: Header=BB4_9707 Depth=1
	v_and_b32_e32 v0, 64, v120
	s_mov_b32 s24, 0
	s_mov_b32 s28, 0
                                        ; implicit-def: $sgpr25
                                        ; implicit-def: $sgpr26
                                        ; implicit-def: $sgpr27
	s_delay_alu instid0(VALU_DEP_1)
	v_cmp_eq_u32_e32 vcc_lo, 0, v0
	s_branch .LBB4_9715
.LBB4_9713:                             ;   in Loop: Header=BB4_9715 Depth=2
	s_or_b32 exec_lo, exec_lo, s43
	s_delay_alu instid0(SALU_CYCLE_1)
	s_and_not1_b32 s10, s27, exec_lo
	s_and_b32 s27, s41, exec_lo
	s_and_not1_b32 s26, s26, exec_lo
	s_and_b32 s40, s40, exec_lo
	s_or_b32 s27, s10, s27
	s_or_b32 s26, s26, s40
.LBB4_9714:                             ;   in Loop: Header=BB4_9715 Depth=2
	s_or_b32 exec_lo, exec_lo, s29
	s_delay_alu instid0(SALU_CYCLE_1) | instskip(NEXT) | instid1(SALU_CYCLE_1)
	s_and_b32 s10, exec_lo, s26
	s_or_b32 s24, s10, s24
	s_and_not1_b32 s10, s25, exec_lo
	s_and_b32 s25, s27, exec_lo
	s_delay_alu instid0(SALU_CYCLE_1)
	s_or_b32 s25, s10, s25
	s_and_not1_b32 exec_lo, exec_lo, s24
	s_cbranch_execz .LBB4_9720
.LBB4_9715:                             ;   Parent Loop BB4_9707 Depth=1
                                        ; =>  This Inner Loop Header: Depth=2
	s_sleep 1
	s_wait_loadcnt_dscnt 0x0
	flat_load_b64 v[32:33], v[22:23] scope:SCOPE_SYS
	s_or_b32 s27, s27, exec_lo
	s_or_b32 s26, s26, exec_lo
                                        ; implicit-def: $vgpr0
	s_wait_xcnt 0x0
	s_and_saveexec_b32 s29, vcc_lo
	s_cbranch_execz .LBB4_9714
; %bb.9716:                             ;   in Loop: Header=BB4_9715 Depth=2
	s_cmp_lt_i32 s28, 0x270f
	s_mov_b32 s40, -1
	s_cselect_b32 s42, -1, 0
	s_cmp_gt_i32 s28, 0x270e
	s_cbranch_scc0 .LBB4_9718
; %bb.9717:                             ;   in Loop: Header=BB4_9715 Depth=2
	s_trap 2
	ds_load_b64 v[2:3], v0
	s_and_not1_b32 s28, s42, exec_lo
	s_mov_b32 s41, 0
	s_wait_storecnt 0x0
	s_wait_loadcnt_dscnt 0x0
	flat_load_b32 v0, v[2:3] scope:SCOPE_SYS
	s_wait_loadcnt_dscnt 0x0
	global_inv scope:SCOPE_SYS
	v_cmp_eq_u32_e64 s10, 0, v0
	s_and_b32 s10, s10, exec_lo
	s_delay_alu instid0(SALU_CYCLE_1)
	s_or_b32 s42, s28, s10
	s_mov_b32 s28, 0
	s_and_saveexec_b32 s43, s42
	s_cbranch_execz .LBB4_9713
	s_branch .LBB4_9719
.LBB4_9718:                             ;   in Loop: Header=BB4_9715 Depth=2
	s_add_co_i32 s28, s28, 1
	s_mov_b32 s41, -1
                                        ; implicit-def: $vgpr0
	s_and_saveexec_b32 s43, s42
	s_cbranch_execz .LBB4_9713
.LBB4_9719:                             ;   in Loop: Header=BB4_9715 Depth=2
	s_wait_loadcnt_dscnt 0x0
	v_add_nc_u64_e32 v[2:3], 8, v[32:33]
	s_or_b32 s41, s41, exec_lo
	s_delay_alu instid0(VALU_DEP_1)
	v_cmp_ge_u64_e64 s10, v[2:3], v[10:11]
	s_or_not1_b32 s40, s10, exec_lo
	s_branch .LBB4_9713
.LBB4_9720:                             ;   in Loop: Header=BB4_9707 Depth=1
	s_or_b32 exec_lo, exec_lo, s24
	s_xor_b32 s10, s25, -1
	s_delay_alu instid0(SALU_CYCLE_1) | instskip(NEXT) | instid1(SALU_CYCLE_1)
	s_and_saveexec_b32 s24, s10
	s_xor_b32 s10, exec_lo, s24
	s_cbranch_execz .LBB4_9722
; %bb.9721:                             ;   in Loop: Header=BB4_9707 Depth=1
	v_or_b32_e32 v120, 64, v120
	s_wait_storecnt 0x0
	s_wait_loadcnt_dscnt 0x0
	ds_store_b32 v0, v0
	s_trap 2
.LBB4_9722:                             ;   in Loop: Header=BB4_9707 Depth=1
	s_or_b32 exec_lo, exec_lo, s10
.LBB4_9723:                             ;   in Loop: Header=BB4_9707 Depth=1
	s_delay_alu instid0(SALU_CYCLE_1)
	s_or_b32 exec_lo, exec_lo, s23
	v_and_b32_e32 v0, 0x100, v120
	v_dual_mov_b32 v9, v15 :: v_dual_bitop2_b32 v8, 7, v8 bitop3:0x40
	s_mov_b32 s10, -1
	s_mov_b32 s23, exec_lo
	;;#ASMSTART
	s_wakeup
	;;#ASMEND
                                        ; implicit-def: $vgpr12_vgpr13
	v_cmpx_ne_u32_e32 0, v0
	s_cbranch_execz .LBB4_9727
; %bb.9724:                             ;   in Loop: Header=BB4_9707 Depth=1
	v_mad_nc_u64_u32 v[68:69], v8, 24, v[6:7]
	v_mov_b32_e32 v67, v15
	s_mov_b32 s24, exec_lo
                                        ; implicit-def: $vgpr12_vgpr13
	s_clause 0x1
	flat_load_b32 v0, v[68:69]
	flat_store_b64 v[68:69], v[66:67] offset:8
	s_wait_loadcnt_dscnt 0x1
	v_cmp_ne_u32_e32 vcc_lo, 1, v0
	s_wait_xcnt 0x0
	v_cmpx_eq_u32_e32 1, v0
	s_cbranch_execz .LBB4_9726
; %bb.9725:                             ;   in Loop: Header=BB4_9707 Depth=1
	flat_load_b32 v12, v[68:69] offset:4 scope:SCOPE_SYS
	s_wait_loadcnt_dscnt 0x0
	v_ashrrev_i32_e32 v13, 31, v12
.LBB4_9726:                             ;   in Loop: Header=BB4_9707 Depth=1
	s_wait_xcnt 0x0
	s_or_b32 exec_lo, exec_lo, s24
	s_delay_alu instid0(SALU_CYCLE_1)
	s_or_not1_b32 s10, vcc_lo, exec_lo
.LBB4_9727:                             ;   in Loop: Header=BB4_9707 Depth=1
	s_or_b32 exec_lo, exec_lo, s23
	s_and_saveexec_b32 s23, s10
	s_cbranch_execz .LBB4_9729
; %bb.9728:                             ;   in Loop: Header=BB4_9707 Depth=1
	scratch_load_b64 v[2:3], off, s33 offset:188 ; 8-byte Folded Reload
	s_wait_loadcnt 0x0
	v_mul_u64_e32 v[12:13], v[8:9], v[2:3]
.LBB4_9729:                             ;   in Loop: Header=BB4_9707 Depth=1
	s_wait_xcnt 0x0
	s_or_b32 exec_lo, exec_lo, s23
	s_delay_alu instid0(VALU_DEP_1)
	v_add_nc_u64_e32 v[2:3], v[26:27], v[12:13]
	v_and_b32_e32 v0, 0x2000, v120
	s_mov_b32 s10, exec_lo
	ds_store_b64 v0, v[2:3] offset:784
	v_cmpx_ne_u32_e32 0, v0
	s_cbranch_execz .LBB4_9731
; %bb.9730:                             ;   in Loop: Header=BB4_9707 Depth=1
	ds_load_b64 v[2:3], v0 offset:872
	s_wait_dscnt 0x0
	v_add_nc_u64_e32 v[2:3], 1, v[2:3]
	ds_store_b64 v0, v[2:3] offset:872
.LBB4_9731:                             ;   in Loop: Header=BB4_9707 Depth=1
	s_or_b32 exec_lo, exec_lo, s10
	v_mov_b64_e32 v[8:9], v[10:11]
.LBB4_9732:                             ;   in Loop: Header=BB4_9707 Depth=1
	s_or_b32 exec_lo, exec_lo, s11
	s_and_saveexec_b32 s10, s2
	s_cbranch_execz .LBB4_9751
; %bb.9733:                             ;   in Loop: Header=BB4_9707 Depth=1
	s_and_saveexec_b32 s11, s3
	s_delay_alu instid0(SALU_CYCLE_1)
	s_xor_b32 s11, exec_lo, s11
	s_cbranch_execz .LBB4_9748
; %bb.9734:                             ;   in Loop: Header=BB4_9707 Depth=1
	s_and_saveexec_b32 s23, s4
	s_cbranch_execz .LBB4_9747
; %bb.9735:                             ;   in Loop: Header=BB4_9707 Depth=1
	s_mov_b32 s25, exec_lo
	s_mov_b32 s24, exec_lo
	v_mbcnt_lo_u32_b32 v0, s25, 0
	global_wb scope:SCOPE_DEV
	s_wait_storecnt 0x0
	s_wait_loadcnt_dscnt 0x0
	global_inv scope:SCOPE_DEV
	v_cmpx_eq_u32_e32 0, v0
	s_cbranch_execz .LBB4_9737
; %bb.9736:                             ;   in Loop: Header=BB4_9707 Depth=1
	s_bcnt1_i32_b32 s25, s25
	s_delay_alu instid0(SALU_CYCLE_1)
	v_dual_mov_b32 v3, v15 :: v_dual_mov_b32 v2, s25
	s_wait_loadcnt 0x0
	ds_add_u64 v0, v[2:3]
	s_trap 2
.LBB4_9737:                             ;   in Loop: Header=BB4_9707 Depth=1
	s_or_b32 exec_lo, exec_lo, s24
	s_trap 2
	ds_load_b64 v[2:3], v0
	s_wait_dscnt 0x0
	v_add_nc_u64_e32 v[28:29], v[28:29], v[16:17]
	s_mov_b32 s24, exec_lo
	s_delay_alu instid0(VALU_DEP_1)
	v_cmpx_lt_u64_e64 v[2:3], v[28:29]
	s_cbranch_execz .LBB4_9746
; %bb.9738:                             ;   in Loop: Header=BB4_9707 Depth=1
	s_mov_b32 s25, 0
	s_mov_b32 s28, 0
                                        ; implicit-def: $sgpr26
                                        ; implicit-def: $sgpr27
	s_branch .LBB4_9740
.LBB4_9739:                             ;   in Loop: Header=BB4_9740 Depth=2
	s_or_b32 exec_lo, exec_lo, s40
	s_delay_alu instid0(SALU_CYCLE_1) | instskip(NEXT) | instid1(SALU_CYCLE_1)
	s_and_b32 s29, exec_lo, s41
	s_or_b32 s25, s29, s25
	s_and_not1_b32 s26, s26, exec_lo
	s_and_b32 s29, s27, exec_lo
	s_delay_alu instid0(SALU_CYCLE_1)
	s_or_b32 s26, s26, s29
	s_and_not1_b32 exec_lo, exec_lo, s25
	s_cbranch_execz .LBB4_9744
.LBB4_9740:                             ;   Parent Loop BB4_9707 Depth=1
                                        ; =>  This Inner Loop Header: Depth=2
	s_add_co_i32 s28, s28, 1
	s_delay_alu instid0(SALU_CYCLE_1) | instskip(SKIP_1) | instid1(SALU_CYCLE_1)
	s_cmp_lg_u32 s28, 0x2710
	s_cselect_b32 s29, -1, 0
	s_and_b32 vcc_lo, exec_lo, s29
	s_cbranch_vccz .LBB4_9742
; %bb.9741:                             ;   in Loop: Header=BB4_9740 Depth=2
	s_mov_b32 s41, -1
	s_or_b32 s27, s27, exec_lo
	s_and_saveexec_b32 s40, s29
	s_cbranch_execz .LBB4_9739
	s_branch .LBB4_9743
.LBB4_9742:                             ;   in Loop: Header=BB4_9740 Depth=2
	s_trap 2
	ds_load_b64 v[2:3], v0
	s_and_not1_b32 s29, s29, exec_lo
	s_mov_b32 s28, 0
	s_wait_loadcnt_dscnt 0x0
	flat_load_b32 v0, v[2:3] scope:SCOPE_SYS
	s_wait_loadcnt_dscnt 0x0
	global_inv scope:SCOPE_SYS
	v_cmp_eq_u32_e32 vcc_lo, 0, v0
	s_and_b32 s40, vcc_lo, exec_lo
	s_delay_alu instid0(SALU_CYCLE_1)
	s_or_b32 s29, s29, s40
	s_mov_b32 s41, -1
	s_or_b32 s27, s27, exec_lo
	s_and_saveexec_b32 s40, s29
	s_cbranch_execz .LBB4_9739
.LBB4_9743:                             ;   in Loop: Header=BB4_9740 Depth=2
	s_sleep 1
	s_trap 2
	ds_load_b64 v[2:3], v0
	s_wait_dscnt 0x0
	s_and_not1_b32 s27, s27, exec_lo
	v_cmp_ge_u64_e32 vcc_lo, v[2:3], v[28:29]
	s_or_not1_b32 s41, vcc_lo, exec_lo
	s_branch .LBB4_9739
.LBB4_9744:                             ;   in Loop: Header=BB4_9707 Depth=1
	s_or_b32 exec_lo, exec_lo, s25
	s_and_saveexec_b32 s25, s26
	s_delay_alu instid0(SALU_CYCLE_1)
	s_xor_b32 s25, exec_lo, s25
	s_cbranch_execz .LBB4_9746
; %bb.9745:                             ;   in Loop: Header=BB4_9707 Depth=1
	ds_store_b32 v0, v31
	s_trap 2
.LBB4_9746:                             ;   in Loop: Header=BB4_9707 Depth=1
	s_or_b32 exec_lo, exec_lo, s24
	;;#ASMSTART
	s_wakeup
	;;#ASMEND
.LBB4_9747:                             ;   in Loop: Header=BB4_9707 Depth=1
	s_or_b32 exec_lo, exec_lo, s23
.LBB4_9748:                             ;   in Loop: Header=BB4_9707 Depth=1
	s_and_not1_saveexec_b32 s11, s11
	s_cbranch_execz .LBB4_9750
; %bb.9749:                             ;   in Loop: Header=BB4_9707 Depth=1
	global_wb scope:SCOPE_DEV
	s_wait_storecnt 0x0
	s_wait_loadcnt_dscnt 0x0
	global_inv scope:SCOPE_DEV
	s_barrier_signal -1
	s_barrier_wait -1
.LBB4_9750:                             ;   in Loop: Header=BB4_9707 Depth=1
	s_or_b32 exec_lo, exec_lo, s11
.LBB4_9751:                             ;   in Loop: Header=BB4_9707 Depth=1
	s_delay_alu instid0(SALU_CYCLE_1) | instskip(SKIP_3) | instid1(VALU_DEP_1)
	s_or_b32 exec_lo, exec_lo, s10
	s_trap 2
	ds_load_b32 v0, v0
	v_and_b32_e32 v2, 0x4000, v120
	v_cmp_ne_u32_e32 vcc_lo, 0, v2
	s_and_b32 s11, s19, vcc_lo
	s_delay_alu instid0(SALU_CYCLE_1)
	s_and_saveexec_b32 s10, s11
	s_cbranch_execz .LBB4_9770
; %bb.9752:                             ;   in Loop: Header=BB4_9707 Depth=1
	s_and_saveexec_b32 s11, s3
	s_delay_alu instid0(SALU_CYCLE_1)
	s_xor_b32 s11, exec_lo, s11
	s_cbranch_execz .LBB4_9767
; %bb.9753:                             ;   in Loop: Header=BB4_9707 Depth=1
	s_and_saveexec_b32 s23, s4
	s_cbranch_execz .LBB4_9766
; %bb.9754:                             ;   in Loop: Header=BB4_9707 Depth=1
	s_mov_b32 s25, exec_lo
	s_mov_b32 s24, exec_lo
	v_mbcnt_lo_u32_b32 v2, s25, 0
	global_wb scope:SCOPE_DEV
	s_wait_storecnt 0x0
	s_wait_loadcnt_dscnt 0x0
	global_inv scope:SCOPE_DEV
	v_cmpx_eq_u32_e32 0, v2
	s_cbranch_execz .LBB4_9756
; %bb.9755:                             ;   in Loop: Header=BB4_9707 Depth=1
	s_bcnt1_i32_b32 s25, s25
	s_delay_alu instid0(SALU_CYCLE_1)
	v_dual_mov_b32 v3, v15 :: v_dual_mov_b32 v2, s25
	s_wait_loadcnt 0x0
	ds_add_u64 v0, v[2:3]
	s_trap 2
.LBB4_9756:                             ;   in Loop: Header=BB4_9707 Depth=1
	s_or_b32 exec_lo, exec_lo, s24
	s_trap 2
	ds_load_b64 v[2:3], v0
	s_wait_dscnt 0x0
	v_add_nc_u64_e32 v[28:29], v[28:29], v[16:17]
	s_mov_b32 s24, exec_lo
	s_delay_alu instid0(VALU_DEP_1)
	v_cmpx_lt_u64_e64 v[2:3], v[28:29]
	s_cbranch_execz .LBB4_9765
; %bb.9757:                             ;   in Loop: Header=BB4_9707 Depth=1
	s_mov_b32 s25, 0
	s_mov_b32 s28, 0
                                        ; implicit-def: $sgpr26
                                        ; implicit-def: $sgpr27
	s_branch .LBB4_9759
.LBB4_9758:                             ;   in Loop: Header=BB4_9759 Depth=2
	s_or_b32 exec_lo, exec_lo, s40
	s_delay_alu instid0(SALU_CYCLE_1) | instskip(NEXT) | instid1(SALU_CYCLE_1)
	s_and_b32 s29, exec_lo, s41
	s_or_b32 s25, s29, s25
	s_and_not1_b32 s26, s26, exec_lo
	s_and_b32 s29, s27, exec_lo
	s_delay_alu instid0(SALU_CYCLE_1)
	s_or_b32 s26, s26, s29
	s_and_not1_b32 exec_lo, exec_lo, s25
	s_cbranch_execz .LBB4_9763
.LBB4_9759:                             ;   Parent Loop BB4_9707 Depth=1
                                        ; =>  This Inner Loop Header: Depth=2
	s_add_co_i32 s28, s28, 1
	s_delay_alu instid0(SALU_CYCLE_1) | instskip(SKIP_1) | instid1(SALU_CYCLE_1)
	s_cmp_lg_u32 s28, 0x2710
	s_cselect_b32 s29, -1, 0
	s_and_b32 vcc_lo, exec_lo, s29
	s_cbranch_vccz .LBB4_9761
; %bb.9760:                             ;   in Loop: Header=BB4_9759 Depth=2
	s_mov_b32 s41, -1
	s_or_b32 s27, s27, exec_lo
	s_and_saveexec_b32 s40, s29
	s_cbranch_execz .LBB4_9758
	s_branch .LBB4_9762
.LBB4_9761:                             ;   in Loop: Header=BB4_9759 Depth=2
	s_trap 2
	ds_load_b64 v[2:3], v0
	s_and_not1_b32 s29, s29, exec_lo
	s_mov_b32 s28, 0
	s_wait_loadcnt_dscnt 0x0
	flat_load_b32 v2, v[2:3] scope:SCOPE_SYS
	s_wait_loadcnt_dscnt 0x0
	global_inv scope:SCOPE_SYS
	v_cmp_eq_u32_e32 vcc_lo, 0, v2
	s_and_b32 s40, vcc_lo, exec_lo
	s_delay_alu instid0(SALU_CYCLE_1)
	s_or_b32 s29, s29, s40
	s_mov_b32 s41, -1
	s_or_b32 s27, s27, exec_lo
	s_and_saveexec_b32 s40, s29
	s_cbranch_execz .LBB4_9758
.LBB4_9762:                             ;   in Loop: Header=BB4_9759 Depth=2
	s_sleep 1
	s_trap 2
	ds_load_b64 v[2:3], v0
	s_wait_dscnt 0x0
	s_and_not1_b32 s27, s27, exec_lo
	v_cmp_ge_u64_e32 vcc_lo, v[2:3], v[28:29]
	s_or_not1_b32 s41, vcc_lo, exec_lo
	s_branch .LBB4_9758
.LBB4_9763:                             ;   in Loop: Header=BB4_9707 Depth=1
	s_or_b32 exec_lo, exec_lo, s25
	s_and_saveexec_b32 s25, s26
	s_delay_alu instid0(SALU_CYCLE_1)
	s_xor_b32 s25, exec_lo, s25
	s_cbranch_execz .LBB4_9765
; %bb.9764:                             ;   in Loop: Header=BB4_9707 Depth=1
	ds_store_b32 v0, v31
	s_trap 2
.LBB4_9765:                             ;   in Loop: Header=BB4_9707 Depth=1
	s_or_b32 exec_lo, exec_lo, s24
	;;#ASMSTART
	s_wakeup
	;;#ASMEND
.LBB4_9766:                             ;   in Loop: Header=BB4_9707 Depth=1
	s_or_b32 exec_lo, exec_lo, s23
.LBB4_9767:                             ;   in Loop: Header=BB4_9707 Depth=1
	s_and_not1_saveexec_b32 s11, s11
	s_cbranch_execz .LBB4_9769
; %bb.9768:                             ;   in Loop: Header=BB4_9707 Depth=1
	global_wb scope:SCOPE_DEV
	s_wait_storecnt 0x0
	s_wait_loadcnt_dscnt 0x0
	global_inv scope:SCOPE_DEV
	s_barrier_signal -1
	s_barrier_wait -1
.LBB4_9769:                             ;   in Loop: Header=BB4_9707 Depth=1
	s_or_b32 exec_lo, exec_lo, s11
.LBB4_9770:                             ;   in Loop: Header=BB4_9707 Depth=1
	s_delay_alu instid0(SALU_CYCLE_1)
	s_or_b32 exec_lo, exec_lo, s10
	s_trap 2
	s_wait_dscnt 0x0
	ds_load_b64 v[68:69], v0
	s_wait_dscnt 0x0
	v_cmp_eq_u64_e32 vcc_lo, 0, v[68:69]
	s_cbranch_vccnz .LBB4_9778
; %bb.9771:                             ;   in Loop: Header=BB4_9707 Depth=1
	s_trap 2
	ds_load_b64 v[70:71], v0
	s_wait_dscnt 0x0
	v_cmp_eq_u64_e32 vcc_lo, 0, v[70:71]
	s_cbranch_vccnz .LBB4_9778
; %bb.9772:                             ;   in Loop: Header=BB4_9707 Depth=1
	s_mov_b32 s10, -1
	s_and_saveexec_b32 s11, s5
	s_cbranch_execz .LBB4_9774
; %bb.9773:                             ;   in Loop: Header=BB4_9707 Depth=1
	ds_load_b32 v2, v0 offset:720
	s_wait_dscnt 0x0
	v_and_b32_e32 v2, 15, v2
	s_delay_alu instid0(VALU_DEP_1)
	v_cmp_eq_u32_e32 vcc_lo, 0, v2
	s_or_not1_b32 s10, vcc_lo, exec_lo
.LBB4_9774:                             ;   in Loop: Header=BB4_9707 Depth=1
	s_or_b32 exec_lo, exec_lo, s11
	s_and_saveexec_b32 s11, s6
	s_cbranch_execz .LBB4_9776
; %bb.9775:                             ;   in Loop: Header=BB4_9707 Depth=1
	ds_load_b32 v2, v0 offset:784
	s_wait_dscnt 0x0
	v_and_b32_e32 v2, 15, v2
	s_delay_alu instid0(VALU_DEP_1) | instskip(SKIP_3) | instid1(SALU_CYCLE_1)
	v_cmp_eq_u32_e32 vcc_lo, 0, v2
	s_and_b32 s23, s10, vcc_lo
	s_and_not1_b32 s10, s10, exec_lo
	s_and_b32 s23, s23, exec_lo
	s_or_b32 s10, s10, s23
.LBB4_9776:                             ;   in Loop: Header=BB4_9707 Depth=1
	s_or_b32 exec_lo, exec_lo, s11
	v_cmp_eq_u32_e32 vcc_lo, 0, v0
	s_xor_b32 s10, s10, -1
	v_mov_b32_e32 v0, 0
	v_cndmask_b32_e64 v2, 0, 1, s10
	s_mov_b32 s10, -1
	v_dual_cndmask_b32 v65, 0, v66 :: v_dual_mov_b32 v84, v121
	s_delay_alu instid0(VALU_DEP_2) | instskip(NEXT) | instid1(VALU_DEP_2)
	v_cmp_ne_u32_e32 vcc_lo, 0, v2
	v_mov_b32_e32 v3, v65
	s_cbranch_vccz .LBB4_9779
; %bb.9777:                             ;   in Loop: Header=BB4_9707 Depth=1
	s_and_saveexec_b32 s23, s10
	s_cbranch_execnz .LBB4_12206
	s_branch .LBB4_12808
.LBB4_9778:                             ;   in Loop: Header=BB4_9707 Depth=1
	s_mov_b32 s10, 0
	s_and_saveexec_b32 s11, s2
	s_cbranch_execnz .LBB4_12809
	s_branch .LBB4_12827
.LBB4_9779:                             ;   in Loop: Header=BB4_9707 Depth=1
	v_lshrrev_b32_e32 v0, 11, v65
	v_lshrrev_b32_e32 v2, 5, v121
	s_mov_b32 s11, exec_lo
	s_delay_alu instid0(VALU_DEP_1) | instskip(NEXT) | instid1(VALU_DEP_1)
	v_sub_nc_u32_e32 v67, v0, v2
	v_cmpx_lt_i32_e32 0, v67
	s_cbranch_execz .LBB4_11711
; %bb.9780:                             ;   in Loop: Header=BB4_9707 Depth=1
	s_trap 2
	ds_load_b64 v[2:3], v0
	v_mov_b64_e32 v[80:81], v[70:71]
	v_mov_b64_e32 v[82:83], v[68:69]
	s_wait_dscnt 0x0
	v_readfirstlane_b32 s24, v2
	v_readfirstlane_b32 s25, v3
	s_and_b32 s23, s24, 3
	s_bfe_i32 s10, s24, 0x80000
	s_clz_i32_u32 s28, s23
	s_bfe_u32 s26, s24, 0x50002
	s_min_u32 s28, s28, 32
	s_and_b32 s27, s24, 0x7c
	s_sub_co_i32 s41, s28, 29
	s_lshl_b32 s29, s24, 24
	s_sext_i32_i8 s40, s24
	s_lshl_b64 s[24:25], s[24:25], s41
	s_and_b32 s29, s29, 0x80000000
	s_sub_co_i32 s25, 30, s28
	s_and_b32 s24, s24, 3
	s_cmp_gt_i32 s40, -1
	s_cselect_b32 s28, s20, 0xff800000
	s_cmp_eq_u32 s23, 0
	s_cselect_b32 s28, s28, 0x7f800001
	s_cmp_eq_u32 s26, 0
	s_cselect_b32 s25, s25, s26
	s_cselect_b32 s23, s24, s23
	s_lshl_b32 s24, s25, 23
	s_lshl_b32 s23, s23, 21
	s_add_co_i32 s24, s24, s29
	s_delay_alu instid0(SALU_CYCLE_1)
	s_or_b32 s23, s24, s23
	s_mov_b32 s24, 0
	s_add_co_i32 s23, s23, 0x38000000
	s_cmp_eq_u32 s27, 0x7c
	s_cselect_b32 s23, s28, s23
	s_and_b32 s25, s10, 0xff
	s_delay_alu instid0(SALU_CYCLE_1)
	s_and_b32 s26, 0xffff, s25
	s_branch .LBB4_9783
.LBB4_9781:                             ;   in Loop: Header=BB4_9783 Depth=2
	s_or_b32 exec_lo, exec_lo, s27
.LBB4_9782:                             ;   in Loop: Header=BB4_9783 Depth=2
	s_delay_alu instid0(SALU_CYCLE_1)
	s_or_b32 exec_lo, exec_lo, s10
	v_lshl_or_b32 v11, v89, 8, v88
	v_dual_lshlrev_b32 v12, 16, v96 :: v_dual_lshlrev_b32 v13, 24, v97
	v_lshl_or_b32 v14, v77, 8, v76
	v_dual_lshlrev_b32 v20, 16, v78 :: v_dual_lshlrev_b32 v21, 24, v79
	;; [unrolled: 2-line block ×3, first 2 shown]
	v_dual_lshlrev_b32 v85, 24, v105 :: v_dual_lshlrev_b32 v96, 16, v104
	v_lshl_or_b32 v97, v95, 8, v94
	v_lshl_or_b32 v98, v59, 8, v58
	v_dual_lshlrev_b32 v99, 16, v60 :: v_dual_lshlrev_b32 v76, 24, v61
	v_or3_b32 v59, v11, v12, v13
	v_or3_b32 v58, v14, v20, v21
	;; [unrolled: 1-line block ×3, first 2 shown]
	v_lshl_or_b32 v11, v47, 8, v46
	v_dual_lshlrev_b32 v12, 16, v56 :: v_dual_lshlrev_b32 v13, 24, v57
	v_lshl_or_b32 v14, v63, 8, v62
	v_dual_lshlrev_b32 v20, 16, v72 :: v_dual_lshlrev_b32 v21, 24, v75
	v_dual_lshlrev_b32 v0, 24, v0 :: v_dual_lshlrev_b32 v24, 16, v74
	v_lshl_or_b32 v3, v73, 8, v3
	v_or3_b32 v61, v97, v96, v85
	v_or3_b32 v77, v98, v99, v76
	v_lshl_or_b32 v25, v115, 8, v114
	v_dual_lshlrev_b32 v30, 16, v116 :: v_dual_lshlrev_b32 v85, 24, v117
	v_or3_b32 v76, v11, v12, v13
	v_or3_b32 v78, v14, v20, v0
	;; [unrolled: 1-line block ×3, first 2 shown]
	v_lshl_or_b32 v0, v119, 8, v118
	v_dual_lshlrev_b32 v3, 16, v40 :: v_dual_lshlrev_b32 v11, 24, v41
	v_dual_lshlrev_b32 v12, 24, v45 :: v_dual_lshlrev_b32 v13, 16, v44
	v_lshl_or_b32 v14, v43, 8, v42
	v_dual_lshlrev_b32 v10, 24, v10 :: v_dual_sub_nc_u32 v67, v67, v16
	v_lshl_or_b32 v96, v103, 8, v102
	v_dual_lshlrev_b32 v97, 16, v112 :: v_dual_lshlrev_b32 v98, 24, v113
	v_or3_b32 v113, v25, v30, v85
	v_lshl_or_b32 v20, v111, 8, v110
	v_dual_lshlrev_b32 v21, 16, v86 :: v_dual_lshlrev_b32 v24, 24, v87
	v_lshl_or_b32 v25, v107, 8, v106
	v_dual_lshlrev_b32 v30, 16, v108 :: v_dual_lshlrev_b32 v85, 24, v109
	v_or3_b32 v114, v0, v3, v11
	v_or3_b32 v115, v14, v13, v12
	v_lshl_or_b32 v0, v123, 8, v122
	v_dual_lshlrev_b32 v3, 16, v124 :: v_dual_lshlrev_b32 v11, 24, v125
	v_lshlrev_b32_e32 v14, 16, v84
	v_lshl_or_b32 v2, v2, 8, v126
	v_add_nc_u64_e32 v[12:13], v[52:53], v[80:81]
	v_add_nc_u64_e32 v[82:83], v[82:83], v[38:39]
	v_cmp_gt_i32_e32 vcc_lo, 1, v67
	v_add_nc_u64_e32 v[80:81], v[80:81], v[38:39]
	v_or3_b32 v112, v96, v97, v98
	v_or3_b32 v117, v20, v21, v24
	v_or3_b32 v116, v25, v30, v85
	v_or3_b32 v118, v0, v3, v11
	v_or3_b32 v119, v2, v14, v10
	s_or_b32 s24, vcc_lo, s24
	s_clause 0x3
	global_store_b128 v[12:13], v[112:115], off th:TH_STORE_NT
	global_store_b128 v[12:13], v[76:79], off offset:512 th:TH_STORE_NT
	global_store_b128 v[12:13], v[58:61], off offset:1024 th:TH_STORE_NT
	;; [unrolled: 1-line block ×3, first 2 shown]
	s_wait_xcnt 0x0
	s_and_not1_b32 exec_lo, exec_lo, s24
	s_cbranch_execz .LBB4_11710
.LBB4_9783:                             ;   Parent Loop BB4_9707 Depth=1
                                        ; =>  This Inner Loop Header: Depth=2
	s_cmp_lt_i32 s25, 0x80
	s_cbranch_scc1 .LBB4_9787
; %bb.9784:                             ;   in Loop: Header=BB4_9783 Depth=2
	s_cmp_eq_u32 s26, 0x80
	s_mov_b32 s10, -1
	s_cbranch_scc0 .LBB4_9786
; %bb.9785:                             ;   in Loop: Header=BB4_9783 Depth=2
	s_mov_b32 s10, 0
.LBB4_9786:                             ;   in Loop: Header=BB4_9783 Depth=2
	s_brev_b32 s27, 1
	s_branch .LBB4_9789
.LBB4_9787:                             ;   in Loop: Header=BB4_9783 Depth=2
	s_mov_b32 s10, 0
	s_brev_b32 s27, 1
	s_cbranch_execz .LBB4_9789
; %bb.9788:                             ;   in Loop: Header=BB4_9783 Depth=2
	s_cmp_lg_u32 s26, 0
	s_mov_b32 s27, 0
	s_cselect_b32 s10, -1, 0
.LBB4_9789:                             ;   in Loop: Header=BB4_9783 Depth=2
	s_delay_alu instid0(SALU_CYCLE_1)
	s_and_not1_b32 vcc_lo, exec_lo, s10
	s_cbranch_vccnz .LBB4_9791
; %bb.9790:                             ;   in Loop: Header=BB4_9783 Depth=2
	s_mov_b32 s27, s23
.LBB4_9791:                             ;   in Loop: Header=BB4_9783 Depth=2
	v_add_nc_u64_e32 v[84:85], v[52:53], v[82:83]
	global_load_b128 v[10:13], v[84:85], off th:TH_LOAD_NT
	s_wait_loadcnt 0x0
	v_and_b32_e32 v0, 0xff, v10
	s_delay_alu instid0(VALU_DEP_1)
	v_cmp_ne_u16_e32 vcc_lo, 0, v0
	v_mov_b32_e32 v0, 0
	s_wait_xcnt 0x0
	s_and_saveexec_b32 s10, vcc_lo
	s_cbranch_execz .LBB4_9801
; %bb.9792:                             ;   in Loop: Header=BB4_9783 Depth=2
	v_bfe_i32 v3, v10, 0, 8
	v_bfrev_b32_e32 v0, 1
	s_mov_b32 s28, exec_lo
	s_delay_alu instid0(VALU_DEP_2)
	v_cmpx_ne_u16_e32 0xff80, v3
	s_cbranch_execz .LBB4_9800
; %bb.9793:                             ;   in Loop: Header=BB4_9783 Depth=2
	v_and_b32_e32 v0, 0x7c, v10
	v_and_b32_e32 v2, 3, v10
	s_delay_alu instid0(VALU_DEP_2) | instskip(SKIP_1) | instid1(SALU_CYCLE_1)
	v_cmp_ne_u32_e32 vcc_lo, 0x7c, v0
                                        ; implicit-def: $vgpr0
	s_and_saveexec_b32 s29, vcc_lo
	s_xor_b32 s29, exec_lo, s29
	s_cbranch_execz .LBB4_9797
; %bb.9794:                             ;   in Loop: Header=BB4_9783 Depth=2
	v_bfe_u32 v0, v10, 2, 5
	s_mov_b32 s40, exec_lo
	s_delay_alu instid0(VALU_DEP_1)
	v_cmpx_eq_u32_e32 0, v0
; %bb.9795:                             ;   in Loop: Header=BB4_9783 Depth=2
	v_clz_i32_u32_e32 v0, v2
	s_delay_alu instid0(VALU_DEP_1) | instskip(NEXT) | instid1(VALU_DEP_1)
	v_min_u32_e32 v0, 32, v0
	v_subrev_nc_u32_e32 v2, 29, v0
	s_delay_alu instid0(VALU_DEP_1) | instskip(NEXT) | instid1(VALU_DEP_1)
	v_lshlrev_b64_e32 v[2:3], v2, v[10:11]
	v_dual_sub_nc_u32 v0, 30, v0 :: v_dual_bitop2_b32 v2, 3, v2 bitop3:0x40
; %bb.9796:                             ;   in Loop: Header=BB4_9783 Depth=2
	s_or_b32 exec_lo, exec_lo, s40
	v_lshlrev_b32_e32 v3, 24, v10
	s_delay_alu instid0(VALU_DEP_1) | instskip(NEXT) | instid1(VALU_DEP_1)
	v_and_b32_e32 v3, 0x80000000, v3
	v_lshl_add_u32 v0, v0, 23, v3
                                        ; implicit-def: $vgpr3
	s_delay_alu instid0(VALU_DEP_1) | instskip(NEXT) | instid1(VALU_DEP_1)
	v_lshl_or_b32 v0, v2, 21, v0
                                        ; implicit-def: $vgpr2
	v_add_nc_u32_e32 v0, 0x38000000, v0
.LBB4_9797:                             ;   in Loop: Header=BB4_9783 Depth=2
	s_and_not1_saveexec_b32 s29, s29
; %bb.9798:                             ;   in Loop: Header=BB4_9783 Depth=2
	v_cmp_lt_i16_e32 vcc_lo, -1, v3
	v_cndmask_b32_e32 v0, 0xff800000, v100, vcc_lo
	v_cmp_eq_u32_e32 vcc_lo, 0, v2
	s_delay_alu instid0(VALU_DEP_2)
	v_cndmask_b32_e32 v0, 0x7f800001, v0, vcc_lo
; %bb.9799:                             ;   in Loop: Header=BB4_9783 Depth=2
	s_or_b32 exec_lo, exec_lo, s29
.LBB4_9800:                             ;   in Loop: Header=BB4_9783 Depth=2
	s_delay_alu instid0(SALU_CYCLE_1)
	s_or_b32 exec_lo, exec_lo, s28
.LBB4_9801:                             ;   in Loop: Header=BB4_9783 Depth=2
	s_delay_alu instid0(SALU_CYCLE_1) | instskip(NEXT) | instid1(VALU_DEP_1)
	s_or_b32 exec_lo, exec_lo, s10
	v_dual_mul_f32 v2, s27, v0 :: v_dual_mov_b32 v21, v15
                                        ; implicit-def: $vgpr102
	s_mov_b32 s10, exec_lo
	s_delay_alu instid0(VALU_DEP_1) | instskip(SKIP_2) | instid1(VALU_DEP_3)
	v_and_b32_e32 v20, 0x7f800000, v2
	v_and_b32_e32 v14, 0x7fffff, v2
	v_lshrrev_b32_e32 v0, 24, v2
	v_cmpx_ne_u64_e32 0x7f800000, v[20:21]
	s_xor_b32 s28, exec_lo, s10
	s_cbranch_execz .LBB4_9815
; %bb.9802:                             ;   in Loop: Header=BB4_9783 Depth=2
	v_and_b32_e32 v20, 0x7fffffff, v2
	v_mov_b32_e32 v21, v15
	v_and_b32_e32 v0, 0x80, v0
                                        ; implicit-def: $vgpr102
	s_mov_b32 s10, exec_lo
	s_delay_alu instid0(VALU_DEP_2)
	v_cmpx_gt_u64_e32 0x47600001, v[20:21]
	s_xor_b32 s29, exec_lo, s10
	s_cbranch_execz .LBB4_9812
; %bb.9803:                             ;   in Loop: Header=BB4_9783 Depth=2
	v_mov_b32_e32 v102, 0
	s_mov_b32 s40, exec_lo
	v_cmpx_ne_u32_e32 0, v2
	s_cbranch_execz .LBB4_9811
; %bb.9804:                             ;   in Loop: Header=BB4_9783 Depth=2
	v_bfe_u32 v2, v2, 23, 8
	v_or_b32_e32 v24, 0x800000, v14
	v_mov_b32_e32 v87, v15
	s_delay_alu instid0(VALU_DEP_3) | instskip(SKIP_1) | instid1(VALU_DEP_2)
	v_sub_nc_u32_e32 v3, 0x71, v2
	v_cmp_gt_u32_e32 vcc_lo, 0x72, v2
	v_cndmask_b32_e32 v3, 0, v3, vcc_lo
	v_cmp_eq_u32_e32 vcc_lo, 0, v2
	v_cndmask_b32_e32 v86, v24, v14, vcc_lo
	s_delay_alu instid0(VALU_DEP_3) | instskip(NEXT) | instid1(VALU_DEP_1)
	v_cndmask_b32_e64 v3, v3, 0x70, vcc_lo
	v_dual_add_nc_u32 v20, 21, v3 :: v_dual_add_nc_u32 v25, 20, v3
	s_delay_alu instid0(VALU_DEP_1) | instskip(NEXT) | instid1(VALU_DEP_2)
	v_lshlrev_b64_e64 v[20:21], v20, -1
	v_lshlrev_b64_e64 v[96:97], v25, 1
	s_delay_alu instid0(VALU_DEP_2) | instskip(SKIP_1) | instid1(VALU_DEP_4)
	v_bfi_b32 v20, v20, 0, v86
	v_lshrrev_b64 v[86:87], v3, v[86:87]
	v_bfi_b32 v21, v21, 0, 0
	s_delay_alu instid0(VALU_DEP_1) | instskip(NEXT) | instid1(VALU_DEP_3)
	v_cmp_eq_u64_e64 s10, v[20:21], v[96:97]
	v_mov_b64_e32 v[96:97], v[86:87]
	s_and_saveexec_b32 s41, s10
; %bb.9805:                             ;   in Loop: Header=BB4_9783 Depth=2
	v_bfe_u32 v20, v86, 21, 1
	v_mov_b32_e32 v21, v15
	s_delay_alu instid0(VALU_DEP_1) | instskip(NEXT) | instid1(VALU_DEP_1)
	v_add_nc_u64_e32 v[20:21], v[86:87], v[20:21]
	v_add_nc_u64_e32 v[96:97], -1, v[20:21]
; %bb.9806:                             ;   in Loop: Header=BB4_9783 Depth=2
	s_or_b32 exec_lo, exec_lo, s41
	v_add_nc_u32_e32 v2, 0xffffff81, v2
	v_lshrrev_b32_e32 v14, 23, v86
	s_mov_b32 s10, exec_lo
	s_delay_alu instid0(VALU_DEP_2) | instskip(NEXT) | instid1(VALU_DEP_1)
	v_cndmask_b32_e64 v2, v2, 0xffffff82, vcc_lo
	v_add3_u32 v3, v3, v2, v14
	v_and_b32_e32 v2, 0x1fffff, v96
	s_delay_alu instid0(VALU_DEP_1) | instskip(NEXT) | instid1(VALU_DEP_1)
	v_dual_add_nc_u32 v20, 14, v3 :: v_dual_add_nc_u32 v14, v2, v86
                                        ; implicit-def: $vgpr86_vgpr87
                                        ; implicit-def: $vgpr2
	v_cmpx_ne_u32_e32 0, v20
	s_xor_b32 s10, exec_lo, s10
; %bb.9807:                             ;   in Loop: Header=BB4_9783 Depth=2
	s_delay_alu instid0(VALU_DEP_2) | instskip(SKIP_2) | instid1(VALU_DEP_2)
	v_cmp_lt_u64_e32 vcc_lo, 0xffffff, v[14:15]
	v_add_nc_u32_e32 v2, 15, v3
	v_cndmask_b32_e64 v3, 0, 1, vcc_lo
	v_cndmask_b32_e32 v2, v20, v2, vcc_lo
	s_delay_alu instid0(VALU_DEP_2)
	v_lshrrev_b64 v[86:87], v3, v[14:15]
; %bb.9808:                             ;   in Loop: Header=BB4_9783 Depth=2
	s_and_not1_saveexec_b32 s10, s10
; %bb.9809:                             ;   in Loop: Header=BB4_9783 Depth=2
	v_mov_b64_e32 v[86:87], v[14:15]
	v_bfe_u32 v2, v14, 23, 1
; %bb.9810:                             ;   in Loop: Header=BB4_9783 Depth=2
	s_or_b32 exec_lo, exec_lo, s10
	s_delay_alu instid0(VALU_DEP_2) | instskip(NEXT) | instid1(VALU_DEP_2)
	v_lshrrev_b64 v[20:21], 21, v[86:87]
	v_cmp_gt_i32_e32 vcc_lo, 32, v2
	v_min_i32_e32 v3, 31, v2
	v_cmp_eq_u32_e64 s10, 0, v2
	s_delay_alu instid0(VALU_DEP_2) | instskip(SKIP_1) | instid1(VALU_DEP_2)
	v_dual_cndmask_b32 v21, 0, v21, vcc_lo :: v_dual_lshlrev_b32 v3, 2, v3
	v_cndmask_b32_e32 v20, 3, v20, vcc_lo
	v_and_b32_e32 v3, 0xfc, v3
	s_delay_alu instid0(VALU_DEP_2) | instskip(NEXT) | instid1(VALU_DEP_2)
	v_cmp_eq_u64_e32 vcc_lo, 0, v[20:21]
	v_and_or_b32 v2, v20, 3, v3
	s_and_b32 s10, s10, vcc_lo
	s_delay_alu instid0(VALU_DEP_1) | instid1(SALU_CYCLE_1)
	v_cndmask_b32_e64 v2, v2, 0, s10
	s_delay_alu instid0(VALU_DEP_1)
	v_or_b32_e32 v102, v2, v0
.LBB4_9811:                             ;   in Loop: Header=BB4_9783 Depth=2
	s_or_b32 exec_lo, exec_lo, s40
                                        ; implicit-def: $vgpr0
.LBB4_9812:                             ;   in Loop: Header=BB4_9783 Depth=2
	s_and_not1_saveexec_b32 s10, s29
; %bb.9813:                             ;   in Loop: Header=BB4_9783 Depth=2
	v_or_b32_e32 v102, 0x7b, v0
; %bb.9814:                             ;   in Loop: Header=BB4_9783 Depth=2
	s_or_b32 exec_lo, exec_lo, s10
                                        ; implicit-def: $vgpr2
                                        ; implicit-def: $vgpr0
.LBB4_9815:                             ;   in Loop: Header=BB4_9783 Depth=2
	s_and_not1_saveexec_b32 s10, s28
	s_cbranch_execz .LBB4_9821
; %bb.9816:                             ;   in Loop: Header=BB4_9783 Depth=2
	s_mov_b32 s28, exec_lo
                                        ; implicit-def: $vgpr102
	v_cmpx_ne_u64_e32 0, v[14:15]
	s_xor_b32 s28, exec_lo, s28
; %bb.9817:                             ;   in Loop: Header=BB4_9783 Depth=2
	v_or_b32_e32 v102, 0x7f, v0
                                        ; implicit-def: $vgpr2
; %bb.9818:                             ;   in Loop: Header=BB4_9783 Depth=2
	s_and_not1_saveexec_b32 s28, s28
; %bb.9819:                             ;   in Loop: Header=BB4_9783 Depth=2
	v_cmp_lt_i32_e32 vcc_lo, -1, v2
	v_cndmask_b32_e32 v102, 0xfc, v101, vcc_lo
; %bb.9820:                             ;   in Loop: Header=BB4_9783 Depth=2
	s_or_b32 exec_lo, exec_lo, s28
.LBB4_9821:                             ;   in Loop: Header=BB4_9783 Depth=2
	s_delay_alu instid0(SALU_CYCLE_1) | instskip(SKIP_3) | instid1(VALU_DEP_2)
	s_or_b32 exec_lo, exec_lo, s10
	v_lshrrev_b16 v86, 8, v10
	v_mov_b32_e32 v2, 0
	s_mov_b32 s10, exec_lo
	v_cmpx_ne_u16_e32 0, v86
	s_cbranch_execz .LBB4_9831
; %bb.9822:                             ;   in Loop: Header=BB4_9783 Depth=2
	v_bfrev_b32_e32 v2, 1
	s_mov_b32 s28, exec_lo
	v_cmpx_ne_u16_e32 0x80, v86
	s_cbranch_execz .LBB4_9830
; %bb.9823:                             ;   in Loop: Header=BB4_9783 Depth=2
	v_and_b32_e32 v3, 0xffff, v86
	s_delay_alu instid0(VALU_DEP_1) | instskip(SKIP_1) | instid1(VALU_DEP_2)
	v_and_b32_e32 v2, 0x7c, v3
	v_and_b32_e32 v0, 3, v3
	v_cmp_ne_u32_e32 vcc_lo, 0x7c, v2
                                        ; implicit-def: $vgpr2
	s_and_saveexec_b32 s29, vcc_lo
	s_delay_alu instid0(SALU_CYCLE_1)
	s_xor_b32 s29, exec_lo, s29
	s_cbranch_execz .LBB4_9827
; %bb.9824:                             ;   in Loop: Header=BB4_9783 Depth=2
	v_bfe_u32 v2, v3, 2, 5
	s_mov_b32 s40, exec_lo
	s_delay_alu instid0(VALU_DEP_1)
	v_cmpx_eq_u32_e32 0, v2
	s_cbranch_execz .LBB4_9826
; %bb.9825:                             ;   in Loop: Header=BB4_9783 Depth=2
	v_clz_i32_u32_e32 v0, v0
	s_delay_alu instid0(VALU_DEP_1) | instskip(SKIP_1) | instid1(VALU_DEP_2)
	v_min_u32_e32 v0, 32, v0
	v_mov_b32_e32 v87, v15
	v_subrev_nc_u32_e32 v2, 29, v0
	s_delay_alu instid0(VALU_DEP_1) | instskip(SKIP_1) | instid1(VALU_DEP_2)
	v_lshlrev_b64_e32 v[20:21], v2, v[86:87]
	v_sub_nc_u32_e32 v2, 30, v0
	v_and_b32_e32 v0, 3, v20
.LBB4_9826:                             ;   in Loop: Header=BB4_9783 Depth=2
	s_or_b32 exec_lo, exec_lo, s40
	v_lshlrev_b32_e32 v3, 16, v10
	s_delay_alu instid0(VALU_DEP_1) | instskip(NEXT) | instid1(VALU_DEP_1)
	v_and_b32_e32 v3, 0x80000000, v3
	v_lshl_add_u32 v2, v2, 23, v3
	s_delay_alu instid0(VALU_DEP_1) | instskip(NEXT) | instid1(VALU_DEP_1)
	v_lshl_or_b32 v0, v0, 21, v2
	v_add_nc_u32_e32 v2, 0x38000000, v0
                                        ; implicit-def: $vgpr0
.LBB4_9827:                             ;   in Loop: Header=BB4_9783 Depth=2
	s_and_not1_saveexec_b32 s29, s29
; %bb.9828:                             ;   in Loop: Header=BB4_9783 Depth=2
	v_cmp_lt_i16_e32 vcc_lo, -1, v10
	v_cndmask_b32_e32 v2, 0xff800000, v100, vcc_lo
	v_cmp_eq_u32_e32 vcc_lo, 0, v0
	s_delay_alu instid0(VALU_DEP_2)
	v_cndmask_b32_e32 v2, 0x7f800001, v2, vcc_lo
; %bb.9829:                             ;   in Loop: Header=BB4_9783 Depth=2
	s_or_b32 exec_lo, exec_lo, s29
.LBB4_9830:                             ;   in Loop: Header=BB4_9783 Depth=2
	s_delay_alu instid0(SALU_CYCLE_1)
	s_or_b32 exec_lo, exec_lo, s28
.LBB4_9831:                             ;   in Loop: Header=BB4_9783 Depth=2
	s_delay_alu instid0(SALU_CYCLE_1) | instskip(NEXT) | instid1(VALU_DEP_1)
	s_or_b32 exec_lo, exec_lo, s10
	v_dual_mul_f32 v2, s27, v2 :: v_dual_mov_b32 v21, v15
                                        ; implicit-def: $vgpr103
	s_mov_b32 s10, exec_lo
	s_delay_alu instid0(VALU_DEP_1) | instskip(SKIP_2) | instid1(VALU_DEP_3)
	v_and_b32_e32 v20, 0x7f800000, v2
	v_and_b32_e32 v14, 0x7fffff, v2
	v_lshrrev_b32_e32 v0, 24, v2
	v_cmpx_ne_u64_e32 0x7f800000, v[20:21]
	s_xor_b32 s28, exec_lo, s10
	s_cbranch_execz .LBB4_9845
; %bb.9832:                             ;   in Loop: Header=BB4_9783 Depth=2
	v_and_b32_e32 v20, 0x7fffffff, v2
	v_mov_b32_e32 v21, v15
	v_and_b32_e32 v0, 0x80, v0
                                        ; implicit-def: $vgpr103
	s_mov_b32 s10, exec_lo
	s_delay_alu instid0(VALU_DEP_2)
	v_cmpx_gt_u64_e32 0x47600001, v[20:21]
	s_xor_b32 s29, exec_lo, s10
	s_cbranch_execz .LBB4_9842
; %bb.9833:                             ;   in Loop: Header=BB4_9783 Depth=2
	v_mov_b32_e32 v103, 0
	s_mov_b32 s40, exec_lo
	v_cmpx_ne_u32_e32 0, v2
	s_cbranch_execz .LBB4_9841
; %bb.9834:                             ;   in Loop: Header=BB4_9783 Depth=2
	v_bfe_u32 v2, v2, 23, 8
	v_or_b32_e32 v24, 0x800000, v14
	v_mov_b32_e32 v87, v15
	s_delay_alu instid0(VALU_DEP_3) | instskip(SKIP_1) | instid1(VALU_DEP_2)
	v_sub_nc_u32_e32 v3, 0x71, v2
	v_cmp_gt_u32_e32 vcc_lo, 0x72, v2
	v_cndmask_b32_e32 v3, 0, v3, vcc_lo
	v_cmp_eq_u32_e32 vcc_lo, 0, v2
	v_cndmask_b32_e32 v86, v24, v14, vcc_lo
	s_delay_alu instid0(VALU_DEP_3) | instskip(NEXT) | instid1(VALU_DEP_1)
	v_cndmask_b32_e64 v3, v3, 0x70, vcc_lo
	v_dual_add_nc_u32 v20, 21, v3 :: v_dual_add_nc_u32 v25, 20, v3
	s_delay_alu instid0(VALU_DEP_1) | instskip(NEXT) | instid1(VALU_DEP_2)
	v_lshlrev_b64_e64 v[20:21], v20, -1
	v_lshlrev_b64_e64 v[96:97], v25, 1
	s_delay_alu instid0(VALU_DEP_2) | instskip(SKIP_1) | instid1(VALU_DEP_4)
	v_bfi_b32 v20, v20, 0, v86
	v_lshrrev_b64 v[86:87], v3, v[86:87]
	v_bfi_b32 v21, v21, 0, 0
	s_delay_alu instid0(VALU_DEP_1) | instskip(NEXT) | instid1(VALU_DEP_3)
	v_cmp_eq_u64_e64 s10, v[20:21], v[96:97]
	v_mov_b64_e32 v[96:97], v[86:87]
	s_and_saveexec_b32 s41, s10
; %bb.9835:                             ;   in Loop: Header=BB4_9783 Depth=2
	v_bfe_u32 v20, v86, 21, 1
	v_mov_b32_e32 v21, v15
	s_delay_alu instid0(VALU_DEP_1) | instskip(NEXT) | instid1(VALU_DEP_1)
	v_add_nc_u64_e32 v[20:21], v[86:87], v[20:21]
	v_add_nc_u64_e32 v[96:97], -1, v[20:21]
; %bb.9836:                             ;   in Loop: Header=BB4_9783 Depth=2
	s_or_b32 exec_lo, exec_lo, s41
	v_add_nc_u32_e32 v2, 0xffffff81, v2
	v_lshrrev_b32_e32 v14, 23, v86
	s_mov_b32 s10, exec_lo
	s_delay_alu instid0(VALU_DEP_2) | instskip(NEXT) | instid1(VALU_DEP_1)
	v_cndmask_b32_e64 v2, v2, 0xffffff82, vcc_lo
	v_add3_u32 v3, v3, v2, v14
	v_and_b32_e32 v2, 0x1fffff, v96
	s_delay_alu instid0(VALU_DEP_1) | instskip(NEXT) | instid1(VALU_DEP_1)
	v_dual_add_nc_u32 v20, 14, v3 :: v_dual_add_nc_u32 v14, v2, v86
                                        ; implicit-def: $vgpr86_vgpr87
                                        ; implicit-def: $vgpr2
	v_cmpx_ne_u32_e32 0, v20
	s_xor_b32 s10, exec_lo, s10
; %bb.9837:                             ;   in Loop: Header=BB4_9783 Depth=2
	s_delay_alu instid0(VALU_DEP_2) | instskip(SKIP_2) | instid1(VALU_DEP_2)
	v_cmp_lt_u64_e32 vcc_lo, 0xffffff, v[14:15]
	v_add_nc_u32_e32 v2, 15, v3
	v_cndmask_b32_e64 v3, 0, 1, vcc_lo
	v_cndmask_b32_e32 v2, v20, v2, vcc_lo
	s_delay_alu instid0(VALU_DEP_2)
	v_lshrrev_b64 v[86:87], v3, v[14:15]
; %bb.9838:                             ;   in Loop: Header=BB4_9783 Depth=2
	s_and_not1_saveexec_b32 s10, s10
; %bb.9839:                             ;   in Loop: Header=BB4_9783 Depth=2
	v_mov_b64_e32 v[86:87], v[14:15]
	v_bfe_u32 v2, v14, 23, 1
; %bb.9840:                             ;   in Loop: Header=BB4_9783 Depth=2
	s_or_b32 exec_lo, exec_lo, s10
	s_delay_alu instid0(VALU_DEP_2) | instskip(NEXT) | instid1(VALU_DEP_2)
	v_lshrrev_b64 v[20:21], 21, v[86:87]
	v_cmp_gt_i32_e32 vcc_lo, 32, v2
	v_min_i32_e32 v3, 31, v2
	v_cmp_eq_u32_e64 s10, 0, v2
	s_delay_alu instid0(VALU_DEP_2) | instskip(SKIP_1) | instid1(VALU_DEP_2)
	v_dual_cndmask_b32 v21, 0, v21, vcc_lo :: v_dual_lshlrev_b32 v3, 2, v3
	v_cndmask_b32_e32 v20, 3, v20, vcc_lo
	v_and_b32_e32 v3, 0xfc, v3
	s_delay_alu instid0(VALU_DEP_2) | instskip(NEXT) | instid1(VALU_DEP_2)
	v_cmp_eq_u64_e32 vcc_lo, 0, v[20:21]
	v_and_or_b32 v2, v20, 3, v3
	s_and_b32 s10, s10, vcc_lo
	s_delay_alu instid0(VALU_DEP_1) | instid1(SALU_CYCLE_1)
	v_cndmask_b32_e64 v2, v2, 0, s10
	s_delay_alu instid0(VALU_DEP_1)
	v_or_b32_e32 v103, v2, v0
.LBB4_9841:                             ;   in Loop: Header=BB4_9783 Depth=2
	s_or_b32 exec_lo, exec_lo, s40
                                        ; implicit-def: $vgpr0
.LBB4_9842:                             ;   in Loop: Header=BB4_9783 Depth=2
	s_and_not1_saveexec_b32 s10, s29
; %bb.9843:                             ;   in Loop: Header=BB4_9783 Depth=2
	v_or_b32_e32 v103, 0x7b, v0
; %bb.9844:                             ;   in Loop: Header=BB4_9783 Depth=2
	s_or_b32 exec_lo, exec_lo, s10
                                        ; implicit-def: $vgpr2
                                        ; implicit-def: $vgpr0
.LBB4_9845:                             ;   in Loop: Header=BB4_9783 Depth=2
	s_and_not1_saveexec_b32 s10, s28
	s_cbranch_execz .LBB4_9851
; %bb.9846:                             ;   in Loop: Header=BB4_9783 Depth=2
	s_mov_b32 s28, exec_lo
                                        ; implicit-def: $vgpr103
	v_cmpx_ne_u64_e32 0, v[14:15]
	s_xor_b32 s28, exec_lo, s28
; %bb.9847:                             ;   in Loop: Header=BB4_9783 Depth=2
	v_or_b32_e32 v103, 0x7f, v0
                                        ; implicit-def: $vgpr2
; %bb.9848:                             ;   in Loop: Header=BB4_9783 Depth=2
	s_and_not1_saveexec_b32 s28, s28
; %bb.9849:                             ;   in Loop: Header=BB4_9783 Depth=2
	v_cmp_lt_i32_e32 vcc_lo, -1, v2
	v_cndmask_b32_e32 v103, 0xfc, v101, vcc_lo
; %bb.9850:                             ;   in Loop: Header=BB4_9783 Depth=2
	s_or_b32 exec_lo, exec_lo, s28
.LBB4_9851:                             ;   in Loop: Header=BB4_9783 Depth=2
	s_delay_alu instid0(SALU_CYCLE_1) | instskip(SKIP_2) | instid1(VALU_DEP_1)
	s_or_b32 exec_lo, exec_lo, s10
	v_dual_lshrrev_b32 v14, 16, v10 :: v_dual_mov_b32 v0, 0
	s_mov_b32 s10, exec_lo
	v_and_b32_e32 v2, 0xff, v14
	s_delay_alu instid0(VALU_DEP_1)
	v_cmpx_ne_u16_e32 0, v2
	s_cbranch_execz .LBB4_9861
; %bb.9852:                             ;   in Loop: Header=BB4_9783 Depth=2
	v_bfrev_b32_e32 v0, 1
	s_mov_b32 s28, exec_lo
	v_cmpx_ne_u16_e32 0x80, v2
	s_cbranch_execz .LBB4_9860
; %bb.9853:                             ;   in Loop: Header=BB4_9783 Depth=2
	v_and_b32_e32 v0, 0x7c0000, v10
	v_bfe_u32 v2, v10, 16, 2
	s_delay_alu instid0(VALU_DEP_2) | instskip(SKIP_1) | instid1(SALU_CYCLE_1)
	v_cmp_ne_u32_e32 vcc_lo, 0x7c0000, v0
                                        ; implicit-def: $vgpr0
	s_and_saveexec_b32 s29, vcc_lo
	s_xor_b32 s29, exec_lo, s29
	s_cbranch_execz .LBB4_9857
; %bb.9854:                             ;   in Loop: Header=BB4_9783 Depth=2
	v_bfe_u32 v0, v10, 18, 5
	s_mov_b32 s40, exec_lo
	s_delay_alu instid0(VALU_DEP_1)
	v_cmpx_eq_u32_e32 0, v0
; %bb.9855:                             ;   in Loop: Header=BB4_9783 Depth=2
	v_clz_i32_u32_e32 v0, v2
	s_delay_alu instid0(VALU_DEP_1) | instskip(NEXT) | instid1(VALU_DEP_1)
	v_min_u32_e32 v0, 32, v0
	v_subrev_nc_u32_e32 v2, 29, v0
	s_delay_alu instid0(VALU_DEP_1) | instskip(NEXT) | instid1(VALU_DEP_1)
	v_lshlrev_b64_e32 v[2:3], v2, v[14:15]
	v_dual_sub_nc_u32 v0, 30, v0 :: v_dual_bitop2_b32 v2, 3, v2 bitop3:0x40
; %bb.9856:                             ;   in Loop: Header=BB4_9783 Depth=2
	s_or_b32 exec_lo, exec_lo, s40
	v_lshlrev_b32_e32 v3, 24, v14
                                        ; implicit-def: $vgpr14
	s_delay_alu instid0(VALU_DEP_1) | instskip(NEXT) | instid1(VALU_DEP_1)
	v_and_b32_e32 v3, 0x80000000, v3
	v_lshl_add_u32 v0, v0, 23, v3
	s_delay_alu instid0(VALU_DEP_1) | instskip(NEXT) | instid1(VALU_DEP_1)
	v_lshl_or_b32 v0, v2, 21, v0
                                        ; implicit-def: $vgpr2
	v_add_nc_u32_e32 v0, 0x38000000, v0
.LBB4_9857:                             ;   in Loop: Header=BB4_9783 Depth=2
	s_and_not1_saveexec_b32 s29, s29
; %bb.9858:                             ;   in Loop: Header=BB4_9783 Depth=2
	v_bfe_i32 v0, v14, 0, 8
	s_delay_alu instid0(VALU_DEP_1) | instskip(SKIP_2) | instid1(VALU_DEP_2)
	v_cmp_lt_i16_e32 vcc_lo, -1, v0
	v_cndmask_b32_e32 v0, 0xff800000, v100, vcc_lo
	v_cmp_eq_u32_e32 vcc_lo, 0, v2
	v_cndmask_b32_e32 v0, 0x7f800001, v0, vcc_lo
; %bb.9859:                             ;   in Loop: Header=BB4_9783 Depth=2
	s_or_b32 exec_lo, exec_lo, s29
.LBB4_9860:                             ;   in Loop: Header=BB4_9783 Depth=2
	s_delay_alu instid0(SALU_CYCLE_1)
	s_or_b32 exec_lo, exec_lo, s28
.LBB4_9861:                             ;   in Loop: Header=BB4_9783 Depth=2
	s_delay_alu instid0(SALU_CYCLE_1) | instskip(NEXT) | instid1(VALU_DEP_1)
	s_or_b32 exec_lo, exec_lo, s10
	v_dual_mul_f32 v2, s27, v0 :: v_dual_mov_b32 v21, v15
                                        ; implicit-def: $vgpr112
	s_mov_b32 s10, exec_lo
	s_delay_alu instid0(VALU_DEP_1) | instskip(SKIP_2) | instid1(VALU_DEP_3)
	v_and_b32_e32 v20, 0x7f800000, v2
	v_and_b32_e32 v14, 0x7fffff, v2
	v_lshrrev_b32_e32 v0, 24, v2
	v_cmpx_ne_u64_e32 0x7f800000, v[20:21]
	s_xor_b32 s28, exec_lo, s10
	s_cbranch_execz .LBB4_9875
; %bb.9862:                             ;   in Loop: Header=BB4_9783 Depth=2
	v_and_b32_e32 v20, 0x7fffffff, v2
	v_mov_b32_e32 v21, v15
	v_and_b32_e32 v0, 0x80, v0
                                        ; implicit-def: $vgpr112
	s_mov_b32 s10, exec_lo
	s_delay_alu instid0(VALU_DEP_2)
	v_cmpx_gt_u64_e32 0x47600001, v[20:21]
	s_xor_b32 s29, exec_lo, s10
	s_cbranch_execz .LBB4_9872
; %bb.9863:                             ;   in Loop: Header=BB4_9783 Depth=2
	v_mov_b32_e32 v112, 0
	s_mov_b32 s40, exec_lo
	v_cmpx_ne_u32_e32 0, v2
	s_cbranch_execz .LBB4_9871
; %bb.9864:                             ;   in Loop: Header=BB4_9783 Depth=2
	v_bfe_u32 v2, v2, 23, 8
	v_or_b32_e32 v24, 0x800000, v14
	v_mov_b32_e32 v87, v15
	s_delay_alu instid0(VALU_DEP_3) | instskip(SKIP_1) | instid1(VALU_DEP_2)
	v_sub_nc_u32_e32 v3, 0x71, v2
	v_cmp_gt_u32_e32 vcc_lo, 0x72, v2
	v_cndmask_b32_e32 v3, 0, v3, vcc_lo
	v_cmp_eq_u32_e32 vcc_lo, 0, v2
	v_cndmask_b32_e32 v86, v24, v14, vcc_lo
	s_delay_alu instid0(VALU_DEP_3) | instskip(NEXT) | instid1(VALU_DEP_1)
	v_cndmask_b32_e64 v3, v3, 0x70, vcc_lo
	v_dual_add_nc_u32 v20, 21, v3 :: v_dual_add_nc_u32 v25, 20, v3
	s_delay_alu instid0(VALU_DEP_1) | instskip(NEXT) | instid1(VALU_DEP_2)
	v_lshlrev_b64_e64 v[20:21], v20, -1
	v_lshlrev_b64_e64 v[96:97], v25, 1
	s_delay_alu instid0(VALU_DEP_2) | instskip(SKIP_1) | instid1(VALU_DEP_4)
	v_bfi_b32 v20, v20, 0, v86
	v_lshrrev_b64 v[86:87], v3, v[86:87]
	v_bfi_b32 v21, v21, 0, 0
	s_delay_alu instid0(VALU_DEP_1) | instskip(NEXT) | instid1(VALU_DEP_3)
	v_cmp_eq_u64_e64 s10, v[20:21], v[96:97]
	v_mov_b64_e32 v[96:97], v[86:87]
	s_and_saveexec_b32 s41, s10
; %bb.9865:                             ;   in Loop: Header=BB4_9783 Depth=2
	v_bfe_u32 v20, v86, 21, 1
	v_mov_b32_e32 v21, v15
	s_delay_alu instid0(VALU_DEP_1) | instskip(NEXT) | instid1(VALU_DEP_1)
	v_add_nc_u64_e32 v[20:21], v[86:87], v[20:21]
	v_add_nc_u64_e32 v[96:97], -1, v[20:21]
; %bb.9866:                             ;   in Loop: Header=BB4_9783 Depth=2
	s_or_b32 exec_lo, exec_lo, s41
	v_add_nc_u32_e32 v2, 0xffffff81, v2
	v_lshrrev_b32_e32 v14, 23, v86
	s_mov_b32 s10, exec_lo
	s_delay_alu instid0(VALU_DEP_2) | instskip(NEXT) | instid1(VALU_DEP_1)
	v_cndmask_b32_e64 v2, v2, 0xffffff82, vcc_lo
	v_add3_u32 v3, v3, v2, v14
	v_and_b32_e32 v2, 0x1fffff, v96
	s_delay_alu instid0(VALU_DEP_1) | instskip(NEXT) | instid1(VALU_DEP_1)
	v_dual_add_nc_u32 v20, 14, v3 :: v_dual_add_nc_u32 v14, v2, v86
                                        ; implicit-def: $vgpr86_vgpr87
                                        ; implicit-def: $vgpr2
	v_cmpx_ne_u32_e32 0, v20
	s_xor_b32 s10, exec_lo, s10
; %bb.9867:                             ;   in Loop: Header=BB4_9783 Depth=2
	s_delay_alu instid0(VALU_DEP_2) | instskip(SKIP_2) | instid1(VALU_DEP_2)
	v_cmp_lt_u64_e32 vcc_lo, 0xffffff, v[14:15]
	v_add_nc_u32_e32 v2, 15, v3
	v_cndmask_b32_e64 v3, 0, 1, vcc_lo
	v_cndmask_b32_e32 v2, v20, v2, vcc_lo
	s_delay_alu instid0(VALU_DEP_2)
	v_lshrrev_b64 v[86:87], v3, v[14:15]
; %bb.9868:                             ;   in Loop: Header=BB4_9783 Depth=2
	s_and_not1_saveexec_b32 s10, s10
; %bb.9869:                             ;   in Loop: Header=BB4_9783 Depth=2
	v_mov_b64_e32 v[86:87], v[14:15]
	v_bfe_u32 v2, v14, 23, 1
; %bb.9870:                             ;   in Loop: Header=BB4_9783 Depth=2
	s_or_b32 exec_lo, exec_lo, s10
	s_delay_alu instid0(VALU_DEP_2) | instskip(NEXT) | instid1(VALU_DEP_2)
	v_lshrrev_b64 v[20:21], 21, v[86:87]
	v_cmp_gt_i32_e32 vcc_lo, 32, v2
	v_min_i32_e32 v3, 31, v2
	v_cmp_eq_u32_e64 s10, 0, v2
	s_delay_alu instid0(VALU_DEP_2) | instskip(SKIP_1) | instid1(VALU_DEP_2)
	v_dual_cndmask_b32 v21, 0, v21, vcc_lo :: v_dual_lshlrev_b32 v3, 2, v3
	v_cndmask_b32_e32 v20, 3, v20, vcc_lo
	v_and_b32_e32 v3, 0xfc, v3
	s_delay_alu instid0(VALU_DEP_2) | instskip(NEXT) | instid1(VALU_DEP_2)
	v_cmp_eq_u64_e32 vcc_lo, 0, v[20:21]
	v_and_or_b32 v2, v20, 3, v3
	s_and_b32 s10, s10, vcc_lo
	s_delay_alu instid0(VALU_DEP_1) | instid1(SALU_CYCLE_1)
	v_cndmask_b32_e64 v2, v2, 0, s10
	s_delay_alu instid0(VALU_DEP_1)
	v_or_b32_e32 v112, v2, v0
.LBB4_9871:                             ;   in Loop: Header=BB4_9783 Depth=2
	s_or_b32 exec_lo, exec_lo, s40
                                        ; implicit-def: $vgpr0
.LBB4_9872:                             ;   in Loop: Header=BB4_9783 Depth=2
	s_and_not1_saveexec_b32 s10, s29
; %bb.9873:                             ;   in Loop: Header=BB4_9783 Depth=2
	v_or_b32_e32 v112, 0x7b, v0
; %bb.9874:                             ;   in Loop: Header=BB4_9783 Depth=2
	s_or_b32 exec_lo, exec_lo, s10
                                        ; implicit-def: $vgpr2
                                        ; implicit-def: $vgpr0
.LBB4_9875:                             ;   in Loop: Header=BB4_9783 Depth=2
	s_and_not1_saveexec_b32 s10, s28
	s_cbranch_execz .LBB4_9881
; %bb.9876:                             ;   in Loop: Header=BB4_9783 Depth=2
	s_mov_b32 s28, exec_lo
                                        ; implicit-def: $vgpr112
	v_cmpx_ne_u64_e32 0, v[14:15]
	s_xor_b32 s28, exec_lo, s28
; %bb.9877:                             ;   in Loop: Header=BB4_9783 Depth=2
	v_or_b32_e32 v112, 0x7f, v0
                                        ; implicit-def: $vgpr2
; %bb.9878:                             ;   in Loop: Header=BB4_9783 Depth=2
	s_and_not1_saveexec_b32 s28, s28
; %bb.9879:                             ;   in Loop: Header=BB4_9783 Depth=2
	v_cmp_lt_i32_e32 vcc_lo, -1, v2
	v_cndmask_b32_e32 v112, 0xfc, v101, vcc_lo
; %bb.9880:                             ;   in Loop: Header=BB4_9783 Depth=2
	s_or_b32 exec_lo, exec_lo, s28
.LBB4_9881:                             ;   in Loop: Header=BB4_9783 Depth=2
	s_delay_alu instid0(SALU_CYCLE_1)
	s_or_b32 exec_lo, exec_lo, s10
	v_mov_b32_e32 v0, 0
	s_mov_b32 s10, exec_lo
	v_cmpx_lt_u32_e32 0xffffff, v10
	s_cbranch_execz .LBB4_9891
; %bb.9882:                             ;   in Loop: Header=BB4_9783 Depth=2
	v_lshrrev_b32_e32 v14, 24, v10
	v_bfrev_b32_e32 v0, 1
	s_mov_b32 s28, exec_lo
	s_delay_alu instid0(VALU_DEP_2)
	v_cmpx_ne_u32_e32 0x80, v14
	s_cbranch_execz .LBB4_9890
; %bb.9883:                             ;   in Loop: Header=BB4_9783 Depth=2
	v_and_b32_e32 v0, 0x7c000000, v10
	v_bfe_u32 v2, v10, 24, 2
	s_delay_alu instid0(VALU_DEP_2) | instskip(SKIP_1) | instid1(SALU_CYCLE_1)
	v_cmp_ne_u32_e32 vcc_lo, 0x7c000000, v0
                                        ; implicit-def: $vgpr0
	s_and_saveexec_b32 s29, vcc_lo
	s_xor_b32 s29, exec_lo, s29
	s_cbranch_execz .LBB4_9887
; %bb.9884:                             ;   in Loop: Header=BB4_9783 Depth=2
	v_bfe_u32 v0, v10, 26, 5
	s_mov_b32 s40, exec_lo
	s_delay_alu instid0(VALU_DEP_1)
	v_cmpx_eq_u32_e32 0, v0
; %bb.9885:                             ;   in Loop: Header=BB4_9783 Depth=2
	v_clz_i32_u32_e32 v0, v2
	s_delay_alu instid0(VALU_DEP_1) | instskip(NEXT) | instid1(VALU_DEP_1)
	v_min_u32_e32 v0, 32, v0
	v_subrev_nc_u32_e32 v2, 29, v0
	s_delay_alu instid0(VALU_DEP_1) | instskip(NEXT) | instid1(VALU_DEP_1)
	v_lshlrev_b64_e32 v[2:3], v2, v[14:15]
	v_dual_sub_nc_u32 v0, 30, v0 :: v_dual_bitop2_b32 v2, 3, v2 bitop3:0x40
; %bb.9886:                             ;   in Loop: Header=BB4_9783 Depth=2
	s_or_b32 exec_lo, exec_lo, s40
	v_and_b32_e32 v3, 0x80000000, v10
	s_delay_alu instid0(VALU_DEP_1) | instskip(NEXT) | instid1(VALU_DEP_1)
	v_lshl_add_u32 v0, v0, 23, v3
	v_lshl_or_b32 v0, v2, 21, v0
                                        ; implicit-def: $vgpr2
	s_delay_alu instid0(VALU_DEP_1)
	v_add_nc_u32_e32 v0, 0x38000000, v0
.LBB4_9887:                             ;   in Loop: Header=BB4_9783 Depth=2
	s_and_not1_saveexec_b32 s29, s29
; %bb.9888:                             ;   in Loop: Header=BB4_9783 Depth=2
	v_cmp_lt_i32_e32 vcc_lo, -1, v10
	v_cndmask_b32_e32 v0, 0xff800000, v100, vcc_lo
	v_cmp_eq_u32_e32 vcc_lo, 0, v2
	s_delay_alu instid0(VALU_DEP_2)
	v_cndmask_b32_e32 v0, 0x7f800001, v0, vcc_lo
; %bb.9889:                             ;   in Loop: Header=BB4_9783 Depth=2
	s_or_b32 exec_lo, exec_lo, s29
.LBB4_9890:                             ;   in Loop: Header=BB4_9783 Depth=2
	s_delay_alu instid0(SALU_CYCLE_1)
	s_or_b32 exec_lo, exec_lo, s28
.LBB4_9891:                             ;   in Loop: Header=BB4_9783 Depth=2
	s_delay_alu instid0(SALU_CYCLE_1) | instskip(NEXT) | instid1(VALU_DEP_1)
	s_or_b32 exec_lo, exec_lo, s10
	v_dual_mul_f32 v2, s27, v0 :: v_dual_mov_b32 v21, v15
                                        ; implicit-def: $vgpr113
	s_mov_b32 s10, exec_lo
	s_delay_alu instid0(VALU_DEP_1) | instskip(SKIP_2) | instid1(VALU_DEP_3)
	v_and_b32_e32 v20, 0x7f800000, v2
	v_and_b32_e32 v14, 0x7fffff, v2
	v_lshrrev_b32_e32 v0, 24, v2
	v_cmpx_ne_u64_e32 0x7f800000, v[20:21]
	s_xor_b32 s28, exec_lo, s10
	s_cbranch_execz .LBB4_9905
; %bb.9892:                             ;   in Loop: Header=BB4_9783 Depth=2
	v_and_b32_e32 v20, 0x7fffffff, v2
	v_mov_b32_e32 v21, v15
	v_and_b32_e32 v0, 0x80, v0
                                        ; implicit-def: $vgpr113
	s_mov_b32 s10, exec_lo
	s_delay_alu instid0(VALU_DEP_2)
	v_cmpx_gt_u64_e32 0x47600001, v[20:21]
	s_xor_b32 s29, exec_lo, s10
	s_cbranch_execz .LBB4_9902
; %bb.9893:                             ;   in Loop: Header=BB4_9783 Depth=2
	v_mov_b32_e32 v113, 0
	s_mov_b32 s40, exec_lo
	v_cmpx_ne_u32_e32 0, v2
	s_cbranch_execz .LBB4_9901
; %bb.9894:                             ;   in Loop: Header=BB4_9783 Depth=2
	v_bfe_u32 v2, v2, 23, 8
	v_or_b32_e32 v24, 0x800000, v14
	v_mov_b32_e32 v87, v15
	s_delay_alu instid0(VALU_DEP_3) | instskip(SKIP_1) | instid1(VALU_DEP_2)
	v_sub_nc_u32_e32 v3, 0x71, v2
	v_cmp_gt_u32_e32 vcc_lo, 0x72, v2
	v_cndmask_b32_e32 v3, 0, v3, vcc_lo
	v_cmp_eq_u32_e32 vcc_lo, 0, v2
	v_cndmask_b32_e32 v86, v24, v14, vcc_lo
	s_delay_alu instid0(VALU_DEP_3) | instskip(NEXT) | instid1(VALU_DEP_1)
	v_cndmask_b32_e64 v3, v3, 0x70, vcc_lo
	v_dual_add_nc_u32 v20, 21, v3 :: v_dual_add_nc_u32 v25, 20, v3
	s_delay_alu instid0(VALU_DEP_1) | instskip(NEXT) | instid1(VALU_DEP_2)
	v_lshlrev_b64_e64 v[20:21], v20, -1
	v_lshlrev_b64_e64 v[96:97], v25, 1
	s_delay_alu instid0(VALU_DEP_2) | instskip(SKIP_1) | instid1(VALU_DEP_4)
	v_bfi_b32 v20, v20, 0, v86
	v_lshrrev_b64 v[86:87], v3, v[86:87]
	v_bfi_b32 v21, v21, 0, 0
	s_delay_alu instid0(VALU_DEP_1) | instskip(NEXT) | instid1(VALU_DEP_3)
	v_cmp_eq_u64_e64 s10, v[20:21], v[96:97]
	v_mov_b64_e32 v[96:97], v[86:87]
	s_and_saveexec_b32 s41, s10
; %bb.9895:                             ;   in Loop: Header=BB4_9783 Depth=2
	v_bfe_u32 v20, v86, 21, 1
	v_mov_b32_e32 v21, v15
	s_delay_alu instid0(VALU_DEP_1) | instskip(NEXT) | instid1(VALU_DEP_1)
	v_add_nc_u64_e32 v[20:21], v[86:87], v[20:21]
	v_add_nc_u64_e32 v[96:97], -1, v[20:21]
; %bb.9896:                             ;   in Loop: Header=BB4_9783 Depth=2
	s_or_b32 exec_lo, exec_lo, s41
	v_add_nc_u32_e32 v2, 0xffffff81, v2
	v_lshrrev_b32_e32 v14, 23, v86
	s_mov_b32 s10, exec_lo
	s_delay_alu instid0(VALU_DEP_2) | instskip(NEXT) | instid1(VALU_DEP_1)
	v_cndmask_b32_e64 v2, v2, 0xffffff82, vcc_lo
	v_add3_u32 v3, v3, v2, v14
	v_and_b32_e32 v2, 0x1fffff, v96
	s_delay_alu instid0(VALU_DEP_1) | instskip(NEXT) | instid1(VALU_DEP_1)
	v_dual_add_nc_u32 v20, 14, v3 :: v_dual_add_nc_u32 v14, v2, v86
                                        ; implicit-def: $vgpr86_vgpr87
                                        ; implicit-def: $vgpr2
	v_cmpx_ne_u32_e32 0, v20
	s_xor_b32 s10, exec_lo, s10
; %bb.9897:                             ;   in Loop: Header=BB4_9783 Depth=2
	s_delay_alu instid0(VALU_DEP_2) | instskip(SKIP_2) | instid1(VALU_DEP_2)
	v_cmp_lt_u64_e32 vcc_lo, 0xffffff, v[14:15]
	v_add_nc_u32_e32 v2, 15, v3
	v_cndmask_b32_e64 v3, 0, 1, vcc_lo
	v_cndmask_b32_e32 v2, v20, v2, vcc_lo
	s_delay_alu instid0(VALU_DEP_2)
	v_lshrrev_b64 v[86:87], v3, v[14:15]
; %bb.9898:                             ;   in Loop: Header=BB4_9783 Depth=2
	s_and_not1_saveexec_b32 s10, s10
; %bb.9899:                             ;   in Loop: Header=BB4_9783 Depth=2
	v_mov_b64_e32 v[86:87], v[14:15]
	v_bfe_u32 v2, v14, 23, 1
; %bb.9900:                             ;   in Loop: Header=BB4_9783 Depth=2
	s_or_b32 exec_lo, exec_lo, s10
	s_delay_alu instid0(VALU_DEP_2) | instskip(NEXT) | instid1(VALU_DEP_2)
	v_lshrrev_b64 v[20:21], 21, v[86:87]
	v_cmp_gt_i32_e32 vcc_lo, 32, v2
	v_min_i32_e32 v3, 31, v2
	v_cmp_eq_u32_e64 s10, 0, v2
	s_delay_alu instid0(VALU_DEP_2) | instskip(SKIP_1) | instid1(VALU_DEP_2)
	v_dual_cndmask_b32 v21, 0, v21, vcc_lo :: v_dual_lshlrev_b32 v3, 2, v3
	v_cndmask_b32_e32 v20, 3, v20, vcc_lo
	v_and_b32_e32 v3, 0xfc, v3
	s_delay_alu instid0(VALU_DEP_2) | instskip(NEXT) | instid1(VALU_DEP_2)
	v_cmp_eq_u64_e32 vcc_lo, 0, v[20:21]
	v_and_or_b32 v2, v20, 3, v3
	s_and_b32 s10, s10, vcc_lo
	s_delay_alu instid0(VALU_DEP_1) | instid1(SALU_CYCLE_1)
	v_cndmask_b32_e64 v2, v2, 0, s10
	s_delay_alu instid0(VALU_DEP_1)
	v_or_b32_e32 v113, v2, v0
.LBB4_9901:                             ;   in Loop: Header=BB4_9783 Depth=2
	s_or_b32 exec_lo, exec_lo, s40
                                        ; implicit-def: $vgpr0
.LBB4_9902:                             ;   in Loop: Header=BB4_9783 Depth=2
	s_and_not1_saveexec_b32 s10, s29
; %bb.9903:                             ;   in Loop: Header=BB4_9783 Depth=2
	v_or_b32_e32 v113, 0x7b, v0
; %bb.9904:                             ;   in Loop: Header=BB4_9783 Depth=2
	s_or_b32 exec_lo, exec_lo, s10
                                        ; implicit-def: $vgpr2
                                        ; implicit-def: $vgpr0
.LBB4_9905:                             ;   in Loop: Header=BB4_9783 Depth=2
	s_and_not1_saveexec_b32 s10, s28
	s_cbranch_execz .LBB4_9911
; %bb.9906:                             ;   in Loop: Header=BB4_9783 Depth=2
	s_mov_b32 s28, exec_lo
                                        ; implicit-def: $vgpr113
	v_cmpx_ne_u64_e32 0, v[14:15]
	s_xor_b32 s28, exec_lo, s28
; %bb.9907:                             ;   in Loop: Header=BB4_9783 Depth=2
	v_or_b32_e32 v113, 0x7f, v0
                                        ; implicit-def: $vgpr2
; %bb.9908:                             ;   in Loop: Header=BB4_9783 Depth=2
	s_and_not1_saveexec_b32 s28, s28
; %bb.9909:                             ;   in Loop: Header=BB4_9783 Depth=2
	v_cmp_lt_i32_e32 vcc_lo, -1, v2
	v_cndmask_b32_e32 v113, 0xfc, v101, vcc_lo
; %bb.9910:                             ;   in Loop: Header=BB4_9783 Depth=2
	s_or_b32 exec_lo, exec_lo, s28
.LBB4_9911:                             ;   in Loop: Header=BB4_9783 Depth=2
	s_delay_alu instid0(SALU_CYCLE_1) | instskip(SKIP_3) | instid1(VALU_DEP_2)
	s_or_b32 exec_lo, exec_lo, s10
	v_and_b32_e32 v2, 0xff, v11
	v_dual_mov_b32 v14, v11 :: v_dual_mov_b32 v0, 0
	s_mov_b32 s10, exec_lo
	v_cmpx_ne_u16_e32 0, v2
	s_cbranch_execz .LBB4_9921
; %bb.9912:                             ;   in Loop: Header=BB4_9783 Depth=2
	v_bfrev_b32_e32 v0, 1
	s_mov_b32 s28, exec_lo
	v_cmpx_ne_u16_e32 0x80, v2
	s_cbranch_execz .LBB4_9920
; %bb.9913:                             ;   in Loop: Header=BB4_9783 Depth=2
	v_and_b32_e32 v0, 0x7c, v11
	v_and_b32_e32 v2, 3, v11
	s_delay_alu instid0(VALU_DEP_2) | instskip(SKIP_1) | instid1(SALU_CYCLE_1)
	v_cmp_ne_u32_e32 vcc_lo, 0x7c, v0
                                        ; implicit-def: $vgpr0
	s_and_saveexec_b32 s29, vcc_lo
	s_xor_b32 s29, exec_lo, s29
	s_cbranch_execz .LBB4_9917
; %bb.9914:                             ;   in Loop: Header=BB4_9783 Depth=2
	v_bfe_u32 v0, v11, 2, 5
	s_mov_b32 s40, exec_lo
	s_delay_alu instid0(VALU_DEP_1)
	v_cmpx_eq_u32_e32 0, v0
; %bb.9915:                             ;   in Loop: Header=BB4_9783 Depth=2
	v_clz_i32_u32_e32 v0, v2
	s_delay_alu instid0(VALU_DEP_1) | instskip(NEXT) | instid1(VALU_DEP_1)
	v_min_u32_e32 v0, 32, v0
	v_subrev_nc_u32_e32 v2, 29, v0
	s_delay_alu instid0(VALU_DEP_1) | instskip(NEXT) | instid1(VALU_DEP_1)
	v_lshlrev_b64_e32 v[2:3], v2, v[14:15]
	v_dual_sub_nc_u32 v0, 30, v0 :: v_dual_bitop2_b32 v2, 3, v2 bitop3:0x40
; %bb.9916:                             ;   in Loop: Header=BB4_9783 Depth=2
	s_or_b32 exec_lo, exec_lo, s40
	v_lshlrev_b32_e32 v3, 24, v11
	s_delay_alu instid0(VALU_DEP_1) | instskip(NEXT) | instid1(VALU_DEP_1)
	v_and_b32_e32 v3, 0x80000000, v3
	v_lshl_add_u32 v0, v0, 23, v3
	s_delay_alu instid0(VALU_DEP_1) | instskip(NEXT) | instid1(VALU_DEP_1)
	v_lshl_or_b32 v0, v2, 21, v0
                                        ; implicit-def: $vgpr2
	v_add_nc_u32_e32 v0, 0x38000000, v0
.LBB4_9917:                             ;   in Loop: Header=BB4_9783 Depth=2
	s_and_not1_saveexec_b32 s29, s29
; %bb.9918:                             ;   in Loop: Header=BB4_9783 Depth=2
	v_bfe_i32 v0, v11, 0, 8
	s_delay_alu instid0(VALU_DEP_1) | instskip(SKIP_2) | instid1(VALU_DEP_2)
	v_cmp_lt_i16_e32 vcc_lo, -1, v0
	v_cndmask_b32_e32 v0, 0xff800000, v100, vcc_lo
	v_cmp_eq_u32_e32 vcc_lo, 0, v2
	v_cndmask_b32_e32 v0, 0x7f800001, v0, vcc_lo
; %bb.9919:                             ;   in Loop: Header=BB4_9783 Depth=2
	s_or_b32 exec_lo, exec_lo, s29
.LBB4_9920:                             ;   in Loop: Header=BB4_9783 Depth=2
	s_delay_alu instid0(SALU_CYCLE_1)
	s_or_b32 exec_lo, exec_lo, s28
.LBB4_9921:                             ;   in Loop: Header=BB4_9783 Depth=2
	s_delay_alu instid0(SALU_CYCLE_1) | instskip(NEXT) | instid1(VALU_DEP_1)
	s_or_b32 exec_lo, exec_lo, s10
	v_dual_mul_f32 v2, s27, v0 :: v_dual_mov_b32 v21, v15
	v_mov_b32_e32 v87, v15
                                        ; implicit-def: $vgpr114
	s_mov_b32 s10, exec_lo
	s_delay_alu instid0(VALU_DEP_2) | instskip(SKIP_2) | instid1(VALU_DEP_3)
	v_and_b32_e32 v20, 0x7f800000, v2
	v_and_b32_e32 v86, 0x7fffff, v2
	v_lshrrev_b32_e32 v0, 24, v2
	v_cmpx_ne_u64_e32 0x7f800000, v[20:21]
	s_xor_b32 s28, exec_lo, s10
	s_cbranch_execz .LBB4_9935
; %bb.9922:                             ;   in Loop: Header=BB4_9783 Depth=2
	v_and_b32_e32 v20, 0x7fffffff, v2
	v_mov_b32_e32 v21, v15
	v_and_b32_e32 v0, 0x80, v0
                                        ; implicit-def: $vgpr114
	s_mov_b32 s10, exec_lo
	s_delay_alu instid0(VALU_DEP_2)
	v_cmpx_gt_u64_e32 0x47600001, v[20:21]
	s_xor_b32 s29, exec_lo, s10
	s_cbranch_execz .LBB4_9932
; %bb.9923:                             ;   in Loop: Header=BB4_9783 Depth=2
	v_mov_b32_e32 v114, 0
	s_mov_b32 s40, exec_lo
	v_cmpx_ne_u32_e32 0, v2
	s_cbranch_execz .LBB4_9931
; %bb.9924:                             ;   in Loop: Header=BB4_9783 Depth=2
	v_bfe_u32 v2, v2, 23, 8
	v_or_b32_e32 v24, 0x800000, v86
	s_delay_alu instid0(VALU_DEP_2) | instskip(SKIP_1) | instid1(VALU_DEP_2)
	v_sub_nc_u32_e32 v3, 0x71, v2
	v_cmp_gt_u32_e32 vcc_lo, 0x72, v2
	v_cndmask_b32_e32 v3, 0, v3, vcc_lo
	v_cmp_eq_u32_e32 vcc_lo, 0, v2
	v_cndmask_b32_e32 v86, v24, v86, vcc_lo
	s_delay_alu instid0(VALU_DEP_3) | instskip(NEXT) | instid1(VALU_DEP_1)
	v_cndmask_b32_e64 v3, v3, 0x70, vcc_lo
	v_dual_add_nc_u32 v20, 21, v3 :: v_dual_add_nc_u32 v25, 20, v3
	s_delay_alu instid0(VALU_DEP_1) | instskip(NEXT) | instid1(VALU_DEP_2)
	v_lshlrev_b64_e64 v[20:21], v20, -1
	v_lshlrev_b64_e64 v[96:97], v25, 1
	s_delay_alu instid0(VALU_DEP_2) | instskip(SKIP_1) | instid1(VALU_DEP_4)
	v_bfi_b32 v20, v20, 0, v86
	v_lshrrev_b64 v[86:87], v3, v[86:87]
	v_bfi_b32 v21, v21, 0, 0
	s_delay_alu instid0(VALU_DEP_1) | instskip(NEXT) | instid1(VALU_DEP_3)
	v_cmp_eq_u64_e64 s10, v[20:21], v[96:97]
	v_mov_b64_e32 v[96:97], v[86:87]
	s_and_saveexec_b32 s41, s10
; %bb.9925:                             ;   in Loop: Header=BB4_9783 Depth=2
	v_bfe_u32 v20, v86, 21, 1
	v_mov_b32_e32 v21, v15
	s_delay_alu instid0(VALU_DEP_1) | instskip(NEXT) | instid1(VALU_DEP_1)
	v_add_nc_u64_e32 v[20:21], v[86:87], v[20:21]
	v_add_nc_u64_e32 v[96:97], -1, v[20:21]
; %bb.9926:                             ;   in Loop: Header=BB4_9783 Depth=2
	s_or_b32 exec_lo, exec_lo, s41
	v_dual_mov_b32 v87, v15 :: v_dual_add_nc_u32 v2, 0xffffff81, v2
	v_lshrrev_b32_e32 v20, 23, v86
	s_mov_b32 s10, exec_lo
	s_delay_alu instid0(VALU_DEP_2) | instskip(NEXT) | instid1(VALU_DEP_1)
	v_cndmask_b32_e64 v2, v2, 0xffffff82, vcc_lo
	v_add3_u32 v3, v3, v2, v20
	v_and_b32_e32 v2, 0x1fffff, v96
	s_delay_alu instid0(VALU_DEP_1) | instskip(NEXT) | instid1(VALU_DEP_1)
	v_dual_add_nc_u32 v20, 14, v3 :: v_dual_add_nc_u32 v86, v2, v86
                                        ; implicit-def: $vgpr2
	v_cmpx_ne_u32_e32 0, v20
	s_xor_b32 s10, exec_lo, s10
; %bb.9927:                             ;   in Loop: Header=BB4_9783 Depth=2
	s_delay_alu instid0(VALU_DEP_2) | instskip(SKIP_2) | instid1(VALU_DEP_2)
	v_cmp_lt_u64_e32 vcc_lo, 0xffffff, v[86:87]
	v_add_nc_u32_e32 v2, 15, v3
	v_cndmask_b32_e64 v3, 0, 1, vcc_lo
	v_cndmask_b32_e32 v2, v20, v2, vcc_lo
	s_delay_alu instid0(VALU_DEP_2)
	v_lshrrev_b64 v[86:87], v3, v[86:87]
; %bb.9928:                             ;   in Loop: Header=BB4_9783 Depth=2
	s_and_not1_saveexec_b32 s10, s10
; %bb.9929:                             ;   in Loop: Header=BB4_9783 Depth=2
	s_delay_alu instid0(VALU_DEP_1)
	v_bfe_u32 v2, v86, 23, 1
; %bb.9930:                             ;   in Loop: Header=BB4_9783 Depth=2
	s_or_b32 exec_lo, exec_lo, s10
	s_delay_alu instid0(VALU_DEP_2) | instskip(NEXT) | instid1(VALU_DEP_2)
	v_lshrrev_b64 v[20:21], 21, v[86:87]
	v_cmp_gt_i32_e32 vcc_lo, 32, v2
	v_min_i32_e32 v3, 31, v2
	v_cmp_eq_u32_e64 s10, 0, v2
	s_delay_alu instid0(VALU_DEP_2) | instskip(SKIP_1) | instid1(VALU_DEP_2)
	v_dual_cndmask_b32 v21, 0, v21, vcc_lo :: v_dual_lshlrev_b32 v3, 2, v3
	v_cndmask_b32_e32 v20, 3, v20, vcc_lo
	v_and_b32_e32 v3, 0xfc, v3
	s_delay_alu instid0(VALU_DEP_2) | instskip(NEXT) | instid1(VALU_DEP_2)
	v_cmp_eq_u64_e32 vcc_lo, 0, v[20:21]
	v_and_or_b32 v2, v20, 3, v3
	s_and_b32 s10, s10, vcc_lo
	s_delay_alu instid0(VALU_DEP_1) | instid1(SALU_CYCLE_1)
	v_cndmask_b32_e64 v2, v2, 0, s10
	s_delay_alu instid0(VALU_DEP_1)
	v_or_b32_e32 v114, v2, v0
.LBB4_9931:                             ;   in Loop: Header=BB4_9783 Depth=2
	s_or_b32 exec_lo, exec_lo, s40
                                        ; implicit-def: $vgpr0
.LBB4_9932:                             ;   in Loop: Header=BB4_9783 Depth=2
	s_and_not1_saveexec_b32 s10, s29
; %bb.9933:                             ;   in Loop: Header=BB4_9783 Depth=2
	v_or_b32_e32 v114, 0x7b, v0
; %bb.9934:                             ;   in Loop: Header=BB4_9783 Depth=2
	s_or_b32 exec_lo, exec_lo, s10
                                        ; implicit-def: $vgpr2
                                        ; implicit-def: $vgpr86_vgpr87
                                        ; implicit-def: $vgpr0
.LBB4_9935:                             ;   in Loop: Header=BB4_9783 Depth=2
	s_and_not1_saveexec_b32 s10, s28
	s_cbranch_execz .LBB4_9941
; %bb.9936:                             ;   in Loop: Header=BB4_9783 Depth=2
	s_mov_b32 s28, exec_lo
                                        ; implicit-def: $vgpr114
	v_cmpx_ne_u64_e32 0, v[86:87]
	s_xor_b32 s28, exec_lo, s28
; %bb.9937:                             ;   in Loop: Header=BB4_9783 Depth=2
	v_or_b32_e32 v114, 0x7f, v0
                                        ; implicit-def: $vgpr2
; %bb.9938:                             ;   in Loop: Header=BB4_9783 Depth=2
	s_and_not1_saveexec_b32 s28, s28
; %bb.9939:                             ;   in Loop: Header=BB4_9783 Depth=2
	v_cmp_lt_i32_e32 vcc_lo, -1, v2
	v_cndmask_b32_e32 v114, 0xfc, v101, vcc_lo
; %bb.9940:                             ;   in Loop: Header=BB4_9783 Depth=2
	s_or_b32 exec_lo, exec_lo, s28
.LBB4_9941:                             ;   in Loop: Header=BB4_9783 Depth=2
	s_delay_alu instid0(SALU_CYCLE_1) | instskip(SKIP_3) | instid1(VALU_DEP_2)
	s_or_b32 exec_lo, exec_lo, s10
	v_lshrrev_b16 v86, 8, v14
	v_mov_b32_e32 v2, 0
	s_mov_b32 s10, exec_lo
	v_cmpx_ne_u16_e32 0, v86
	s_cbranch_execz .LBB4_9951
; %bb.9942:                             ;   in Loop: Header=BB4_9783 Depth=2
	v_bfrev_b32_e32 v2, 1
	s_mov_b32 s28, exec_lo
	v_cmpx_ne_u16_e32 0x80, v86
	s_cbranch_execz .LBB4_9950
; %bb.9943:                             ;   in Loop: Header=BB4_9783 Depth=2
	v_and_b32_e32 v3, 0xffff, v86
	s_delay_alu instid0(VALU_DEP_1) | instskip(SKIP_1) | instid1(VALU_DEP_2)
	v_and_b32_e32 v2, 0x7c, v3
	v_and_b32_e32 v0, 3, v3
	v_cmp_ne_u32_e32 vcc_lo, 0x7c, v2
                                        ; implicit-def: $vgpr2
	s_and_saveexec_b32 s29, vcc_lo
	s_delay_alu instid0(SALU_CYCLE_1)
	s_xor_b32 s29, exec_lo, s29
	s_cbranch_execz .LBB4_9947
; %bb.9944:                             ;   in Loop: Header=BB4_9783 Depth=2
	v_bfe_u32 v2, v3, 2, 5
	s_mov_b32 s40, exec_lo
	s_delay_alu instid0(VALU_DEP_1)
	v_cmpx_eq_u32_e32 0, v2
	s_cbranch_execz .LBB4_9946
; %bb.9945:                             ;   in Loop: Header=BB4_9783 Depth=2
	v_clz_i32_u32_e32 v0, v0
	s_delay_alu instid0(VALU_DEP_1) | instskip(SKIP_1) | instid1(VALU_DEP_2)
	v_min_u32_e32 v0, 32, v0
	v_mov_b32_e32 v87, v15
	v_subrev_nc_u32_e32 v2, 29, v0
	s_delay_alu instid0(VALU_DEP_1) | instskip(SKIP_1) | instid1(VALU_DEP_2)
	v_lshlrev_b64_e32 v[20:21], v2, v[86:87]
	v_sub_nc_u32_e32 v2, 30, v0
	v_and_b32_e32 v0, 3, v20
.LBB4_9946:                             ;   in Loop: Header=BB4_9783 Depth=2
	s_or_b32 exec_lo, exec_lo, s40
	v_lshlrev_b32_e32 v3, 16, v14
	s_delay_alu instid0(VALU_DEP_1) | instskip(NEXT) | instid1(VALU_DEP_1)
	v_and_b32_e32 v3, 0x80000000, v3
	v_lshl_add_u32 v2, v2, 23, v3
	s_delay_alu instid0(VALU_DEP_1) | instskip(NEXT) | instid1(VALU_DEP_1)
	v_lshl_or_b32 v0, v0, 21, v2
	v_add_nc_u32_e32 v2, 0x38000000, v0
                                        ; implicit-def: $vgpr0
.LBB4_9947:                             ;   in Loop: Header=BB4_9783 Depth=2
	s_and_not1_saveexec_b32 s29, s29
; %bb.9948:                             ;   in Loop: Header=BB4_9783 Depth=2
	v_cmp_lt_i16_e32 vcc_lo, -1, v14
	v_cndmask_b32_e32 v2, 0xff800000, v100, vcc_lo
	v_cmp_eq_u32_e32 vcc_lo, 0, v0
	s_delay_alu instid0(VALU_DEP_2)
	v_cndmask_b32_e32 v2, 0x7f800001, v2, vcc_lo
; %bb.9949:                             ;   in Loop: Header=BB4_9783 Depth=2
	s_or_b32 exec_lo, exec_lo, s29
.LBB4_9950:                             ;   in Loop: Header=BB4_9783 Depth=2
	s_delay_alu instid0(SALU_CYCLE_1)
	s_or_b32 exec_lo, exec_lo, s28
.LBB4_9951:                             ;   in Loop: Header=BB4_9783 Depth=2
	s_delay_alu instid0(SALU_CYCLE_1) | instskip(NEXT) | instid1(VALU_DEP_1)
	s_or_b32 exec_lo, exec_lo, s10
	v_dual_mul_f32 v2, s27, v2 :: v_dual_mov_b32 v21, v15
                                        ; implicit-def: $vgpr115
	s_mov_b32 s10, exec_lo
	s_delay_alu instid0(VALU_DEP_1) | instskip(SKIP_2) | instid1(VALU_DEP_3)
	v_and_b32_e32 v20, 0x7f800000, v2
	v_and_b32_e32 v14, 0x7fffff, v2
	v_lshrrev_b32_e32 v0, 24, v2
	v_cmpx_ne_u64_e32 0x7f800000, v[20:21]
	s_xor_b32 s28, exec_lo, s10
	s_cbranch_execz .LBB4_9965
; %bb.9952:                             ;   in Loop: Header=BB4_9783 Depth=2
	v_and_b32_e32 v20, 0x7fffffff, v2
	v_mov_b32_e32 v21, v15
	v_and_b32_e32 v0, 0x80, v0
                                        ; implicit-def: $vgpr115
	s_mov_b32 s10, exec_lo
	s_delay_alu instid0(VALU_DEP_2)
	v_cmpx_gt_u64_e32 0x47600001, v[20:21]
	s_xor_b32 s29, exec_lo, s10
	s_cbranch_execz .LBB4_9962
; %bb.9953:                             ;   in Loop: Header=BB4_9783 Depth=2
	v_mov_b32_e32 v115, 0
	s_mov_b32 s40, exec_lo
	v_cmpx_ne_u32_e32 0, v2
	s_cbranch_execz .LBB4_9961
; %bb.9954:                             ;   in Loop: Header=BB4_9783 Depth=2
	v_bfe_u32 v2, v2, 23, 8
	v_or_b32_e32 v24, 0x800000, v14
	v_mov_b32_e32 v87, v15
	s_delay_alu instid0(VALU_DEP_3) | instskip(SKIP_1) | instid1(VALU_DEP_2)
	v_sub_nc_u32_e32 v3, 0x71, v2
	v_cmp_gt_u32_e32 vcc_lo, 0x72, v2
	v_cndmask_b32_e32 v3, 0, v3, vcc_lo
	v_cmp_eq_u32_e32 vcc_lo, 0, v2
	v_cndmask_b32_e32 v86, v24, v14, vcc_lo
	s_delay_alu instid0(VALU_DEP_3) | instskip(NEXT) | instid1(VALU_DEP_1)
	v_cndmask_b32_e64 v3, v3, 0x70, vcc_lo
	v_dual_add_nc_u32 v20, 21, v3 :: v_dual_add_nc_u32 v25, 20, v3
	s_delay_alu instid0(VALU_DEP_1) | instskip(NEXT) | instid1(VALU_DEP_2)
	v_lshlrev_b64_e64 v[20:21], v20, -1
	v_lshlrev_b64_e64 v[96:97], v25, 1
	s_delay_alu instid0(VALU_DEP_2) | instskip(SKIP_1) | instid1(VALU_DEP_4)
	v_bfi_b32 v20, v20, 0, v86
	v_lshrrev_b64 v[86:87], v3, v[86:87]
	v_bfi_b32 v21, v21, 0, 0
	s_delay_alu instid0(VALU_DEP_1) | instskip(NEXT) | instid1(VALU_DEP_3)
	v_cmp_eq_u64_e64 s10, v[20:21], v[96:97]
	v_mov_b64_e32 v[96:97], v[86:87]
	s_and_saveexec_b32 s41, s10
; %bb.9955:                             ;   in Loop: Header=BB4_9783 Depth=2
	v_bfe_u32 v20, v86, 21, 1
	v_mov_b32_e32 v21, v15
	s_delay_alu instid0(VALU_DEP_1) | instskip(NEXT) | instid1(VALU_DEP_1)
	v_add_nc_u64_e32 v[20:21], v[86:87], v[20:21]
	v_add_nc_u64_e32 v[96:97], -1, v[20:21]
; %bb.9956:                             ;   in Loop: Header=BB4_9783 Depth=2
	s_or_b32 exec_lo, exec_lo, s41
	v_add_nc_u32_e32 v2, 0xffffff81, v2
	v_lshrrev_b32_e32 v14, 23, v86
	s_mov_b32 s10, exec_lo
	s_delay_alu instid0(VALU_DEP_2) | instskip(NEXT) | instid1(VALU_DEP_1)
	v_cndmask_b32_e64 v2, v2, 0xffffff82, vcc_lo
	v_add3_u32 v3, v3, v2, v14
	v_and_b32_e32 v2, 0x1fffff, v96
	s_delay_alu instid0(VALU_DEP_1) | instskip(NEXT) | instid1(VALU_DEP_1)
	v_dual_add_nc_u32 v20, 14, v3 :: v_dual_add_nc_u32 v14, v2, v86
                                        ; implicit-def: $vgpr86_vgpr87
                                        ; implicit-def: $vgpr2
	v_cmpx_ne_u32_e32 0, v20
	s_xor_b32 s10, exec_lo, s10
; %bb.9957:                             ;   in Loop: Header=BB4_9783 Depth=2
	s_delay_alu instid0(VALU_DEP_2) | instskip(SKIP_2) | instid1(VALU_DEP_2)
	v_cmp_lt_u64_e32 vcc_lo, 0xffffff, v[14:15]
	v_add_nc_u32_e32 v2, 15, v3
	v_cndmask_b32_e64 v3, 0, 1, vcc_lo
	v_cndmask_b32_e32 v2, v20, v2, vcc_lo
	s_delay_alu instid0(VALU_DEP_2)
	v_lshrrev_b64 v[86:87], v3, v[14:15]
; %bb.9958:                             ;   in Loop: Header=BB4_9783 Depth=2
	s_and_not1_saveexec_b32 s10, s10
; %bb.9959:                             ;   in Loop: Header=BB4_9783 Depth=2
	v_mov_b64_e32 v[86:87], v[14:15]
	v_bfe_u32 v2, v14, 23, 1
; %bb.9960:                             ;   in Loop: Header=BB4_9783 Depth=2
	s_or_b32 exec_lo, exec_lo, s10
	s_delay_alu instid0(VALU_DEP_2) | instskip(NEXT) | instid1(VALU_DEP_2)
	v_lshrrev_b64 v[20:21], 21, v[86:87]
	v_cmp_gt_i32_e32 vcc_lo, 32, v2
	v_min_i32_e32 v3, 31, v2
	v_cmp_eq_u32_e64 s10, 0, v2
	s_delay_alu instid0(VALU_DEP_2) | instskip(SKIP_1) | instid1(VALU_DEP_2)
	v_dual_cndmask_b32 v21, 0, v21, vcc_lo :: v_dual_lshlrev_b32 v3, 2, v3
	v_cndmask_b32_e32 v20, 3, v20, vcc_lo
	v_and_b32_e32 v3, 0xfc, v3
	s_delay_alu instid0(VALU_DEP_2) | instskip(NEXT) | instid1(VALU_DEP_2)
	v_cmp_eq_u64_e32 vcc_lo, 0, v[20:21]
	v_and_or_b32 v2, v20, 3, v3
	s_and_b32 s10, s10, vcc_lo
	s_delay_alu instid0(VALU_DEP_1) | instid1(SALU_CYCLE_1)
	v_cndmask_b32_e64 v2, v2, 0, s10
	s_delay_alu instid0(VALU_DEP_1)
	v_or_b32_e32 v115, v2, v0
.LBB4_9961:                             ;   in Loop: Header=BB4_9783 Depth=2
	s_or_b32 exec_lo, exec_lo, s40
                                        ; implicit-def: $vgpr0
.LBB4_9962:                             ;   in Loop: Header=BB4_9783 Depth=2
	s_and_not1_saveexec_b32 s10, s29
; %bb.9963:                             ;   in Loop: Header=BB4_9783 Depth=2
	v_or_b32_e32 v115, 0x7b, v0
; %bb.9964:                             ;   in Loop: Header=BB4_9783 Depth=2
	s_or_b32 exec_lo, exec_lo, s10
                                        ; implicit-def: $vgpr2
                                        ; implicit-def: $vgpr0
.LBB4_9965:                             ;   in Loop: Header=BB4_9783 Depth=2
	s_and_not1_saveexec_b32 s10, s28
	s_cbranch_execz .LBB4_9971
; %bb.9966:                             ;   in Loop: Header=BB4_9783 Depth=2
	s_mov_b32 s28, exec_lo
                                        ; implicit-def: $vgpr115
	v_cmpx_ne_u64_e32 0, v[14:15]
	s_xor_b32 s28, exec_lo, s28
; %bb.9967:                             ;   in Loop: Header=BB4_9783 Depth=2
	v_or_b32_e32 v115, 0x7f, v0
                                        ; implicit-def: $vgpr2
; %bb.9968:                             ;   in Loop: Header=BB4_9783 Depth=2
	s_and_not1_saveexec_b32 s28, s28
; %bb.9969:                             ;   in Loop: Header=BB4_9783 Depth=2
	v_cmp_lt_i32_e32 vcc_lo, -1, v2
	v_cndmask_b32_e32 v115, 0xfc, v101, vcc_lo
; %bb.9970:                             ;   in Loop: Header=BB4_9783 Depth=2
	s_or_b32 exec_lo, exec_lo, s28
.LBB4_9971:                             ;   in Loop: Header=BB4_9783 Depth=2
	s_delay_alu instid0(SALU_CYCLE_1) | instskip(SKIP_2) | instid1(VALU_DEP_1)
	s_or_b32 exec_lo, exec_lo, s10
	v_dual_lshrrev_b32 v14, 16, v11 :: v_dual_mov_b32 v0, 0
	s_mov_b32 s10, exec_lo
	v_and_b32_e32 v2, 0xff, v14
	s_delay_alu instid0(VALU_DEP_1)
	v_cmpx_ne_u16_e32 0, v2
	s_cbranch_execz .LBB4_9981
; %bb.9972:                             ;   in Loop: Header=BB4_9783 Depth=2
	v_bfrev_b32_e32 v0, 1
	s_mov_b32 s28, exec_lo
	v_cmpx_ne_u16_e32 0x80, v2
	s_cbranch_execz .LBB4_9980
; %bb.9973:                             ;   in Loop: Header=BB4_9783 Depth=2
	v_and_b32_e32 v0, 0x7c0000, v11
	v_bfe_u32 v2, v11, 16, 2
	s_delay_alu instid0(VALU_DEP_2) | instskip(SKIP_1) | instid1(SALU_CYCLE_1)
	v_cmp_ne_u32_e32 vcc_lo, 0x7c0000, v0
                                        ; implicit-def: $vgpr0
	s_and_saveexec_b32 s29, vcc_lo
	s_xor_b32 s29, exec_lo, s29
	s_cbranch_execz .LBB4_9977
; %bb.9974:                             ;   in Loop: Header=BB4_9783 Depth=2
	v_bfe_u32 v0, v11, 18, 5
	s_mov_b32 s40, exec_lo
	s_delay_alu instid0(VALU_DEP_1)
	v_cmpx_eq_u32_e32 0, v0
; %bb.9975:                             ;   in Loop: Header=BB4_9783 Depth=2
	v_clz_i32_u32_e32 v0, v2
	s_delay_alu instid0(VALU_DEP_1) | instskip(NEXT) | instid1(VALU_DEP_1)
	v_min_u32_e32 v0, 32, v0
	v_subrev_nc_u32_e32 v2, 29, v0
	s_delay_alu instid0(VALU_DEP_1) | instskip(NEXT) | instid1(VALU_DEP_1)
	v_lshlrev_b64_e32 v[2:3], v2, v[14:15]
	v_dual_sub_nc_u32 v0, 30, v0 :: v_dual_bitop2_b32 v2, 3, v2 bitop3:0x40
; %bb.9976:                             ;   in Loop: Header=BB4_9783 Depth=2
	s_or_b32 exec_lo, exec_lo, s40
	v_lshlrev_b32_e32 v3, 24, v14
                                        ; implicit-def: $vgpr14
	s_delay_alu instid0(VALU_DEP_1) | instskip(NEXT) | instid1(VALU_DEP_1)
	v_and_b32_e32 v3, 0x80000000, v3
	v_lshl_add_u32 v0, v0, 23, v3
	s_delay_alu instid0(VALU_DEP_1) | instskip(NEXT) | instid1(VALU_DEP_1)
	v_lshl_or_b32 v0, v2, 21, v0
                                        ; implicit-def: $vgpr2
	v_add_nc_u32_e32 v0, 0x38000000, v0
.LBB4_9977:                             ;   in Loop: Header=BB4_9783 Depth=2
	s_and_not1_saveexec_b32 s29, s29
; %bb.9978:                             ;   in Loop: Header=BB4_9783 Depth=2
	v_bfe_i32 v0, v14, 0, 8
	s_delay_alu instid0(VALU_DEP_1) | instskip(SKIP_2) | instid1(VALU_DEP_2)
	v_cmp_lt_i16_e32 vcc_lo, -1, v0
	v_cndmask_b32_e32 v0, 0xff800000, v100, vcc_lo
	v_cmp_eq_u32_e32 vcc_lo, 0, v2
	v_cndmask_b32_e32 v0, 0x7f800001, v0, vcc_lo
; %bb.9979:                             ;   in Loop: Header=BB4_9783 Depth=2
	s_or_b32 exec_lo, exec_lo, s29
.LBB4_9980:                             ;   in Loop: Header=BB4_9783 Depth=2
	s_delay_alu instid0(SALU_CYCLE_1)
	s_or_b32 exec_lo, exec_lo, s28
.LBB4_9981:                             ;   in Loop: Header=BB4_9783 Depth=2
	s_delay_alu instid0(SALU_CYCLE_1) | instskip(NEXT) | instid1(VALU_DEP_1)
	s_or_b32 exec_lo, exec_lo, s10
	v_dual_mul_f32 v2, s27, v0 :: v_dual_mov_b32 v21, v15
                                        ; implicit-def: $vgpr116
	s_mov_b32 s10, exec_lo
	s_delay_alu instid0(VALU_DEP_1) | instskip(SKIP_2) | instid1(VALU_DEP_3)
	v_and_b32_e32 v20, 0x7f800000, v2
	v_and_b32_e32 v14, 0x7fffff, v2
	v_lshrrev_b32_e32 v0, 24, v2
	v_cmpx_ne_u64_e32 0x7f800000, v[20:21]
	s_xor_b32 s28, exec_lo, s10
	s_cbranch_execz .LBB4_9995
; %bb.9982:                             ;   in Loop: Header=BB4_9783 Depth=2
	v_and_b32_e32 v20, 0x7fffffff, v2
	v_mov_b32_e32 v21, v15
	v_and_b32_e32 v0, 0x80, v0
                                        ; implicit-def: $vgpr116
	s_mov_b32 s10, exec_lo
	s_delay_alu instid0(VALU_DEP_2)
	v_cmpx_gt_u64_e32 0x47600001, v[20:21]
	s_xor_b32 s29, exec_lo, s10
	s_cbranch_execz .LBB4_9992
; %bb.9983:                             ;   in Loop: Header=BB4_9783 Depth=2
	v_mov_b32_e32 v116, 0
	s_mov_b32 s40, exec_lo
	v_cmpx_ne_u32_e32 0, v2
	s_cbranch_execz .LBB4_9991
; %bb.9984:                             ;   in Loop: Header=BB4_9783 Depth=2
	v_bfe_u32 v2, v2, 23, 8
	v_or_b32_e32 v24, 0x800000, v14
	v_mov_b32_e32 v87, v15
	s_delay_alu instid0(VALU_DEP_3) | instskip(SKIP_1) | instid1(VALU_DEP_2)
	v_sub_nc_u32_e32 v3, 0x71, v2
	v_cmp_gt_u32_e32 vcc_lo, 0x72, v2
	v_cndmask_b32_e32 v3, 0, v3, vcc_lo
	v_cmp_eq_u32_e32 vcc_lo, 0, v2
	v_cndmask_b32_e32 v86, v24, v14, vcc_lo
	s_delay_alu instid0(VALU_DEP_3) | instskip(NEXT) | instid1(VALU_DEP_1)
	v_cndmask_b32_e64 v3, v3, 0x70, vcc_lo
	v_dual_add_nc_u32 v20, 21, v3 :: v_dual_add_nc_u32 v25, 20, v3
	s_delay_alu instid0(VALU_DEP_1) | instskip(NEXT) | instid1(VALU_DEP_2)
	v_lshlrev_b64_e64 v[20:21], v20, -1
	v_lshlrev_b64_e64 v[96:97], v25, 1
	s_delay_alu instid0(VALU_DEP_2) | instskip(SKIP_1) | instid1(VALU_DEP_4)
	v_bfi_b32 v20, v20, 0, v86
	v_lshrrev_b64 v[86:87], v3, v[86:87]
	v_bfi_b32 v21, v21, 0, 0
	s_delay_alu instid0(VALU_DEP_1) | instskip(NEXT) | instid1(VALU_DEP_3)
	v_cmp_eq_u64_e64 s10, v[20:21], v[96:97]
	v_mov_b64_e32 v[96:97], v[86:87]
	s_and_saveexec_b32 s41, s10
; %bb.9985:                             ;   in Loop: Header=BB4_9783 Depth=2
	v_bfe_u32 v20, v86, 21, 1
	v_mov_b32_e32 v21, v15
	s_delay_alu instid0(VALU_DEP_1) | instskip(NEXT) | instid1(VALU_DEP_1)
	v_add_nc_u64_e32 v[20:21], v[86:87], v[20:21]
	v_add_nc_u64_e32 v[96:97], -1, v[20:21]
; %bb.9986:                             ;   in Loop: Header=BB4_9783 Depth=2
	s_or_b32 exec_lo, exec_lo, s41
	v_add_nc_u32_e32 v2, 0xffffff81, v2
	v_lshrrev_b32_e32 v14, 23, v86
	s_mov_b32 s10, exec_lo
	s_delay_alu instid0(VALU_DEP_2) | instskip(NEXT) | instid1(VALU_DEP_1)
	v_cndmask_b32_e64 v2, v2, 0xffffff82, vcc_lo
	v_add3_u32 v3, v3, v2, v14
	v_and_b32_e32 v2, 0x1fffff, v96
	s_delay_alu instid0(VALU_DEP_1) | instskip(NEXT) | instid1(VALU_DEP_1)
	v_dual_add_nc_u32 v20, 14, v3 :: v_dual_add_nc_u32 v14, v2, v86
                                        ; implicit-def: $vgpr86_vgpr87
                                        ; implicit-def: $vgpr2
	v_cmpx_ne_u32_e32 0, v20
	s_xor_b32 s10, exec_lo, s10
; %bb.9987:                             ;   in Loop: Header=BB4_9783 Depth=2
	s_delay_alu instid0(VALU_DEP_2) | instskip(SKIP_2) | instid1(VALU_DEP_2)
	v_cmp_lt_u64_e32 vcc_lo, 0xffffff, v[14:15]
	v_add_nc_u32_e32 v2, 15, v3
	v_cndmask_b32_e64 v3, 0, 1, vcc_lo
	v_cndmask_b32_e32 v2, v20, v2, vcc_lo
	s_delay_alu instid0(VALU_DEP_2)
	v_lshrrev_b64 v[86:87], v3, v[14:15]
; %bb.9988:                             ;   in Loop: Header=BB4_9783 Depth=2
	s_and_not1_saveexec_b32 s10, s10
; %bb.9989:                             ;   in Loop: Header=BB4_9783 Depth=2
	v_mov_b64_e32 v[86:87], v[14:15]
	v_bfe_u32 v2, v14, 23, 1
; %bb.9990:                             ;   in Loop: Header=BB4_9783 Depth=2
	s_or_b32 exec_lo, exec_lo, s10
	s_delay_alu instid0(VALU_DEP_2) | instskip(NEXT) | instid1(VALU_DEP_2)
	v_lshrrev_b64 v[20:21], 21, v[86:87]
	v_cmp_gt_i32_e32 vcc_lo, 32, v2
	v_min_i32_e32 v3, 31, v2
	v_cmp_eq_u32_e64 s10, 0, v2
	s_delay_alu instid0(VALU_DEP_2) | instskip(SKIP_1) | instid1(VALU_DEP_2)
	v_dual_cndmask_b32 v21, 0, v21, vcc_lo :: v_dual_lshlrev_b32 v3, 2, v3
	v_cndmask_b32_e32 v20, 3, v20, vcc_lo
	v_and_b32_e32 v3, 0xfc, v3
	s_delay_alu instid0(VALU_DEP_2) | instskip(NEXT) | instid1(VALU_DEP_2)
	v_cmp_eq_u64_e32 vcc_lo, 0, v[20:21]
	v_and_or_b32 v2, v20, 3, v3
	s_and_b32 s10, s10, vcc_lo
	s_delay_alu instid0(VALU_DEP_1) | instid1(SALU_CYCLE_1)
	v_cndmask_b32_e64 v2, v2, 0, s10
	s_delay_alu instid0(VALU_DEP_1)
	v_or_b32_e32 v116, v2, v0
.LBB4_9991:                             ;   in Loop: Header=BB4_9783 Depth=2
	s_or_b32 exec_lo, exec_lo, s40
                                        ; implicit-def: $vgpr0
.LBB4_9992:                             ;   in Loop: Header=BB4_9783 Depth=2
	s_and_not1_saveexec_b32 s10, s29
; %bb.9993:                             ;   in Loop: Header=BB4_9783 Depth=2
	v_or_b32_e32 v116, 0x7b, v0
; %bb.9994:                             ;   in Loop: Header=BB4_9783 Depth=2
	s_or_b32 exec_lo, exec_lo, s10
                                        ; implicit-def: $vgpr2
                                        ; implicit-def: $vgpr0
.LBB4_9995:                             ;   in Loop: Header=BB4_9783 Depth=2
	s_and_not1_saveexec_b32 s10, s28
	s_cbranch_execz .LBB4_10001
; %bb.9996:                             ;   in Loop: Header=BB4_9783 Depth=2
	s_mov_b32 s28, exec_lo
                                        ; implicit-def: $vgpr116
	v_cmpx_ne_u64_e32 0, v[14:15]
	s_xor_b32 s28, exec_lo, s28
; %bb.9997:                             ;   in Loop: Header=BB4_9783 Depth=2
	v_or_b32_e32 v116, 0x7f, v0
                                        ; implicit-def: $vgpr2
; %bb.9998:                             ;   in Loop: Header=BB4_9783 Depth=2
	s_and_not1_saveexec_b32 s28, s28
; %bb.9999:                             ;   in Loop: Header=BB4_9783 Depth=2
	v_cmp_lt_i32_e32 vcc_lo, -1, v2
	v_cndmask_b32_e32 v116, 0xfc, v101, vcc_lo
; %bb.10000:                            ;   in Loop: Header=BB4_9783 Depth=2
	s_or_b32 exec_lo, exec_lo, s28
.LBB4_10001:                            ;   in Loop: Header=BB4_9783 Depth=2
	s_delay_alu instid0(SALU_CYCLE_1)
	s_or_b32 exec_lo, exec_lo, s10
	v_mov_b32_e32 v0, 0
	s_mov_b32 s10, exec_lo
	v_cmpx_lt_u64_e64 s[12:13], v[10:11]
	s_cbranch_execz .LBB4_10011
; %bb.10002:                            ;   in Loop: Header=BB4_9783 Depth=2
	v_lshrrev_b32_e32 v14, 24, v11
	v_bfrev_b32_e32 v0, 1
	s_mov_b32 s28, exec_lo
	s_delay_alu instid0(VALU_DEP_2)
	v_cmpx_ne_u32_e32 0x80, v14
	s_cbranch_execz .LBB4_10010
; %bb.10003:                            ;   in Loop: Header=BB4_9783 Depth=2
	v_and_b32_e32 v0, 0x7c000000, v11
	v_bfe_u32 v2, v11, 24, 2
	s_delay_alu instid0(VALU_DEP_2) | instskip(SKIP_1) | instid1(SALU_CYCLE_1)
	v_cmp_ne_u32_e32 vcc_lo, 0x7c000000, v0
                                        ; implicit-def: $vgpr0
	s_and_saveexec_b32 s29, vcc_lo
	s_xor_b32 s29, exec_lo, s29
	s_cbranch_execz .LBB4_10007
; %bb.10004:                            ;   in Loop: Header=BB4_9783 Depth=2
	v_bfe_u32 v0, v11, 26, 5
	s_mov_b32 s40, exec_lo
	s_delay_alu instid0(VALU_DEP_1)
	v_cmpx_eq_u32_e32 0, v0
; %bb.10005:                            ;   in Loop: Header=BB4_9783 Depth=2
	v_clz_i32_u32_e32 v0, v2
	s_delay_alu instid0(VALU_DEP_1) | instskip(NEXT) | instid1(VALU_DEP_1)
	v_min_u32_e32 v0, 32, v0
	v_subrev_nc_u32_e32 v2, 29, v0
	s_delay_alu instid0(VALU_DEP_1) | instskip(NEXT) | instid1(VALU_DEP_1)
	v_lshlrev_b64_e32 v[2:3], v2, v[14:15]
	v_dual_sub_nc_u32 v0, 30, v0 :: v_dual_bitop2_b32 v2, 3, v2 bitop3:0x40
; %bb.10006:                            ;   in Loop: Header=BB4_9783 Depth=2
	s_or_b32 exec_lo, exec_lo, s40
	v_and_b32_e32 v3, 0x80000000, v11
	s_delay_alu instid0(VALU_DEP_1) | instskip(NEXT) | instid1(VALU_DEP_1)
	v_lshl_add_u32 v0, v0, 23, v3
	v_lshl_or_b32 v0, v2, 21, v0
                                        ; implicit-def: $vgpr2
	s_delay_alu instid0(VALU_DEP_1)
	v_add_nc_u32_e32 v0, 0x38000000, v0
.LBB4_10007:                            ;   in Loop: Header=BB4_9783 Depth=2
	s_and_not1_saveexec_b32 s29, s29
; %bb.10008:                            ;   in Loop: Header=BB4_9783 Depth=2
	v_cmp_lt_i64_e32 vcc_lo, -1, v[10:11]
	v_cndmask_b32_e32 v0, 0xff800000, v100, vcc_lo
	v_cmp_eq_u32_e32 vcc_lo, 0, v2
	s_delay_alu instid0(VALU_DEP_2)
	v_cndmask_b32_e32 v0, 0x7f800001, v0, vcc_lo
; %bb.10009:                            ;   in Loop: Header=BB4_9783 Depth=2
	s_or_b32 exec_lo, exec_lo, s29
.LBB4_10010:                            ;   in Loop: Header=BB4_9783 Depth=2
	s_delay_alu instid0(SALU_CYCLE_1)
	s_or_b32 exec_lo, exec_lo, s28
.LBB4_10011:                            ;   in Loop: Header=BB4_9783 Depth=2
	s_delay_alu instid0(SALU_CYCLE_1) | instskip(NEXT) | instid1(VALU_DEP_1)
	s_or_b32 exec_lo, exec_lo, s10
	v_dual_mul_f32 v2, s27, v0 :: v_dual_mov_b32 v11, v15
                                        ; implicit-def: $vgpr117
	s_mov_b32 s10, exec_lo
	s_delay_alu instid0(VALU_DEP_1) | instskip(SKIP_2) | instid1(VALU_DEP_3)
	v_and_b32_e32 v10, 0x7f800000, v2
	v_and_b32_e32 v14, 0x7fffff, v2
	v_lshrrev_b32_e32 v0, 24, v2
	v_cmpx_ne_u64_e32 0x7f800000, v[10:11]
	s_xor_b32 s28, exec_lo, s10
	s_cbranch_execz .LBB4_10025
; %bb.10012:                            ;   in Loop: Header=BB4_9783 Depth=2
	v_and_b32_e32 v10, 0x7fffffff, v2
	v_mov_b32_e32 v11, v15
	v_and_b32_e32 v0, 0x80, v0
                                        ; implicit-def: $vgpr117
	s_mov_b32 s10, exec_lo
	s_delay_alu instid0(VALU_DEP_2)
	v_cmpx_gt_u64_e32 0x47600001, v[10:11]
	s_xor_b32 s29, exec_lo, s10
	s_cbranch_execz .LBB4_10022
; %bb.10013:                            ;   in Loop: Header=BB4_9783 Depth=2
	v_mov_b32_e32 v117, 0
	s_mov_b32 s40, exec_lo
	v_cmpx_ne_u32_e32 0, v2
	s_cbranch_execz .LBB4_10021
; %bb.10014:                            ;   in Loop: Header=BB4_9783 Depth=2
	v_bfe_u32 v2, v2, 23, 8
	v_or_b32_e32 v20, 0x800000, v14
	v_mov_b32_e32 v21, v15
	s_delay_alu instid0(VALU_DEP_3) | instskip(SKIP_1) | instid1(VALU_DEP_2)
	v_sub_nc_u32_e32 v3, 0x71, v2
	v_cmp_gt_u32_e32 vcc_lo, 0x72, v2
	v_cndmask_b32_e32 v3, 0, v3, vcc_lo
	v_cmp_eq_u32_e32 vcc_lo, 0, v2
	v_cndmask_b32_e32 v20, v20, v14, vcc_lo
	s_delay_alu instid0(VALU_DEP_3) | instskip(NEXT) | instid1(VALU_DEP_1)
	v_cndmask_b32_e64 v3, v3, 0x70, vcc_lo
	v_dual_add_nc_u32 v10, 21, v3 :: v_dual_add_nc_u32 v24, 20, v3
	s_delay_alu instid0(VALU_DEP_1) | instskip(NEXT) | instid1(VALU_DEP_2)
	v_lshlrev_b64_e64 v[10:11], v10, -1
	v_lshlrev_b64_e64 v[86:87], v24, 1
	s_delay_alu instid0(VALU_DEP_2) | instskip(NEXT) | instid1(VALU_DEP_3)
	v_bfi_b32 v97, v11, 0, 0
	v_bfi_b32 v96, v10, 0, v20
	v_lshrrev_b64 v[10:11], v3, v[20:21]
	s_delay_alu instid0(VALU_DEP_2) | instskip(NEXT) | instid1(VALU_DEP_2)
	v_cmp_eq_u64_e64 s10, v[96:97], v[86:87]
	v_mov_b64_e32 v[86:87], v[10:11]
	s_and_saveexec_b32 s41, s10
; %bb.10015:                            ;   in Loop: Header=BB4_9783 Depth=2
	v_bfe_u32 v20, v10, 21, 1
	v_mov_b32_e32 v21, v15
	s_delay_alu instid0(VALU_DEP_1) | instskip(NEXT) | instid1(VALU_DEP_1)
	v_add_nc_u64_e32 v[20:21], v[10:11], v[20:21]
	v_add_nc_u64_e32 v[86:87], -1, v[20:21]
; %bb.10016:                            ;   in Loop: Header=BB4_9783 Depth=2
	s_or_b32 exec_lo, exec_lo, s41
	v_add_nc_u32_e32 v2, 0xffffff81, v2
	v_lshrrev_b32_e32 v11, 23, v10
	s_mov_b32 s10, exec_lo
	s_delay_alu instid0(VALU_DEP_2) | instskip(NEXT) | instid1(VALU_DEP_1)
	v_cndmask_b32_e64 v2, v2, 0xffffff82, vcc_lo
	v_add3_u32 v3, v3, v2, v11
	v_and_b32_e32 v2, 0x1fffff, v86
	s_delay_alu instid0(VALU_DEP_1) | instskip(NEXT) | instid1(VALU_DEP_1)
	v_dual_add_nc_u32 v20, 14, v3 :: v_dual_add_nc_u32 v14, v2, v10
                                        ; implicit-def: $vgpr10_vgpr11
                                        ; implicit-def: $vgpr2
	v_cmpx_ne_u32_e32 0, v20
	s_xor_b32 s10, exec_lo, s10
; %bb.10017:                            ;   in Loop: Header=BB4_9783 Depth=2
	s_delay_alu instid0(VALU_DEP_2) | instskip(SKIP_2) | instid1(VALU_DEP_2)
	v_cmp_lt_u64_e32 vcc_lo, 0xffffff, v[14:15]
	v_add_nc_u32_e32 v2, 15, v3
	v_cndmask_b32_e64 v3, 0, 1, vcc_lo
	v_cndmask_b32_e32 v2, v20, v2, vcc_lo
	s_delay_alu instid0(VALU_DEP_2)
	v_lshrrev_b64 v[10:11], v3, v[14:15]
; %bb.10018:                            ;   in Loop: Header=BB4_9783 Depth=2
	s_and_not1_saveexec_b32 s10, s10
; %bb.10019:                            ;   in Loop: Header=BB4_9783 Depth=2
	v_mov_b64_e32 v[10:11], v[14:15]
	v_bfe_u32 v2, v14, 23, 1
; %bb.10020:                            ;   in Loop: Header=BB4_9783 Depth=2
	s_or_b32 exec_lo, exec_lo, s10
	s_delay_alu instid0(VALU_DEP_2) | instskip(NEXT) | instid1(VALU_DEP_2)
	v_lshrrev_b64 v[10:11], 21, v[10:11]
	v_cmp_gt_i32_e32 vcc_lo, 32, v2
	v_min_i32_e32 v3, 31, v2
	v_cmp_eq_u32_e64 s10, 0, v2
	s_delay_alu instid0(VALU_DEP_4) | instskip(NEXT) | instid1(VALU_DEP_3)
	v_cndmask_b32_e32 v11, 0, v11, vcc_lo
	v_dual_cndmask_b32 v10, 3, v10 :: v_dual_lshlrev_b32 v3, 2, v3
	s_delay_alu instid0(VALU_DEP_1) | instskip(NEXT) | instid1(VALU_DEP_2)
	v_and_b32_e32 v3, 0xfc, v3
	v_cmp_eq_u64_e32 vcc_lo, 0, v[10:11]
	s_delay_alu instid0(VALU_DEP_2)
	v_and_or_b32 v2, v10, 3, v3
	s_and_b32 s10, s10, vcc_lo
	s_delay_alu instid0(VALU_DEP_1) | instid1(SALU_CYCLE_1)
	v_cndmask_b32_e64 v2, v2, 0, s10
	s_delay_alu instid0(VALU_DEP_1)
	v_or_b32_e32 v117, v2, v0
.LBB4_10021:                            ;   in Loop: Header=BB4_9783 Depth=2
	s_or_b32 exec_lo, exec_lo, s40
                                        ; implicit-def: $vgpr0
.LBB4_10022:                            ;   in Loop: Header=BB4_9783 Depth=2
	s_and_not1_saveexec_b32 s10, s29
; %bb.10023:                            ;   in Loop: Header=BB4_9783 Depth=2
	v_or_b32_e32 v117, 0x7b, v0
; %bb.10024:                            ;   in Loop: Header=BB4_9783 Depth=2
	s_or_b32 exec_lo, exec_lo, s10
                                        ; implicit-def: $vgpr2
                                        ; implicit-def: $vgpr0
.LBB4_10025:                            ;   in Loop: Header=BB4_9783 Depth=2
	s_and_not1_saveexec_b32 s10, s28
	s_cbranch_execz .LBB4_10031
; %bb.10026:                            ;   in Loop: Header=BB4_9783 Depth=2
	s_mov_b32 s28, exec_lo
                                        ; implicit-def: $vgpr117
	v_cmpx_ne_u64_e32 0, v[14:15]
	s_xor_b32 s28, exec_lo, s28
; %bb.10027:                            ;   in Loop: Header=BB4_9783 Depth=2
	v_or_b32_e32 v117, 0x7f, v0
                                        ; implicit-def: $vgpr2
; %bb.10028:                            ;   in Loop: Header=BB4_9783 Depth=2
	s_and_not1_saveexec_b32 s28, s28
; %bb.10029:                            ;   in Loop: Header=BB4_9783 Depth=2
	v_cmp_lt_i32_e32 vcc_lo, -1, v2
	v_cndmask_b32_e32 v117, 0xfc, v101, vcc_lo
; %bb.10030:                            ;   in Loop: Header=BB4_9783 Depth=2
	s_or_b32 exec_lo, exec_lo, s28
.LBB4_10031:                            ;   in Loop: Header=BB4_9783 Depth=2
	s_delay_alu instid0(SALU_CYCLE_1) | instskip(SKIP_1) | instid1(VALU_DEP_1)
	s_or_b32 exec_lo, exec_lo, s10
	v_and_b32_e32 v0, 0xff, v12
	v_cmp_ne_u16_e32 vcc_lo, 0, v0
	v_mov_b32_e32 v0, 0
	s_and_saveexec_b32 s10, vcc_lo
	s_cbranch_execz .LBB4_10041
; %bb.10032:                            ;   in Loop: Header=BB4_9783 Depth=2
	v_bfe_i32 v3, v12, 0, 8
	v_bfrev_b32_e32 v0, 1
	s_mov_b32 s28, exec_lo
	s_delay_alu instid0(VALU_DEP_2)
	v_cmpx_ne_u16_e32 0xff80, v3
	s_cbranch_execz .LBB4_10040
; %bb.10033:                            ;   in Loop: Header=BB4_9783 Depth=2
	v_and_b32_e32 v0, 0x7c, v12
	v_and_b32_e32 v2, 3, v12
	s_delay_alu instid0(VALU_DEP_2) | instskip(SKIP_1) | instid1(SALU_CYCLE_1)
	v_cmp_ne_u32_e32 vcc_lo, 0x7c, v0
                                        ; implicit-def: $vgpr0
	s_and_saveexec_b32 s29, vcc_lo
	s_xor_b32 s29, exec_lo, s29
	s_cbranch_execz .LBB4_10037
; %bb.10034:                            ;   in Loop: Header=BB4_9783 Depth=2
	v_bfe_u32 v0, v12, 2, 5
	s_mov_b32 s40, exec_lo
	s_delay_alu instid0(VALU_DEP_1)
	v_cmpx_eq_u32_e32 0, v0
; %bb.10035:                            ;   in Loop: Header=BB4_9783 Depth=2
	v_clz_i32_u32_e32 v0, v2
	s_delay_alu instid0(VALU_DEP_1) | instskip(NEXT) | instid1(VALU_DEP_1)
	v_min_u32_e32 v0, 32, v0
	v_subrev_nc_u32_e32 v2, 29, v0
	s_delay_alu instid0(VALU_DEP_1) | instskip(NEXT) | instid1(VALU_DEP_1)
	v_lshlrev_b64_e32 v[2:3], v2, v[12:13]
	v_dual_sub_nc_u32 v0, 30, v0 :: v_dual_bitop2_b32 v2, 3, v2 bitop3:0x40
; %bb.10036:                            ;   in Loop: Header=BB4_9783 Depth=2
	s_or_b32 exec_lo, exec_lo, s40
	v_lshlrev_b32_e32 v3, 24, v12
	s_delay_alu instid0(VALU_DEP_1) | instskip(NEXT) | instid1(VALU_DEP_1)
	v_and_b32_e32 v3, 0x80000000, v3
	v_lshl_add_u32 v0, v0, 23, v3
                                        ; implicit-def: $vgpr3
	s_delay_alu instid0(VALU_DEP_1) | instskip(NEXT) | instid1(VALU_DEP_1)
	v_lshl_or_b32 v0, v2, 21, v0
                                        ; implicit-def: $vgpr2
	v_add_nc_u32_e32 v0, 0x38000000, v0
.LBB4_10037:                            ;   in Loop: Header=BB4_9783 Depth=2
	s_and_not1_saveexec_b32 s29, s29
; %bb.10038:                            ;   in Loop: Header=BB4_9783 Depth=2
	v_cmp_lt_i16_e32 vcc_lo, -1, v3
	v_cndmask_b32_e32 v0, 0xff800000, v100, vcc_lo
	v_cmp_eq_u32_e32 vcc_lo, 0, v2
	s_delay_alu instid0(VALU_DEP_2)
	v_cndmask_b32_e32 v0, 0x7f800001, v0, vcc_lo
; %bb.10039:                            ;   in Loop: Header=BB4_9783 Depth=2
	s_or_b32 exec_lo, exec_lo, s29
.LBB4_10040:                            ;   in Loop: Header=BB4_9783 Depth=2
	s_delay_alu instid0(SALU_CYCLE_1)
	s_or_b32 exec_lo, exec_lo, s28
.LBB4_10041:                            ;   in Loop: Header=BB4_9783 Depth=2
	s_delay_alu instid0(SALU_CYCLE_1) | instskip(NEXT) | instid1(VALU_DEP_1)
	s_or_b32 exec_lo, exec_lo, s10
	v_dual_mul_f32 v2, s27, v0 :: v_dual_mov_b32 v11, v15
                                        ; implicit-def: $vgpr118
	s_mov_b32 s10, exec_lo
	s_delay_alu instid0(VALU_DEP_1) | instskip(SKIP_2) | instid1(VALU_DEP_3)
	v_and_b32_e32 v10, 0x7f800000, v2
	v_and_b32_e32 v14, 0x7fffff, v2
	v_lshrrev_b32_e32 v0, 24, v2
	v_cmpx_ne_u64_e32 0x7f800000, v[10:11]
	s_xor_b32 s28, exec_lo, s10
	s_cbranch_execz .LBB4_10055
; %bb.10042:                            ;   in Loop: Header=BB4_9783 Depth=2
	v_and_b32_e32 v10, 0x7fffffff, v2
	v_mov_b32_e32 v11, v15
	v_and_b32_e32 v0, 0x80, v0
                                        ; implicit-def: $vgpr118
	s_mov_b32 s10, exec_lo
	s_delay_alu instid0(VALU_DEP_2)
	v_cmpx_gt_u64_e32 0x47600001, v[10:11]
	s_xor_b32 s29, exec_lo, s10
	s_cbranch_execz .LBB4_10052
; %bb.10043:                            ;   in Loop: Header=BB4_9783 Depth=2
	v_mov_b32_e32 v118, 0
	s_mov_b32 s40, exec_lo
	v_cmpx_ne_u32_e32 0, v2
	s_cbranch_execz .LBB4_10051
; %bb.10044:                            ;   in Loop: Header=BB4_9783 Depth=2
	v_bfe_u32 v2, v2, 23, 8
	v_or_b32_e32 v20, 0x800000, v14
	v_mov_b32_e32 v21, v15
	s_delay_alu instid0(VALU_DEP_3) | instskip(SKIP_1) | instid1(VALU_DEP_2)
	v_sub_nc_u32_e32 v3, 0x71, v2
	v_cmp_gt_u32_e32 vcc_lo, 0x72, v2
	v_cndmask_b32_e32 v3, 0, v3, vcc_lo
	v_cmp_eq_u32_e32 vcc_lo, 0, v2
	v_cndmask_b32_e32 v20, v20, v14, vcc_lo
	s_delay_alu instid0(VALU_DEP_3) | instskip(NEXT) | instid1(VALU_DEP_1)
	v_cndmask_b32_e64 v3, v3, 0x70, vcc_lo
	v_dual_add_nc_u32 v10, 21, v3 :: v_dual_add_nc_u32 v24, 20, v3
	s_delay_alu instid0(VALU_DEP_1) | instskip(NEXT) | instid1(VALU_DEP_2)
	v_lshlrev_b64_e64 v[10:11], v10, -1
	v_lshlrev_b64_e64 v[86:87], v24, 1
	s_delay_alu instid0(VALU_DEP_2) | instskip(NEXT) | instid1(VALU_DEP_3)
	v_bfi_b32 v97, v11, 0, 0
	v_bfi_b32 v96, v10, 0, v20
	v_lshrrev_b64 v[10:11], v3, v[20:21]
	s_delay_alu instid0(VALU_DEP_2) | instskip(NEXT) | instid1(VALU_DEP_2)
	v_cmp_eq_u64_e64 s10, v[96:97], v[86:87]
	v_mov_b64_e32 v[86:87], v[10:11]
	s_and_saveexec_b32 s41, s10
; %bb.10045:                            ;   in Loop: Header=BB4_9783 Depth=2
	v_bfe_u32 v20, v10, 21, 1
	v_mov_b32_e32 v21, v15
	s_delay_alu instid0(VALU_DEP_1) | instskip(NEXT) | instid1(VALU_DEP_1)
	v_add_nc_u64_e32 v[20:21], v[10:11], v[20:21]
	v_add_nc_u64_e32 v[86:87], -1, v[20:21]
; %bb.10046:                            ;   in Loop: Header=BB4_9783 Depth=2
	s_or_b32 exec_lo, exec_lo, s41
	v_add_nc_u32_e32 v2, 0xffffff81, v2
	v_lshrrev_b32_e32 v11, 23, v10
	s_mov_b32 s10, exec_lo
	s_delay_alu instid0(VALU_DEP_2) | instskip(NEXT) | instid1(VALU_DEP_1)
	v_cndmask_b32_e64 v2, v2, 0xffffff82, vcc_lo
	v_add3_u32 v3, v3, v2, v11
	v_and_b32_e32 v2, 0x1fffff, v86
	s_delay_alu instid0(VALU_DEP_1) | instskip(NEXT) | instid1(VALU_DEP_1)
	v_dual_add_nc_u32 v20, 14, v3 :: v_dual_add_nc_u32 v14, v2, v10
                                        ; implicit-def: $vgpr10_vgpr11
                                        ; implicit-def: $vgpr2
	v_cmpx_ne_u32_e32 0, v20
	s_xor_b32 s10, exec_lo, s10
; %bb.10047:                            ;   in Loop: Header=BB4_9783 Depth=2
	s_delay_alu instid0(VALU_DEP_2) | instskip(SKIP_2) | instid1(VALU_DEP_2)
	v_cmp_lt_u64_e32 vcc_lo, 0xffffff, v[14:15]
	v_add_nc_u32_e32 v2, 15, v3
	v_cndmask_b32_e64 v3, 0, 1, vcc_lo
	v_cndmask_b32_e32 v2, v20, v2, vcc_lo
	s_delay_alu instid0(VALU_DEP_2)
	v_lshrrev_b64 v[10:11], v3, v[14:15]
; %bb.10048:                            ;   in Loop: Header=BB4_9783 Depth=2
	s_and_not1_saveexec_b32 s10, s10
; %bb.10049:                            ;   in Loop: Header=BB4_9783 Depth=2
	v_mov_b64_e32 v[10:11], v[14:15]
	v_bfe_u32 v2, v14, 23, 1
; %bb.10050:                            ;   in Loop: Header=BB4_9783 Depth=2
	s_or_b32 exec_lo, exec_lo, s10
	s_delay_alu instid0(VALU_DEP_2) | instskip(NEXT) | instid1(VALU_DEP_2)
	v_lshrrev_b64 v[10:11], 21, v[10:11]
	v_cmp_gt_i32_e32 vcc_lo, 32, v2
	v_min_i32_e32 v3, 31, v2
	v_cmp_eq_u32_e64 s10, 0, v2
	s_delay_alu instid0(VALU_DEP_4) | instskip(NEXT) | instid1(VALU_DEP_3)
	v_cndmask_b32_e32 v11, 0, v11, vcc_lo
	v_dual_cndmask_b32 v10, 3, v10 :: v_dual_lshlrev_b32 v3, 2, v3
	s_delay_alu instid0(VALU_DEP_1) | instskip(NEXT) | instid1(VALU_DEP_2)
	v_and_b32_e32 v3, 0xfc, v3
	v_cmp_eq_u64_e32 vcc_lo, 0, v[10:11]
	s_delay_alu instid0(VALU_DEP_2)
	v_and_or_b32 v2, v10, 3, v3
	s_and_b32 s10, s10, vcc_lo
	s_delay_alu instid0(VALU_DEP_1) | instid1(SALU_CYCLE_1)
	v_cndmask_b32_e64 v2, v2, 0, s10
	s_delay_alu instid0(VALU_DEP_1)
	v_or_b32_e32 v118, v2, v0
.LBB4_10051:                            ;   in Loop: Header=BB4_9783 Depth=2
	s_or_b32 exec_lo, exec_lo, s40
                                        ; implicit-def: $vgpr0
.LBB4_10052:                            ;   in Loop: Header=BB4_9783 Depth=2
	s_and_not1_saveexec_b32 s10, s29
; %bb.10053:                            ;   in Loop: Header=BB4_9783 Depth=2
	v_or_b32_e32 v118, 0x7b, v0
; %bb.10054:                            ;   in Loop: Header=BB4_9783 Depth=2
	s_or_b32 exec_lo, exec_lo, s10
                                        ; implicit-def: $vgpr2
                                        ; implicit-def: $vgpr0
.LBB4_10055:                            ;   in Loop: Header=BB4_9783 Depth=2
	s_and_not1_saveexec_b32 s10, s28
	s_cbranch_execz .LBB4_10061
; %bb.10056:                            ;   in Loop: Header=BB4_9783 Depth=2
	s_mov_b32 s28, exec_lo
                                        ; implicit-def: $vgpr118
	v_cmpx_ne_u64_e32 0, v[14:15]
	s_xor_b32 s28, exec_lo, s28
; %bb.10057:                            ;   in Loop: Header=BB4_9783 Depth=2
	v_or_b32_e32 v118, 0x7f, v0
                                        ; implicit-def: $vgpr2
; %bb.10058:                            ;   in Loop: Header=BB4_9783 Depth=2
	s_and_not1_saveexec_b32 s28, s28
; %bb.10059:                            ;   in Loop: Header=BB4_9783 Depth=2
	v_cmp_lt_i32_e32 vcc_lo, -1, v2
	v_cndmask_b32_e32 v118, 0xfc, v101, vcc_lo
; %bb.10060:                            ;   in Loop: Header=BB4_9783 Depth=2
	s_or_b32 exec_lo, exec_lo, s28
.LBB4_10061:                            ;   in Loop: Header=BB4_9783 Depth=2
	s_delay_alu instid0(SALU_CYCLE_1) | instskip(SKIP_3) | instid1(VALU_DEP_2)
	s_or_b32 exec_lo, exec_lo, s10
	v_lshrrev_b16 v10, 8, v12
	v_mov_b32_e32 v2, 0
	s_mov_b32 s10, exec_lo
	v_cmpx_ne_u16_e32 0, v10
	s_cbranch_execz .LBB4_10071
; %bb.10062:                            ;   in Loop: Header=BB4_9783 Depth=2
	v_bfrev_b32_e32 v2, 1
	s_mov_b32 s28, exec_lo
	v_cmpx_ne_u16_e32 0x80, v10
	s_cbranch_execz .LBB4_10070
; %bb.10063:                            ;   in Loop: Header=BB4_9783 Depth=2
	v_and_b32_e32 v3, 0xffff, v10
	s_delay_alu instid0(VALU_DEP_1) | instskip(SKIP_1) | instid1(VALU_DEP_2)
	v_and_b32_e32 v2, 0x7c, v3
	v_and_b32_e32 v0, 3, v3
	v_cmp_ne_u32_e32 vcc_lo, 0x7c, v2
                                        ; implicit-def: $vgpr2
	s_and_saveexec_b32 s29, vcc_lo
	s_delay_alu instid0(SALU_CYCLE_1)
	s_xor_b32 s29, exec_lo, s29
	s_cbranch_execz .LBB4_10067
; %bb.10064:                            ;   in Loop: Header=BB4_9783 Depth=2
	v_bfe_u32 v2, v3, 2, 5
	s_mov_b32 s40, exec_lo
	s_delay_alu instid0(VALU_DEP_1)
	v_cmpx_eq_u32_e32 0, v2
; %bb.10065:                            ;   in Loop: Header=BB4_9783 Depth=2
	v_clz_i32_u32_e32 v0, v0
	s_delay_alu instid0(VALU_DEP_1) | instskip(SKIP_1) | instid1(VALU_DEP_2)
	v_min_u32_e32 v0, 32, v0
	v_mov_b32_e32 v11, v15
	v_subrev_nc_u32_e32 v2, 29, v0
	s_delay_alu instid0(VALU_DEP_1) | instskip(NEXT) | instid1(VALU_DEP_1)
	v_lshlrev_b64_e32 v[10:11], v2, v[10:11]
	v_dual_sub_nc_u32 v2, 30, v0 :: v_dual_bitop2_b32 v0, 3, v10 bitop3:0x40
; %bb.10066:                            ;   in Loop: Header=BB4_9783 Depth=2
	s_or_b32 exec_lo, exec_lo, s40
	v_lshlrev_b32_e32 v3, 16, v12
	s_delay_alu instid0(VALU_DEP_1) | instskip(NEXT) | instid1(VALU_DEP_1)
	v_and_b32_e32 v3, 0x80000000, v3
	v_lshl_add_u32 v2, v2, 23, v3
	s_delay_alu instid0(VALU_DEP_1) | instskip(NEXT) | instid1(VALU_DEP_1)
	v_lshl_or_b32 v0, v0, 21, v2
	v_add_nc_u32_e32 v2, 0x38000000, v0
                                        ; implicit-def: $vgpr0
.LBB4_10067:                            ;   in Loop: Header=BB4_9783 Depth=2
	s_and_not1_saveexec_b32 s29, s29
; %bb.10068:                            ;   in Loop: Header=BB4_9783 Depth=2
	v_cmp_lt_i16_e32 vcc_lo, -1, v12
	v_cndmask_b32_e32 v2, 0xff800000, v100, vcc_lo
	v_cmp_eq_u32_e32 vcc_lo, 0, v0
	s_delay_alu instid0(VALU_DEP_2)
	v_cndmask_b32_e32 v2, 0x7f800001, v2, vcc_lo
; %bb.10069:                            ;   in Loop: Header=BB4_9783 Depth=2
	s_or_b32 exec_lo, exec_lo, s29
.LBB4_10070:                            ;   in Loop: Header=BB4_9783 Depth=2
	s_delay_alu instid0(SALU_CYCLE_1)
	s_or_b32 exec_lo, exec_lo, s28
.LBB4_10071:                            ;   in Loop: Header=BB4_9783 Depth=2
	s_delay_alu instid0(SALU_CYCLE_1) | instskip(NEXT) | instid1(VALU_DEP_1)
	s_or_b32 exec_lo, exec_lo, s10
	v_dual_mul_f32 v2, s27, v2 :: v_dual_mov_b32 v11, v15
                                        ; implicit-def: $vgpr119
	s_mov_b32 s10, exec_lo
	s_delay_alu instid0(VALU_DEP_1) | instskip(SKIP_2) | instid1(VALU_DEP_3)
	v_and_b32_e32 v10, 0x7f800000, v2
	v_and_b32_e32 v14, 0x7fffff, v2
	v_lshrrev_b32_e32 v0, 24, v2
	v_cmpx_ne_u64_e32 0x7f800000, v[10:11]
	s_xor_b32 s28, exec_lo, s10
	s_cbranch_execz .LBB4_10085
; %bb.10072:                            ;   in Loop: Header=BB4_9783 Depth=2
	v_and_b32_e32 v10, 0x7fffffff, v2
	v_mov_b32_e32 v11, v15
	v_and_b32_e32 v0, 0x80, v0
                                        ; implicit-def: $vgpr119
	s_mov_b32 s10, exec_lo
	s_delay_alu instid0(VALU_DEP_2)
	v_cmpx_gt_u64_e32 0x47600001, v[10:11]
	s_xor_b32 s29, exec_lo, s10
	s_cbranch_execz .LBB4_10082
; %bb.10073:                            ;   in Loop: Header=BB4_9783 Depth=2
	v_mov_b32_e32 v119, 0
	s_mov_b32 s40, exec_lo
	v_cmpx_ne_u32_e32 0, v2
	s_cbranch_execz .LBB4_10081
; %bb.10074:                            ;   in Loop: Header=BB4_9783 Depth=2
	v_bfe_u32 v2, v2, 23, 8
	v_or_b32_e32 v20, 0x800000, v14
	v_mov_b32_e32 v21, v15
	s_delay_alu instid0(VALU_DEP_3) | instskip(SKIP_1) | instid1(VALU_DEP_2)
	v_sub_nc_u32_e32 v3, 0x71, v2
	v_cmp_gt_u32_e32 vcc_lo, 0x72, v2
	v_cndmask_b32_e32 v3, 0, v3, vcc_lo
	v_cmp_eq_u32_e32 vcc_lo, 0, v2
	v_cndmask_b32_e32 v20, v20, v14, vcc_lo
	s_delay_alu instid0(VALU_DEP_3) | instskip(NEXT) | instid1(VALU_DEP_1)
	v_cndmask_b32_e64 v3, v3, 0x70, vcc_lo
	v_dual_add_nc_u32 v10, 21, v3 :: v_dual_add_nc_u32 v24, 20, v3
	s_delay_alu instid0(VALU_DEP_1) | instskip(NEXT) | instid1(VALU_DEP_2)
	v_lshlrev_b64_e64 v[10:11], v10, -1
	v_lshlrev_b64_e64 v[86:87], v24, 1
	s_delay_alu instid0(VALU_DEP_2) | instskip(NEXT) | instid1(VALU_DEP_3)
	v_bfi_b32 v97, v11, 0, 0
	v_bfi_b32 v96, v10, 0, v20
	v_lshrrev_b64 v[10:11], v3, v[20:21]
	s_delay_alu instid0(VALU_DEP_2) | instskip(NEXT) | instid1(VALU_DEP_2)
	v_cmp_eq_u64_e64 s10, v[96:97], v[86:87]
	v_mov_b64_e32 v[86:87], v[10:11]
	s_and_saveexec_b32 s41, s10
; %bb.10075:                            ;   in Loop: Header=BB4_9783 Depth=2
	v_bfe_u32 v20, v10, 21, 1
	v_mov_b32_e32 v21, v15
	s_delay_alu instid0(VALU_DEP_1) | instskip(NEXT) | instid1(VALU_DEP_1)
	v_add_nc_u64_e32 v[20:21], v[10:11], v[20:21]
	v_add_nc_u64_e32 v[86:87], -1, v[20:21]
; %bb.10076:                            ;   in Loop: Header=BB4_9783 Depth=2
	s_or_b32 exec_lo, exec_lo, s41
	v_add_nc_u32_e32 v2, 0xffffff81, v2
	v_lshrrev_b32_e32 v11, 23, v10
	s_mov_b32 s10, exec_lo
	s_delay_alu instid0(VALU_DEP_2) | instskip(NEXT) | instid1(VALU_DEP_1)
	v_cndmask_b32_e64 v2, v2, 0xffffff82, vcc_lo
	v_add3_u32 v3, v3, v2, v11
	v_and_b32_e32 v2, 0x1fffff, v86
	s_delay_alu instid0(VALU_DEP_1) | instskip(NEXT) | instid1(VALU_DEP_1)
	v_dual_add_nc_u32 v20, 14, v3 :: v_dual_add_nc_u32 v14, v2, v10
                                        ; implicit-def: $vgpr10_vgpr11
                                        ; implicit-def: $vgpr2
	v_cmpx_ne_u32_e32 0, v20
	s_xor_b32 s10, exec_lo, s10
; %bb.10077:                            ;   in Loop: Header=BB4_9783 Depth=2
	s_delay_alu instid0(VALU_DEP_2) | instskip(SKIP_2) | instid1(VALU_DEP_2)
	v_cmp_lt_u64_e32 vcc_lo, 0xffffff, v[14:15]
	v_add_nc_u32_e32 v2, 15, v3
	v_cndmask_b32_e64 v3, 0, 1, vcc_lo
	v_cndmask_b32_e32 v2, v20, v2, vcc_lo
	s_delay_alu instid0(VALU_DEP_2)
	v_lshrrev_b64 v[10:11], v3, v[14:15]
; %bb.10078:                            ;   in Loop: Header=BB4_9783 Depth=2
	s_and_not1_saveexec_b32 s10, s10
; %bb.10079:                            ;   in Loop: Header=BB4_9783 Depth=2
	v_mov_b64_e32 v[10:11], v[14:15]
	v_bfe_u32 v2, v14, 23, 1
; %bb.10080:                            ;   in Loop: Header=BB4_9783 Depth=2
	s_or_b32 exec_lo, exec_lo, s10
	s_delay_alu instid0(VALU_DEP_2) | instskip(NEXT) | instid1(VALU_DEP_2)
	v_lshrrev_b64 v[10:11], 21, v[10:11]
	v_cmp_gt_i32_e32 vcc_lo, 32, v2
	v_min_i32_e32 v3, 31, v2
	v_cmp_eq_u32_e64 s10, 0, v2
	s_delay_alu instid0(VALU_DEP_4) | instskip(NEXT) | instid1(VALU_DEP_3)
	v_cndmask_b32_e32 v11, 0, v11, vcc_lo
	v_dual_cndmask_b32 v10, 3, v10 :: v_dual_lshlrev_b32 v3, 2, v3
	s_delay_alu instid0(VALU_DEP_1) | instskip(NEXT) | instid1(VALU_DEP_2)
	v_and_b32_e32 v3, 0xfc, v3
	v_cmp_eq_u64_e32 vcc_lo, 0, v[10:11]
	s_delay_alu instid0(VALU_DEP_2)
	v_and_or_b32 v2, v10, 3, v3
	s_and_b32 s10, s10, vcc_lo
	s_delay_alu instid0(VALU_DEP_1) | instid1(SALU_CYCLE_1)
	v_cndmask_b32_e64 v2, v2, 0, s10
	s_delay_alu instid0(VALU_DEP_1)
	v_or_b32_e32 v119, v2, v0
.LBB4_10081:                            ;   in Loop: Header=BB4_9783 Depth=2
	s_or_b32 exec_lo, exec_lo, s40
                                        ; implicit-def: $vgpr0
.LBB4_10082:                            ;   in Loop: Header=BB4_9783 Depth=2
	s_and_not1_saveexec_b32 s10, s29
; %bb.10083:                            ;   in Loop: Header=BB4_9783 Depth=2
	v_or_b32_e32 v119, 0x7b, v0
; %bb.10084:                            ;   in Loop: Header=BB4_9783 Depth=2
	s_or_b32 exec_lo, exec_lo, s10
                                        ; implicit-def: $vgpr2
                                        ; implicit-def: $vgpr0
.LBB4_10085:                            ;   in Loop: Header=BB4_9783 Depth=2
	s_and_not1_saveexec_b32 s10, s28
	s_cbranch_execz .LBB4_10091
; %bb.10086:                            ;   in Loop: Header=BB4_9783 Depth=2
	s_mov_b32 s28, exec_lo
                                        ; implicit-def: $vgpr119
	v_cmpx_ne_u64_e32 0, v[14:15]
	s_xor_b32 s28, exec_lo, s28
; %bb.10087:                            ;   in Loop: Header=BB4_9783 Depth=2
	v_or_b32_e32 v119, 0x7f, v0
                                        ; implicit-def: $vgpr2
; %bb.10088:                            ;   in Loop: Header=BB4_9783 Depth=2
	s_and_not1_saveexec_b32 s28, s28
; %bb.10089:                            ;   in Loop: Header=BB4_9783 Depth=2
	v_cmp_lt_i32_e32 vcc_lo, -1, v2
	v_cndmask_b32_e32 v119, 0xfc, v101, vcc_lo
; %bb.10090:                            ;   in Loop: Header=BB4_9783 Depth=2
	s_or_b32 exec_lo, exec_lo, s28
.LBB4_10091:                            ;   in Loop: Header=BB4_9783 Depth=2
	s_delay_alu instid0(SALU_CYCLE_1) | instskip(SKIP_2) | instid1(VALU_DEP_1)
	s_or_b32 exec_lo, exec_lo, s10
	v_dual_lshrrev_b32 v10, 16, v12 :: v_dual_mov_b32 v0, 0
	s_mov_b32 s10, exec_lo
	v_and_b32_e32 v2, 0xff, v10
	s_delay_alu instid0(VALU_DEP_1)
	v_cmpx_ne_u16_e32 0, v2
	s_cbranch_execz .LBB4_10101
; %bb.10092:                            ;   in Loop: Header=BB4_9783 Depth=2
	v_bfrev_b32_e32 v0, 1
	s_mov_b32 s28, exec_lo
	v_cmpx_ne_u16_e32 0x80, v2
	s_cbranch_execz .LBB4_10100
; %bb.10093:                            ;   in Loop: Header=BB4_9783 Depth=2
	v_and_b32_e32 v0, 0x7c0000, v12
	v_bfe_u32 v2, v12, 16, 2
	s_delay_alu instid0(VALU_DEP_2) | instskip(SKIP_1) | instid1(SALU_CYCLE_1)
	v_cmp_ne_u32_e32 vcc_lo, 0x7c0000, v0
                                        ; implicit-def: $vgpr0
	s_and_saveexec_b32 s29, vcc_lo
	s_xor_b32 s29, exec_lo, s29
	s_cbranch_execz .LBB4_10097
; %bb.10094:                            ;   in Loop: Header=BB4_9783 Depth=2
	v_bfe_u32 v0, v12, 18, 5
	s_mov_b32 s40, exec_lo
	s_delay_alu instid0(VALU_DEP_1)
	v_cmpx_eq_u32_e32 0, v0
; %bb.10095:                            ;   in Loop: Header=BB4_9783 Depth=2
	v_clz_i32_u32_e32 v0, v2
	s_delay_alu instid0(VALU_DEP_1) | instskip(NEXT) | instid1(VALU_DEP_1)
	v_min_u32_e32 v0, 32, v0
	v_subrev_nc_u32_e32 v2, 29, v0
	s_delay_alu instid0(VALU_DEP_1) | instskip(NEXT) | instid1(VALU_DEP_1)
	v_lshlrev_b64_e32 v[2:3], v2, v[10:11]
	v_dual_sub_nc_u32 v0, 30, v0 :: v_dual_bitop2_b32 v2, 3, v2 bitop3:0x40
; %bb.10096:                            ;   in Loop: Header=BB4_9783 Depth=2
	s_or_b32 exec_lo, exec_lo, s40
	v_lshlrev_b32_e32 v3, 24, v10
                                        ; implicit-def: $vgpr10
	s_delay_alu instid0(VALU_DEP_1) | instskip(NEXT) | instid1(VALU_DEP_1)
	v_and_b32_e32 v3, 0x80000000, v3
	v_lshl_add_u32 v0, v0, 23, v3
	s_delay_alu instid0(VALU_DEP_1) | instskip(NEXT) | instid1(VALU_DEP_1)
	v_lshl_or_b32 v0, v2, 21, v0
                                        ; implicit-def: $vgpr2
	v_add_nc_u32_e32 v0, 0x38000000, v0
.LBB4_10097:                            ;   in Loop: Header=BB4_9783 Depth=2
	s_and_not1_saveexec_b32 s29, s29
; %bb.10098:                            ;   in Loop: Header=BB4_9783 Depth=2
	v_bfe_i32 v0, v10, 0, 8
	s_delay_alu instid0(VALU_DEP_1) | instskip(SKIP_2) | instid1(VALU_DEP_2)
	v_cmp_lt_i16_e32 vcc_lo, -1, v0
	v_cndmask_b32_e32 v0, 0xff800000, v100, vcc_lo
	v_cmp_eq_u32_e32 vcc_lo, 0, v2
	v_cndmask_b32_e32 v0, 0x7f800001, v0, vcc_lo
; %bb.10099:                            ;   in Loop: Header=BB4_9783 Depth=2
	s_or_b32 exec_lo, exec_lo, s29
.LBB4_10100:                            ;   in Loop: Header=BB4_9783 Depth=2
	s_delay_alu instid0(SALU_CYCLE_1)
	s_or_b32 exec_lo, exec_lo, s28
.LBB4_10101:                            ;   in Loop: Header=BB4_9783 Depth=2
	s_delay_alu instid0(SALU_CYCLE_1) | instskip(NEXT) | instid1(VALU_DEP_1)
	s_or_b32 exec_lo, exec_lo, s10
	v_dual_mul_f32 v2, s27, v0 :: v_dual_mov_b32 v11, v15
                                        ; implicit-def: $vgpr40
	s_mov_b32 s10, exec_lo
	s_delay_alu instid0(VALU_DEP_1) | instskip(SKIP_2) | instid1(VALU_DEP_3)
	v_and_b32_e32 v10, 0x7f800000, v2
	v_and_b32_e32 v14, 0x7fffff, v2
	v_lshrrev_b32_e32 v0, 24, v2
	v_cmpx_ne_u64_e32 0x7f800000, v[10:11]
	s_xor_b32 s28, exec_lo, s10
	s_cbranch_execz .LBB4_10115
; %bb.10102:                            ;   in Loop: Header=BB4_9783 Depth=2
	v_and_b32_e32 v10, 0x7fffffff, v2
	v_mov_b32_e32 v11, v15
	v_and_b32_e32 v0, 0x80, v0
                                        ; implicit-def: $vgpr40
	s_mov_b32 s10, exec_lo
	s_delay_alu instid0(VALU_DEP_2)
	v_cmpx_gt_u64_e32 0x47600001, v[10:11]
	s_xor_b32 s29, exec_lo, s10
	s_cbranch_execz .LBB4_10112
; %bb.10103:                            ;   in Loop: Header=BB4_9783 Depth=2
	v_mov_b32_e32 v40, 0
	s_mov_b32 s40, exec_lo
	v_cmpx_ne_u32_e32 0, v2
	s_cbranch_execz .LBB4_10111
; %bb.10104:                            ;   in Loop: Header=BB4_9783 Depth=2
	v_bfe_u32 v2, v2, 23, 8
	v_or_b32_e32 v20, 0x800000, v14
	v_mov_b32_e32 v21, v15
	s_delay_alu instid0(VALU_DEP_3) | instskip(SKIP_1) | instid1(VALU_DEP_2)
	v_sub_nc_u32_e32 v3, 0x71, v2
	v_cmp_gt_u32_e32 vcc_lo, 0x72, v2
	v_cndmask_b32_e32 v3, 0, v3, vcc_lo
	v_cmp_eq_u32_e32 vcc_lo, 0, v2
	v_cndmask_b32_e32 v20, v20, v14, vcc_lo
	s_delay_alu instid0(VALU_DEP_3) | instskip(NEXT) | instid1(VALU_DEP_1)
	v_cndmask_b32_e64 v3, v3, 0x70, vcc_lo
	v_dual_add_nc_u32 v10, 21, v3 :: v_dual_add_nc_u32 v24, 20, v3
	s_delay_alu instid0(VALU_DEP_1) | instskip(NEXT) | instid1(VALU_DEP_2)
	v_lshlrev_b64_e64 v[10:11], v10, -1
	v_lshlrev_b64_e64 v[86:87], v24, 1
	s_delay_alu instid0(VALU_DEP_2) | instskip(NEXT) | instid1(VALU_DEP_3)
	v_bfi_b32 v97, v11, 0, 0
	v_bfi_b32 v96, v10, 0, v20
	v_lshrrev_b64 v[10:11], v3, v[20:21]
	s_delay_alu instid0(VALU_DEP_2) | instskip(NEXT) | instid1(VALU_DEP_2)
	v_cmp_eq_u64_e64 s10, v[96:97], v[86:87]
	v_mov_b64_e32 v[86:87], v[10:11]
	s_and_saveexec_b32 s41, s10
; %bb.10105:                            ;   in Loop: Header=BB4_9783 Depth=2
	v_bfe_u32 v20, v10, 21, 1
	v_mov_b32_e32 v21, v15
	s_delay_alu instid0(VALU_DEP_1) | instskip(NEXT) | instid1(VALU_DEP_1)
	v_add_nc_u64_e32 v[20:21], v[10:11], v[20:21]
	v_add_nc_u64_e32 v[86:87], -1, v[20:21]
; %bb.10106:                            ;   in Loop: Header=BB4_9783 Depth=2
	s_or_b32 exec_lo, exec_lo, s41
	v_add_nc_u32_e32 v2, 0xffffff81, v2
	v_lshrrev_b32_e32 v11, 23, v10
	s_mov_b32 s10, exec_lo
	s_delay_alu instid0(VALU_DEP_2) | instskip(NEXT) | instid1(VALU_DEP_1)
	v_cndmask_b32_e64 v2, v2, 0xffffff82, vcc_lo
	v_add3_u32 v3, v3, v2, v11
	v_and_b32_e32 v2, 0x1fffff, v86
	s_delay_alu instid0(VALU_DEP_1) | instskip(NEXT) | instid1(VALU_DEP_1)
	v_dual_add_nc_u32 v20, 14, v3 :: v_dual_add_nc_u32 v14, v2, v10
                                        ; implicit-def: $vgpr10_vgpr11
                                        ; implicit-def: $vgpr2
	v_cmpx_ne_u32_e32 0, v20
	s_xor_b32 s10, exec_lo, s10
; %bb.10107:                            ;   in Loop: Header=BB4_9783 Depth=2
	s_delay_alu instid0(VALU_DEP_2) | instskip(SKIP_2) | instid1(VALU_DEP_2)
	v_cmp_lt_u64_e32 vcc_lo, 0xffffff, v[14:15]
	v_add_nc_u32_e32 v2, 15, v3
	v_cndmask_b32_e64 v3, 0, 1, vcc_lo
	v_cndmask_b32_e32 v2, v20, v2, vcc_lo
	s_delay_alu instid0(VALU_DEP_2)
	v_lshrrev_b64 v[10:11], v3, v[14:15]
; %bb.10108:                            ;   in Loop: Header=BB4_9783 Depth=2
	s_and_not1_saveexec_b32 s10, s10
; %bb.10109:                            ;   in Loop: Header=BB4_9783 Depth=2
	v_mov_b64_e32 v[10:11], v[14:15]
	v_bfe_u32 v2, v14, 23, 1
; %bb.10110:                            ;   in Loop: Header=BB4_9783 Depth=2
	s_or_b32 exec_lo, exec_lo, s10
	s_delay_alu instid0(VALU_DEP_2) | instskip(NEXT) | instid1(VALU_DEP_2)
	v_lshrrev_b64 v[10:11], 21, v[10:11]
	v_cmp_gt_i32_e32 vcc_lo, 32, v2
	v_min_i32_e32 v3, 31, v2
	v_cmp_eq_u32_e64 s10, 0, v2
	s_delay_alu instid0(VALU_DEP_4) | instskip(NEXT) | instid1(VALU_DEP_3)
	v_cndmask_b32_e32 v11, 0, v11, vcc_lo
	v_dual_cndmask_b32 v10, 3, v10 :: v_dual_lshlrev_b32 v3, 2, v3
	s_delay_alu instid0(VALU_DEP_1) | instskip(NEXT) | instid1(VALU_DEP_2)
	v_and_b32_e32 v3, 0xfc, v3
	v_cmp_eq_u64_e32 vcc_lo, 0, v[10:11]
	s_delay_alu instid0(VALU_DEP_2)
	v_and_or_b32 v2, v10, 3, v3
	s_and_b32 s10, s10, vcc_lo
	s_delay_alu instid0(VALU_DEP_1) | instid1(SALU_CYCLE_1)
	v_cndmask_b32_e64 v2, v2, 0, s10
	s_delay_alu instid0(VALU_DEP_1)
	v_or_b32_e32 v40, v2, v0
.LBB4_10111:                            ;   in Loop: Header=BB4_9783 Depth=2
	s_or_b32 exec_lo, exec_lo, s40
                                        ; implicit-def: $vgpr0
.LBB4_10112:                            ;   in Loop: Header=BB4_9783 Depth=2
	s_and_not1_saveexec_b32 s10, s29
; %bb.10113:                            ;   in Loop: Header=BB4_9783 Depth=2
	v_or_b32_e32 v40, 0x7b, v0
; %bb.10114:                            ;   in Loop: Header=BB4_9783 Depth=2
	s_or_b32 exec_lo, exec_lo, s10
                                        ; implicit-def: $vgpr2
                                        ; implicit-def: $vgpr0
.LBB4_10115:                            ;   in Loop: Header=BB4_9783 Depth=2
	s_and_not1_saveexec_b32 s10, s28
	s_cbranch_execz .LBB4_10121
; %bb.10116:                            ;   in Loop: Header=BB4_9783 Depth=2
	s_mov_b32 s28, exec_lo
                                        ; implicit-def: $vgpr40
	v_cmpx_ne_u64_e32 0, v[14:15]
	s_xor_b32 s28, exec_lo, s28
; %bb.10117:                            ;   in Loop: Header=BB4_9783 Depth=2
	v_or_b32_e32 v40, 0x7f, v0
                                        ; implicit-def: $vgpr2
; %bb.10118:                            ;   in Loop: Header=BB4_9783 Depth=2
	s_and_not1_saveexec_b32 s28, s28
; %bb.10119:                            ;   in Loop: Header=BB4_9783 Depth=2
	v_cmp_lt_i32_e32 vcc_lo, -1, v2
	v_cndmask_b32_e32 v40, 0xfc, v101, vcc_lo
; %bb.10120:                            ;   in Loop: Header=BB4_9783 Depth=2
	s_or_b32 exec_lo, exec_lo, s28
.LBB4_10121:                            ;   in Loop: Header=BB4_9783 Depth=2
	s_delay_alu instid0(SALU_CYCLE_1)
	s_or_b32 exec_lo, exec_lo, s10
	v_mov_b32_e32 v0, 0
	s_mov_b32 s10, exec_lo
	v_cmpx_lt_u32_e32 0xffffff, v12
	s_cbranch_execz .LBB4_10131
; %bb.10122:                            ;   in Loop: Header=BB4_9783 Depth=2
	v_lshrrev_b32_e32 v10, 24, v12
	v_bfrev_b32_e32 v0, 1
	s_mov_b32 s28, exec_lo
	s_delay_alu instid0(VALU_DEP_2)
	v_cmpx_ne_u32_e32 0x80, v10
	s_cbranch_execz .LBB4_10130
; %bb.10123:                            ;   in Loop: Header=BB4_9783 Depth=2
	v_and_b32_e32 v0, 0x7c000000, v12
	v_bfe_u32 v2, v12, 24, 2
	s_delay_alu instid0(VALU_DEP_2) | instskip(SKIP_1) | instid1(SALU_CYCLE_1)
	v_cmp_ne_u32_e32 vcc_lo, 0x7c000000, v0
                                        ; implicit-def: $vgpr0
	s_and_saveexec_b32 s29, vcc_lo
	s_xor_b32 s29, exec_lo, s29
	s_cbranch_execz .LBB4_10127
; %bb.10124:                            ;   in Loop: Header=BB4_9783 Depth=2
	v_bfe_u32 v0, v12, 26, 5
	s_mov_b32 s40, exec_lo
	s_delay_alu instid0(VALU_DEP_1)
	v_cmpx_eq_u32_e32 0, v0
; %bb.10125:                            ;   in Loop: Header=BB4_9783 Depth=2
	v_clz_i32_u32_e32 v0, v2
	s_delay_alu instid0(VALU_DEP_1) | instskip(NEXT) | instid1(VALU_DEP_1)
	v_min_u32_e32 v0, 32, v0
	v_subrev_nc_u32_e32 v2, 29, v0
	s_delay_alu instid0(VALU_DEP_1) | instskip(NEXT) | instid1(VALU_DEP_1)
	v_lshlrev_b64_e32 v[2:3], v2, v[10:11]
	v_dual_sub_nc_u32 v0, 30, v0 :: v_dual_bitop2_b32 v2, 3, v2 bitop3:0x40
; %bb.10126:                            ;   in Loop: Header=BB4_9783 Depth=2
	s_or_b32 exec_lo, exec_lo, s40
	v_and_b32_e32 v3, 0x80000000, v12
	s_delay_alu instid0(VALU_DEP_1) | instskip(NEXT) | instid1(VALU_DEP_1)
	v_lshl_add_u32 v0, v0, 23, v3
	v_lshl_or_b32 v0, v2, 21, v0
                                        ; implicit-def: $vgpr2
	s_delay_alu instid0(VALU_DEP_1)
	v_add_nc_u32_e32 v0, 0x38000000, v0
.LBB4_10127:                            ;   in Loop: Header=BB4_9783 Depth=2
	s_and_not1_saveexec_b32 s29, s29
; %bb.10128:                            ;   in Loop: Header=BB4_9783 Depth=2
	v_cmp_lt_i32_e32 vcc_lo, -1, v12
	v_cndmask_b32_e32 v0, 0xff800000, v100, vcc_lo
	v_cmp_eq_u32_e32 vcc_lo, 0, v2
	s_delay_alu instid0(VALU_DEP_2)
	v_cndmask_b32_e32 v0, 0x7f800001, v0, vcc_lo
; %bb.10129:                            ;   in Loop: Header=BB4_9783 Depth=2
	s_or_b32 exec_lo, exec_lo, s29
.LBB4_10130:                            ;   in Loop: Header=BB4_9783 Depth=2
	s_delay_alu instid0(SALU_CYCLE_1)
	s_or_b32 exec_lo, exec_lo, s28
.LBB4_10131:                            ;   in Loop: Header=BB4_9783 Depth=2
	s_delay_alu instid0(SALU_CYCLE_1) | instskip(NEXT) | instid1(VALU_DEP_1)
	s_or_b32 exec_lo, exec_lo, s10
	v_dual_mul_f32 v2, s27, v0 :: v_dual_mov_b32 v11, v15
                                        ; implicit-def: $vgpr41
	s_mov_b32 s10, exec_lo
	s_delay_alu instid0(VALU_DEP_1) | instskip(SKIP_2) | instid1(VALU_DEP_3)
	v_and_b32_e32 v10, 0x7f800000, v2
	v_and_b32_e32 v14, 0x7fffff, v2
	v_lshrrev_b32_e32 v0, 24, v2
	v_cmpx_ne_u64_e32 0x7f800000, v[10:11]
	s_xor_b32 s28, exec_lo, s10
	s_cbranch_execz .LBB4_10145
; %bb.10132:                            ;   in Loop: Header=BB4_9783 Depth=2
	v_and_b32_e32 v10, 0x7fffffff, v2
	v_mov_b32_e32 v11, v15
	v_and_b32_e32 v0, 0x80, v0
                                        ; implicit-def: $vgpr41
	s_mov_b32 s10, exec_lo
	s_delay_alu instid0(VALU_DEP_2)
	v_cmpx_gt_u64_e32 0x47600001, v[10:11]
	s_xor_b32 s29, exec_lo, s10
	s_cbranch_execz .LBB4_10142
; %bb.10133:                            ;   in Loop: Header=BB4_9783 Depth=2
	v_mov_b32_e32 v41, 0
	s_mov_b32 s40, exec_lo
	v_cmpx_ne_u32_e32 0, v2
	s_cbranch_execz .LBB4_10141
; %bb.10134:                            ;   in Loop: Header=BB4_9783 Depth=2
	v_bfe_u32 v2, v2, 23, 8
	v_or_b32_e32 v20, 0x800000, v14
	v_mov_b32_e32 v21, v15
	s_delay_alu instid0(VALU_DEP_3) | instskip(SKIP_1) | instid1(VALU_DEP_2)
	v_sub_nc_u32_e32 v3, 0x71, v2
	v_cmp_gt_u32_e32 vcc_lo, 0x72, v2
	v_cndmask_b32_e32 v3, 0, v3, vcc_lo
	v_cmp_eq_u32_e32 vcc_lo, 0, v2
	v_cndmask_b32_e32 v20, v20, v14, vcc_lo
	s_delay_alu instid0(VALU_DEP_3) | instskip(NEXT) | instid1(VALU_DEP_1)
	v_cndmask_b32_e64 v3, v3, 0x70, vcc_lo
	v_dual_add_nc_u32 v10, 21, v3 :: v_dual_add_nc_u32 v24, 20, v3
	s_delay_alu instid0(VALU_DEP_1) | instskip(NEXT) | instid1(VALU_DEP_2)
	v_lshlrev_b64_e64 v[10:11], v10, -1
	v_lshlrev_b64_e64 v[86:87], v24, 1
	s_delay_alu instid0(VALU_DEP_2) | instskip(NEXT) | instid1(VALU_DEP_3)
	v_bfi_b32 v97, v11, 0, 0
	v_bfi_b32 v96, v10, 0, v20
	v_lshrrev_b64 v[10:11], v3, v[20:21]
	s_delay_alu instid0(VALU_DEP_2) | instskip(NEXT) | instid1(VALU_DEP_2)
	v_cmp_eq_u64_e64 s10, v[96:97], v[86:87]
	v_mov_b64_e32 v[86:87], v[10:11]
	s_and_saveexec_b32 s41, s10
; %bb.10135:                            ;   in Loop: Header=BB4_9783 Depth=2
	v_bfe_u32 v20, v10, 21, 1
	v_mov_b32_e32 v21, v15
	s_delay_alu instid0(VALU_DEP_1) | instskip(NEXT) | instid1(VALU_DEP_1)
	v_add_nc_u64_e32 v[20:21], v[10:11], v[20:21]
	v_add_nc_u64_e32 v[86:87], -1, v[20:21]
; %bb.10136:                            ;   in Loop: Header=BB4_9783 Depth=2
	s_or_b32 exec_lo, exec_lo, s41
	v_add_nc_u32_e32 v2, 0xffffff81, v2
	v_lshrrev_b32_e32 v11, 23, v10
	s_mov_b32 s10, exec_lo
	s_delay_alu instid0(VALU_DEP_2) | instskip(NEXT) | instid1(VALU_DEP_1)
	v_cndmask_b32_e64 v2, v2, 0xffffff82, vcc_lo
	v_add3_u32 v3, v3, v2, v11
	v_and_b32_e32 v2, 0x1fffff, v86
	s_delay_alu instid0(VALU_DEP_1) | instskip(NEXT) | instid1(VALU_DEP_1)
	v_dual_add_nc_u32 v20, 14, v3 :: v_dual_add_nc_u32 v14, v2, v10
                                        ; implicit-def: $vgpr10_vgpr11
                                        ; implicit-def: $vgpr2
	v_cmpx_ne_u32_e32 0, v20
	s_xor_b32 s10, exec_lo, s10
; %bb.10137:                            ;   in Loop: Header=BB4_9783 Depth=2
	s_delay_alu instid0(VALU_DEP_2) | instskip(SKIP_2) | instid1(VALU_DEP_2)
	v_cmp_lt_u64_e32 vcc_lo, 0xffffff, v[14:15]
	v_add_nc_u32_e32 v2, 15, v3
	v_cndmask_b32_e64 v3, 0, 1, vcc_lo
	v_cndmask_b32_e32 v2, v20, v2, vcc_lo
	s_delay_alu instid0(VALU_DEP_2)
	v_lshrrev_b64 v[10:11], v3, v[14:15]
; %bb.10138:                            ;   in Loop: Header=BB4_9783 Depth=2
	s_and_not1_saveexec_b32 s10, s10
; %bb.10139:                            ;   in Loop: Header=BB4_9783 Depth=2
	v_mov_b64_e32 v[10:11], v[14:15]
	v_bfe_u32 v2, v14, 23, 1
; %bb.10140:                            ;   in Loop: Header=BB4_9783 Depth=2
	s_or_b32 exec_lo, exec_lo, s10
	s_delay_alu instid0(VALU_DEP_2) | instskip(NEXT) | instid1(VALU_DEP_2)
	v_lshrrev_b64 v[10:11], 21, v[10:11]
	v_cmp_gt_i32_e32 vcc_lo, 32, v2
	v_min_i32_e32 v3, 31, v2
	v_cmp_eq_u32_e64 s10, 0, v2
	s_delay_alu instid0(VALU_DEP_4) | instskip(NEXT) | instid1(VALU_DEP_3)
	v_cndmask_b32_e32 v11, 0, v11, vcc_lo
	v_dual_cndmask_b32 v10, 3, v10 :: v_dual_lshlrev_b32 v3, 2, v3
	s_delay_alu instid0(VALU_DEP_1) | instskip(NEXT) | instid1(VALU_DEP_2)
	v_and_b32_e32 v3, 0xfc, v3
	v_cmp_eq_u64_e32 vcc_lo, 0, v[10:11]
	s_delay_alu instid0(VALU_DEP_2)
	v_and_or_b32 v2, v10, 3, v3
	s_and_b32 s10, s10, vcc_lo
	s_delay_alu instid0(VALU_DEP_1) | instid1(SALU_CYCLE_1)
	v_cndmask_b32_e64 v2, v2, 0, s10
	s_delay_alu instid0(VALU_DEP_1)
	v_or_b32_e32 v41, v2, v0
.LBB4_10141:                            ;   in Loop: Header=BB4_9783 Depth=2
	s_or_b32 exec_lo, exec_lo, s40
                                        ; implicit-def: $vgpr0
.LBB4_10142:                            ;   in Loop: Header=BB4_9783 Depth=2
	s_and_not1_saveexec_b32 s10, s29
; %bb.10143:                            ;   in Loop: Header=BB4_9783 Depth=2
	v_or_b32_e32 v41, 0x7b, v0
; %bb.10144:                            ;   in Loop: Header=BB4_9783 Depth=2
	s_or_b32 exec_lo, exec_lo, s10
                                        ; implicit-def: $vgpr2
                                        ; implicit-def: $vgpr0
.LBB4_10145:                            ;   in Loop: Header=BB4_9783 Depth=2
	s_and_not1_saveexec_b32 s10, s28
	s_cbranch_execz .LBB4_10151
; %bb.10146:                            ;   in Loop: Header=BB4_9783 Depth=2
	s_mov_b32 s28, exec_lo
                                        ; implicit-def: $vgpr41
	v_cmpx_ne_u64_e32 0, v[14:15]
	s_xor_b32 s28, exec_lo, s28
; %bb.10147:                            ;   in Loop: Header=BB4_9783 Depth=2
	v_or_b32_e32 v41, 0x7f, v0
                                        ; implicit-def: $vgpr2
; %bb.10148:                            ;   in Loop: Header=BB4_9783 Depth=2
	s_and_not1_saveexec_b32 s28, s28
; %bb.10149:                            ;   in Loop: Header=BB4_9783 Depth=2
	v_cmp_lt_i32_e32 vcc_lo, -1, v2
	v_cndmask_b32_e32 v41, 0xfc, v101, vcc_lo
; %bb.10150:                            ;   in Loop: Header=BB4_9783 Depth=2
	s_or_b32 exec_lo, exec_lo, s28
.LBB4_10151:                            ;   in Loop: Header=BB4_9783 Depth=2
	s_delay_alu instid0(SALU_CYCLE_1) | instskip(SKIP_3) | instid1(VALU_DEP_2)
	s_or_b32 exec_lo, exec_lo, s10
	v_and_b32_e32 v2, 0xff, v13
	v_dual_mov_b32 v14, v13 :: v_dual_mov_b32 v0, 0
	s_mov_b32 s10, exec_lo
	v_cmpx_ne_u16_e32 0, v2
	s_cbranch_execz .LBB4_10161
; %bb.10152:                            ;   in Loop: Header=BB4_9783 Depth=2
	v_bfrev_b32_e32 v0, 1
	s_mov_b32 s28, exec_lo
	v_cmpx_ne_u16_e32 0x80, v2
	s_cbranch_execz .LBB4_10160
; %bb.10153:                            ;   in Loop: Header=BB4_9783 Depth=2
	v_and_b32_e32 v0, 0x7c, v13
	v_and_b32_e32 v2, 3, v13
	s_delay_alu instid0(VALU_DEP_2) | instskip(SKIP_1) | instid1(SALU_CYCLE_1)
	v_cmp_ne_u32_e32 vcc_lo, 0x7c, v0
                                        ; implicit-def: $vgpr0
	s_and_saveexec_b32 s29, vcc_lo
	s_xor_b32 s29, exec_lo, s29
	s_cbranch_execz .LBB4_10157
; %bb.10154:                            ;   in Loop: Header=BB4_9783 Depth=2
	v_bfe_u32 v0, v13, 2, 5
	s_mov_b32 s40, exec_lo
	s_delay_alu instid0(VALU_DEP_1)
	v_cmpx_eq_u32_e32 0, v0
; %bb.10155:                            ;   in Loop: Header=BB4_9783 Depth=2
	v_clz_i32_u32_e32 v0, v2
	s_delay_alu instid0(VALU_DEP_1) | instskip(NEXT) | instid1(VALU_DEP_1)
	v_min_u32_e32 v0, 32, v0
	v_subrev_nc_u32_e32 v2, 29, v0
	s_delay_alu instid0(VALU_DEP_1) | instskip(NEXT) | instid1(VALU_DEP_1)
	v_lshlrev_b64_e32 v[2:3], v2, v[14:15]
	v_dual_sub_nc_u32 v0, 30, v0 :: v_dual_bitop2_b32 v2, 3, v2 bitop3:0x40
; %bb.10156:                            ;   in Loop: Header=BB4_9783 Depth=2
	s_or_b32 exec_lo, exec_lo, s40
	v_lshlrev_b32_e32 v3, 24, v13
	s_delay_alu instid0(VALU_DEP_1) | instskip(NEXT) | instid1(VALU_DEP_1)
	v_and_b32_e32 v3, 0x80000000, v3
	v_lshl_add_u32 v0, v0, 23, v3
	s_delay_alu instid0(VALU_DEP_1) | instskip(NEXT) | instid1(VALU_DEP_1)
	v_lshl_or_b32 v0, v2, 21, v0
                                        ; implicit-def: $vgpr2
	v_add_nc_u32_e32 v0, 0x38000000, v0
.LBB4_10157:                            ;   in Loop: Header=BB4_9783 Depth=2
	s_and_not1_saveexec_b32 s29, s29
; %bb.10158:                            ;   in Loop: Header=BB4_9783 Depth=2
	v_bfe_i32 v0, v13, 0, 8
	s_delay_alu instid0(VALU_DEP_1) | instskip(SKIP_2) | instid1(VALU_DEP_2)
	v_cmp_lt_i16_e32 vcc_lo, -1, v0
	v_cndmask_b32_e32 v0, 0xff800000, v100, vcc_lo
	v_cmp_eq_u32_e32 vcc_lo, 0, v2
	v_cndmask_b32_e32 v0, 0x7f800001, v0, vcc_lo
; %bb.10159:                            ;   in Loop: Header=BB4_9783 Depth=2
	s_or_b32 exec_lo, exec_lo, s29
.LBB4_10160:                            ;   in Loop: Header=BB4_9783 Depth=2
	s_delay_alu instid0(SALU_CYCLE_1)
	s_or_b32 exec_lo, exec_lo, s28
.LBB4_10161:                            ;   in Loop: Header=BB4_9783 Depth=2
	s_delay_alu instid0(SALU_CYCLE_1) | instskip(NEXT) | instid1(VALU_DEP_1)
	s_or_b32 exec_lo, exec_lo, s10
	v_dual_mul_f32 v2, s27, v0 :: v_dual_mov_b32 v21, v15
	v_mov_b32_e32 v11, v15
                                        ; implicit-def: $vgpr42
	s_mov_b32 s10, exec_lo
	s_delay_alu instid0(VALU_DEP_2) | instskip(SKIP_2) | instid1(VALU_DEP_3)
	v_and_b32_e32 v20, 0x7f800000, v2
	v_and_b32_e32 v10, 0x7fffff, v2
	v_lshrrev_b32_e32 v0, 24, v2
	v_cmpx_ne_u64_e32 0x7f800000, v[20:21]
	s_xor_b32 s28, exec_lo, s10
	s_cbranch_execz .LBB4_10175
; %bb.10162:                            ;   in Loop: Header=BB4_9783 Depth=2
	v_and_b32_e32 v20, 0x7fffffff, v2
	v_mov_b32_e32 v21, v15
	v_and_b32_e32 v0, 0x80, v0
                                        ; implicit-def: $vgpr42
	s_mov_b32 s10, exec_lo
	s_delay_alu instid0(VALU_DEP_2)
	v_cmpx_gt_u64_e32 0x47600001, v[20:21]
	s_xor_b32 s29, exec_lo, s10
	s_cbranch_execz .LBB4_10172
; %bb.10163:                            ;   in Loop: Header=BB4_9783 Depth=2
	v_mov_b32_e32 v42, 0
	s_mov_b32 s40, exec_lo
	v_cmpx_ne_u32_e32 0, v2
	s_cbranch_execz .LBB4_10171
; %bb.10164:                            ;   in Loop: Header=BB4_9783 Depth=2
	v_bfe_u32 v2, v2, 23, 8
	v_or_b32_e32 v24, 0x800000, v10
	s_delay_alu instid0(VALU_DEP_2) | instskip(SKIP_1) | instid1(VALU_DEP_2)
	v_sub_nc_u32_e32 v3, 0x71, v2
	v_cmp_gt_u32_e32 vcc_lo, 0x72, v2
	v_cndmask_b32_e32 v3, 0, v3, vcc_lo
	v_cmp_eq_u32_e32 vcc_lo, 0, v2
	v_cndmask_b32_e32 v10, v24, v10, vcc_lo
	s_delay_alu instid0(VALU_DEP_3) | instskip(NEXT) | instid1(VALU_DEP_1)
	v_cndmask_b32_e64 v3, v3, 0x70, vcc_lo
	v_dual_add_nc_u32 v20, 21, v3 :: v_dual_add_nc_u32 v25, 20, v3
	s_delay_alu instid0(VALU_DEP_1) | instskip(NEXT) | instid1(VALU_DEP_2)
	v_lshlrev_b64_e64 v[20:21], v20, -1
	v_lshlrev_b64_e64 v[86:87], v25, 1
	s_delay_alu instid0(VALU_DEP_2) | instskip(SKIP_1) | instid1(VALU_DEP_4)
	v_bfi_b32 v20, v20, 0, v10
	v_lshrrev_b64 v[10:11], v3, v[10:11]
	v_bfi_b32 v21, v21, 0, 0
	s_delay_alu instid0(VALU_DEP_1) | instskip(NEXT) | instid1(VALU_DEP_3)
	v_cmp_eq_u64_e64 s10, v[20:21], v[86:87]
	v_mov_b64_e32 v[86:87], v[10:11]
	s_and_saveexec_b32 s41, s10
; %bb.10165:                            ;   in Loop: Header=BB4_9783 Depth=2
	v_bfe_u32 v20, v10, 21, 1
	v_mov_b32_e32 v21, v15
	s_delay_alu instid0(VALU_DEP_1) | instskip(NEXT) | instid1(VALU_DEP_1)
	v_add_nc_u64_e32 v[20:21], v[10:11], v[20:21]
	v_add_nc_u64_e32 v[86:87], -1, v[20:21]
; %bb.10166:                            ;   in Loop: Header=BB4_9783 Depth=2
	s_or_b32 exec_lo, exec_lo, s41
	v_add_nc_u32_e32 v2, 0xffffff81, v2
	v_lshrrev_b32_e32 v11, 23, v10
	s_mov_b32 s10, exec_lo
	s_delay_alu instid0(VALU_DEP_2) | instskip(NEXT) | instid1(VALU_DEP_1)
	v_cndmask_b32_e64 v2, v2, 0xffffff82, vcc_lo
	v_add3_u32 v3, v3, v2, v11
	v_and_b32_e32 v2, 0x1fffff, v86
	s_delay_alu instid0(VALU_DEP_2) | instskip(NEXT) | instid1(VALU_DEP_2)
	v_dual_mov_b32 v11, v15 :: v_dual_add_nc_u32 v20, 14, v3
	v_add_nc_u32_e32 v10, v2, v10
                                        ; implicit-def: $vgpr2
	s_delay_alu instid0(VALU_DEP_2)
	v_cmpx_ne_u32_e32 0, v20
	s_xor_b32 s10, exec_lo, s10
; %bb.10167:                            ;   in Loop: Header=BB4_9783 Depth=2
	s_delay_alu instid0(VALU_DEP_2) | instskip(SKIP_2) | instid1(VALU_DEP_2)
	v_cmp_lt_u64_e32 vcc_lo, 0xffffff, v[10:11]
	v_add_nc_u32_e32 v2, 15, v3
	v_cndmask_b32_e64 v3, 0, 1, vcc_lo
	v_cndmask_b32_e32 v2, v20, v2, vcc_lo
	s_delay_alu instid0(VALU_DEP_2)
	v_lshrrev_b64 v[10:11], v3, v[10:11]
; %bb.10168:                            ;   in Loop: Header=BB4_9783 Depth=2
	s_and_not1_saveexec_b32 s10, s10
; %bb.10169:                            ;   in Loop: Header=BB4_9783 Depth=2
	s_delay_alu instid0(VALU_DEP_1)
	v_bfe_u32 v2, v10, 23, 1
; %bb.10170:                            ;   in Loop: Header=BB4_9783 Depth=2
	s_or_b32 exec_lo, exec_lo, s10
	s_delay_alu instid0(VALU_DEP_2) | instskip(NEXT) | instid1(VALU_DEP_2)
	v_lshrrev_b64 v[10:11], 21, v[10:11]
	v_cmp_gt_i32_e32 vcc_lo, 32, v2
	v_min_i32_e32 v3, 31, v2
	v_cmp_eq_u32_e64 s10, 0, v2
	s_delay_alu instid0(VALU_DEP_4) | instskip(NEXT) | instid1(VALU_DEP_3)
	v_cndmask_b32_e32 v11, 0, v11, vcc_lo
	v_dual_cndmask_b32 v10, 3, v10 :: v_dual_lshlrev_b32 v3, 2, v3
	s_delay_alu instid0(VALU_DEP_1) | instskip(NEXT) | instid1(VALU_DEP_2)
	v_and_b32_e32 v3, 0xfc, v3
	v_cmp_eq_u64_e32 vcc_lo, 0, v[10:11]
	s_delay_alu instid0(VALU_DEP_2)
	v_and_or_b32 v2, v10, 3, v3
	s_and_b32 s10, s10, vcc_lo
	s_delay_alu instid0(VALU_DEP_1) | instid1(SALU_CYCLE_1)
	v_cndmask_b32_e64 v2, v2, 0, s10
	s_delay_alu instid0(VALU_DEP_1)
	v_or_b32_e32 v42, v2, v0
.LBB4_10171:                            ;   in Loop: Header=BB4_9783 Depth=2
	s_or_b32 exec_lo, exec_lo, s40
                                        ; implicit-def: $vgpr0
.LBB4_10172:                            ;   in Loop: Header=BB4_9783 Depth=2
	s_and_not1_saveexec_b32 s10, s29
; %bb.10173:                            ;   in Loop: Header=BB4_9783 Depth=2
	v_or_b32_e32 v42, 0x7b, v0
; %bb.10174:                            ;   in Loop: Header=BB4_9783 Depth=2
	s_or_b32 exec_lo, exec_lo, s10
                                        ; implicit-def: $vgpr2
                                        ; implicit-def: $vgpr10_vgpr11
                                        ; implicit-def: $vgpr0
.LBB4_10175:                            ;   in Loop: Header=BB4_9783 Depth=2
	s_and_not1_saveexec_b32 s10, s28
	s_cbranch_execz .LBB4_10181
; %bb.10176:                            ;   in Loop: Header=BB4_9783 Depth=2
	s_mov_b32 s28, exec_lo
                                        ; implicit-def: $vgpr42
	v_cmpx_ne_u64_e32 0, v[10:11]
	s_xor_b32 s28, exec_lo, s28
; %bb.10177:                            ;   in Loop: Header=BB4_9783 Depth=2
	v_or_b32_e32 v42, 0x7f, v0
                                        ; implicit-def: $vgpr2
; %bb.10178:                            ;   in Loop: Header=BB4_9783 Depth=2
	s_and_not1_saveexec_b32 s28, s28
; %bb.10179:                            ;   in Loop: Header=BB4_9783 Depth=2
	v_cmp_lt_i32_e32 vcc_lo, -1, v2
	v_cndmask_b32_e32 v42, 0xfc, v101, vcc_lo
; %bb.10180:                            ;   in Loop: Header=BB4_9783 Depth=2
	s_or_b32 exec_lo, exec_lo, s28
.LBB4_10181:                            ;   in Loop: Header=BB4_9783 Depth=2
	s_delay_alu instid0(SALU_CYCLE_1) | instskip(SKIP_3) | instid1(VALU_DEP_2)
	s_or_b32 exec_lo, exec_lo, s10
	v_lshrrev_b16 v10, 8, v14
	v_mov_b32_e32 v2, 0
	s_mov_b32 s10, exec_lo
	v_cmpx_ne_u16_e32 0, v10
	s_cbranch_execz .LBB4_10191
; %bb.10182:                            ;   in Loop: Header=BB4_9783 Depth=2
	v_bfrev_b32_e32 v2, 1
	s_mov_b32 s28, exec_lo
	v_cmpx_ne_u16_e32 0x80, v10
	s_cbranch_execz .LBB4_10190
; %bb.10183:                            ;   in Loop: Header=BB4_9783 Depth=2
	v_and_b32_e32 v3, 0xffff, v10
	s_delay_alu instid0(VALU_DEP_1) | instskip(SKIP_1) | instid1(VALU_DEP_2)
	v_and_b32_e32 v2, 0x7c, v3
	v_and_b32_e32 v0, 3, v3
	v_cmp_ne_u32_e32 vcc_lo, 0x7c, v2
                                        ; implicit-def: $vgpr2
	s_and_saveexec_b32 s29, vcc_lo
	s_delay_alu instid0(SALU_CYCLE_1)
	s_xor_b32 s29, exec_lo, s29
	s_cbranch_execz .LBB4_10187
; %bb.10184:                            ;   in Loop: Header=BB4_9783 Depth=2
	v_bfe_u32 v2, v3, 2, 5
	s_mov_b32 s40, exec_lo
	s_delay_alu instid0(VALU_DEP_1)
	v_cmpx_eq_u32_e32 0, v2
; %bb.10185:                            ;   in Loop: Header=BB4_9783 Depth=2
	v_clz_i32_u32_e32 v0, v0
	s_delay_alu instid0(VALU_DEP_1) | instskip(SKIP_1) | instid1(VALU_DEP_2)
	v_min_u32_e32 v0, 32, v0
	v_mov_b32_e32 v11, v15
	v_subrev_nc_u32_e32 v2, 29, v0
	s_delay_alu instid0(VALU_DEP_1) | instskip(NEXT) | instid1(VALU_DEP_1)
	v_lshlrev_b64_e32 v[10:11], v2, v[10:11]
	v_dual_sub_nc_u32 v2, 30, v0 :: v_dual_bitop2_b32 v0, 3, v10 bitop3:0x40
; %bb.10186:                            ;   in Loop: Header=BB4_9783 Depth=2
	s_or_b32 exec_lo, exec_lo, s40
	v_lshlrev_b32_e32 v3, 16, v14
	s_delay_alu instid0(VALU_DEP_1) | instskip(NEXT) | instid1(VALU_DEP_1)
	v_and_b32_e32 v3, 0x80000000, v3
	v_lshl_add_u32 v2, v2, 23, v3
	s_delay_alu instid0(VALU_DEP_1) | instskip(NEXT) | instid1(VALU_DEP_1)
	v_lshl_or_b32 v0, v0, 21, v2
	v_add_nc_u32_e32 v2, 0x38000000, v0
                                        ; implicit-def: $vgpr0
.LBB4_10187:                            ;   in Loop: Header=BB4_9783 Depth=2
	s_and_not1_saveexec_b32 s29, s29
; %bb.10188:                            ;   in Loop: Header=BB4_9783 Depth=2
	v_cmp_lt_i16_e32 vcc_lo, -1, v14
	v_cndmask_b32_e32 v2, 0xff800000, v100, vcc_lo
	v_cmp_eq_u32_e32 vcc_lo, 0, v0
	s_delay_alu instid0(VALU_DEP_2)
	v_cndmask_b32_e32 v2, 0x7f800001, v2, vcc_lo
; %bb.10189:                            ;   in Loop: Header=BB4_9783 Depth=2
	s_or_b32 exec_lo, exec_lo, s29
.LBB4_10190:                            ;   in Loop: Header=BB4_9783 Depth=2
	s_delay_alu instid0(SALU_CYCLE_1)
	s_or_b32 exec_lo, exec_lo, s28
.LBB4_10191:                            ;   in Loop: Header=BB4_9783 Depth=2
	s_delay_alu instid0(SALU_CYCLE_1) | instskip(NEXT) | instid1(VALU_DEP_1)
	s_or_b32 exec_lo, exec_lo, s10
	v_dual_mul_f32 v2, s27, v2 :: v_dual_mov_b32 v11, v15
                                        ; implicit-def: $vgpr43
	s_mov_b32 s10, exec_lo
	s_delay_alu instid0(VALU_DEP_1) | instskip(SKIP_2) | instid1(VALU_DEP_3)
	v_and_b32_e32 v10, 0x7f800000, v2
	v_and_b32_e32 v14, 0x7fffff, v2
	v_lshrrev_b32_e32 v0, 24, v2
	v_cmpx_ne_u64_e32 0x7f800000, v[10:11]
	s_xor_b32 s28, exec_lo, s10
	s_cbranch_execz .LBB4_10205
; %bb.10192:                            ;   in Loop: Header=BB4_9783 Depth=2
	v_and_b32_e32 v10, 0x7fffffff, v2
	v_mov_b32_e32 v11, v15
	v_and_b32_e32 v0, 0x80, v0
                                        ; implicit-def: $vgpr43
	s_mov_b32 s10, exec_lo
	s_delay_alu instid0(VALU_DEP_2)
	v_cmpx_gt_u64_e32 0x47600001, v[10:11]
	s_xor_b32 s29, exec_lo, s10
	s_cbranch_execz .LBB4_10202
; %bb.10193:                            ;   in Loop: Header=BB4_9783 Depth=2
	v_mov_b32_e32 v43, 0
	s_mov_b32 s40, exec_lo
	v_cmpx_ne_u32_e32 0, v2
	s_cbranch_execz .LBB4_10201
; %bb.10194:                            ;   in Loop: Header=BB4_9783 Depth=2
	v_bfe_u32 v2, v2, 23, 8
	v_or_b32_e32 v20, 0x800000, v14
	v_mov_b32_e32 v21, v15
	s_delay_alu instid0(VALU_DEP_3) | instskip(SKIP_1) | instid1(VALU_DEP_2)
	v_sub_nc_u32_e32 v3, 0x71, v2
	v_cmp_gt_u32_e32 vcc_lo, 0x72, v2
	v_cndmask_b32_e32 v3, 0, v3, vcc_lo
	v_cmp_eq_u32_e32 vcc_lo, 0, v2
	v_cndmask_b32_e32 v20, v20, v14, vcc_lo
	s_delay_alu instid0(VALU_DEP_3) | instskip(NEXT) | instid1(VALU_DEP_1)
	v_cndmask_b32_e64 v3, v3, 0x70, vcc_lo
	v_dual_add_nc_u32 v10, 21, v3 :: v_dual_add_nc_u32 v24, 20, v3
	s_delay_alu instid0(VALU_DEP_1) | instskip(NEXT) | instid1(VALU_DEP_2)
	v_lshlrev_b64_e64 v[10:11], v10, -1
	v_lshlrev_b64_e64 v[86:87], v24, 1
	s_delay_alu instid0(VALU_DEP_2) | instskip(NEXT) | instid1(VALU_DEP_3)
	v_bfi_b32 v97, v11, 0, 0
	v_bfi_b32 v96, v10, 0, v20
	v_lshrrev_b64 v[10:11], v3, v[20:21]
	s_delay_alu instid0(VALU_DEP_2) | instskip(NEXT) | instid1(VALU_DEP_2)
	v_cmp_eq_u64_e64 s10, v[96:97], v[86:87]
	v_mov_b64_e32 v[86:87], v[10:11]
	s_and_saveexec_b32 s41, s10
; %bb.10195:                            ;   in Loop: Header=BB4_9783 Depth=2
	v_bfe_u32 v20, v10, 21, 1
	v_mov_b32_e32 v21, v15
	s_delay_alu instid0(VALU_DEP_1) | instskip(NEXT) | instid1(VALU_DEP_1)
	v_add_nc_u64_e32 v[20:21], v[10:11], v[20:21]
	v_add_nc_u64_e32 v[86:87], -1, v[20:21]
; %bb.10196:                            ;   in Loop: Header=BB4_9783 Depth=2
	s_or_b32 exec_lo, exec_lo, s41
	v_add_nc_u32_e32 v2, 0xffffff81, v2
	v_lshrrev_b32_e32 v11, 23, v10
	s_mov_b32 s10, exec_lo
	s_delay_alu instid0(VALU_DEP_2) | instskip(NEXT) | instid1(VALU_DEP_1)
	v_cndmask_b32_e64 v2, v2, 0xffffff82, vcc_lo
	v_add3_u32 v3, v3, v2, v11
	v_and_b32_e32 v2, 0x1fffff, v86
	s_delay_alu instid0(VALU_DEP_1) | instskip(NEXT) | instid1(VALU_DEP_1)
	v_dual_add_nc_u32 v20, 14, v3 :: v_dual_add_nc_u32 v14, v2, v10
                                        ; implicit-def: $vgpr10_vgpr11
                                        ; implicit-def: $vgpr2
	v_cmpx_ne_u32_e32 0, v20
	s_xor_b32 s10, exec_lo, s10
; %bb.10197:                            ;   in Loop: Header=BB4_9783 Depth=2
	s_delay_alu instid0(VALU_DEP_2) | instskip(SKIP_2) | instid1(VALU_DEP_2)
	v_cmp_lt_u64_e32 vcc_lo, 0xffffff, v[14:15]
	v_add_nc_u32_e32 v2, 15, v3
	v_cndmask_b32_e64 v3, 0, 1, vcc_lo
	v_cndmask_b32_e32 v2, v20, v2, vcc_lo
	s_delay_alu instid0(VALU_DEP_2)
	v_lshrrev_b64 v[10:11], v3, v[14:15]
; %bb.10198:                            ;   in Loop: Header=BB4_9783 Depth=2
	s_and_not1_saveexec_b32 s10, s10
; %bb.10199:                            ;   in Loop: Header=BB4_9783 Depth=2
	v_mov_b64_e32 v[10:11], v[14:15]
	v_bfe_u32 v2, v14, 23, 1
; %bb.10200:                            ;   in Loop: Header=BB4_9783 Depth=2
	s_or_b32 exec_lo, exec_lo, s10
	s_delay_alu instid0(VALU_DEP_2) | instskip(NEXT) | instid1(VALU_DEP_2)
	v_lshrrev_b64 v[10:11], 21, v[10:11]
	v_cmp_gt_i32_e32 vcc_lo, 32, v2
	v_min_i32_e32 v3, 31, v2
	v_cmp_eq_u32_e64 s10, 0, v2
	s_delay_alu instid0(VALU_DEP_4) | instskip(NEXT) | instid1(VALU_DEP_3)
	v_cndmask_b32_e32 v11, 0, v11, vcc_lo
	v_dual_cndmask_b32 v10, 3, v10 :: v_dual_lshlrev_b32 v3, 2, v3
	s_delay_alu instid0(VALU_DEP_1) | instskip(NEXT) | instid1(VALU_DEP_2)
	v_and_b32_e32 v3, 0xfc, v3
	v_cmp_eq_u64_e32 vcc_lo, 0, v[10:11]
	s_delay_alu instid0(VALU_DEP_2)
	v_and_or_b32 v2, v10, 3, v3
	s_and_b32 s10, s10, vcc_lo
	s_delay_alu instid0(VALU_DEP_1) | instid1(SALU_CYCLE_1)
	v_cndmask_b32_e64 v2, v2, 0, s10
	s_delay_alu instid0(VALU_DEP_1)
	v_or_b32_e32 v43, v2, v0
.LBB4_10201:                            ;   in Loop: Header=BB4_9783 Depth=2
	s_or_b32 exec_lo, exec_lo, s40
                                        ; implicit-def: $vgpr0
.LBB4_10202:                            ;   in Loop: Header=BB4_9783 Depth=2
	s_and_not1_saveexec_b32 s10, s29
; %bb.10203:                            ;   in Loop: Header=BB4_9783 Depth=2
	v_or_b32_e32 v43, 0x7b, v0
; %bb.10204:                            ;   in Loop: Header=BB4_9783 Depth=2
	s_or_b32 exec_lo, exec_lo, s10
                                        ; implicit-def: $vgpr2
                                        ; implicit-def: $vgpr0
.LBB4_10205:                            ;   in Loop: Header=BB4_9783 Depth=2
	s_and_not1_saveexec_b32 s10, s28
	s_cbranch_execz .LBB4_10211
; %bb.10206:                            ;   in Loop: Header=BB4_9783 Depth=2
	s_mov_b32 s28, exec_lo
                                        ; implicit-def: $vgpr43
	v_cmpx_ne_u64_e32 0, v[14:15]
	s_xor_b32 s28, exec_lo, s28
; %bb.10207:                            ;   in Loop: Header=BB4_9783 Depth=2
	v_or_b32_e32 v43, 0x7f, v0
                                        ; implicit-def: $vgpr2
; %bb.10208:                            ;   in Loop: Header=BB4_9783 Depth=2
	s_and_not1_saveexec_b32 s28, s28
; %bb.10209:                            ;   in Loop: Header=BB4_9783 Depth=2
	v_cmp_lt_i32_e32 vcc_lo, -1, v2
	v_cndmask_b32_e32 v43, 0xfc, v101, vcc_lo
; %bb.10210:                            ;   in Loop: Header=BB4_9783 Depth=2
	s_or_b32 exec_lo, exec_lo, s28
.LBB4_10211:                            ;   in Loop: Header=BB4_9783 Depth=2
	s_delay_alu instid0(SALU_CYCLE_1) | instskip(SKIP_2) | instid1(VALU_DEP_1)
	s_or_b32 exec_lo, exec_lo, s10
	v_dual_lshrrev_b32 v10, 16, v13 :: v_dual_mov_b32 v0, 0
	s_mov_b32 s10, exec_lo
	v_and_b32_e32 v2, 0xff, v10
	s_delay_alu instid0(VALU_DEP_1)
	v_cmpx_ne_u16_e32 0, v2
	s_cbranch_execz .LBB4_10221
; %bb.10212:                            ;   in Loop: Header=BB4_9783 Depth=2
	v_bfrev_b32_e32 v0, 1
	s_mov_b32 s28, exec_lo
	v_cmpx_ne_u16_e32 0x80, v2
	s_cbranch_execz .LBB4_10220
; %bb.10213:                            ;   in Loop: Header=BB4_9783 Depth=2
	v_and_b32_e32 v0, 0x7c0000, v13
	v_bfe_u32 v2, v13, 16, 2
	s_delay_alu instid0(VALU_DEP_2) | instskip(SKIP_1) | instid1(SALU_CYCLE_1)
	v_cmp_ne_u32_e32 vcc_lo, 0x7c0000, v0
                                        ; implicit-def: $vgpr0
	s_and_saveexec_b32 s29, vcc_lo
	s_xor_b32 s29, exec_lo, s29
	s_cbranch_execz .LBB4_10217
; %bb.10214:                            ;   in Loop: Header=BB4_9783 Depth=2
	v_bfe_u32 v0, v13, 18, 5
	s_mov_b32 s40, exec_lo
	s_delay_alu instid0(VALU_DEP_1)
	v_cmpx_eq_u32_e32 0, v0
; %bb.10215:                            ;   in Loop: Header=BB4_9783 Depth=2
	v_clz_i32_u32_e32 v0, v2
	s_delay_alu instid0(VALU_DEP_1) | instskip(NEXT) | instid1(VALU_DEP_1)
	v_min_u32_e32 v0, 32, v0
	v_subrev_nc_u32_e32 v2, 29, v0
	s_delay_alu instid0(VALU_DEP_1) | instskip(NEXT) | instid1(VALU_DEP_1)
	v_lshlrev_b64_e32 v[2:3], v2, v[10:11]
	v_dual_sub_nc_u32 v0, 30, v0 :: v_dual_bitop2_b32 v2, 3, v2 bitop3:0x40
; %bb.10216:                            ;   in Loop: Header=BB4_9783 Depth=2
	s_or_b32 exec_lo, exec_lo, s40
	v_lshlrev_b32_e32 v3, 24, v10
                                        ; implicit-def: $vgpr10
	s_delay_alu instid0(VALU_DEP_1) | instskip(NEXT) | instid1(VALU_DEP_1)
	v_and_b32_e32 v3, 0x80000000, v3
	v_lshl_add_u32 v0, v0, 23, v3
	s_delay_alu instid0(VALU_DEP_1) | instskip(NEXT) | instid1(VALU_DEP_1)
	v_lshl_or_b32 v0, v2, 21, v0
                                        ; implicit-def: $vgpr2
	v_add_nc_u32_e32 v0, 0x38000000, v0
.LBB4_10217:                            ;   in Loop: Header=BB4_9783 Depth=2
	s_and_not1_saveexec_b32 s29, s29
; %bb.10218:                            ;   in Loop: Header=BB4_9783 Depth=2
	v_bfe_i32 v0, v10, 0, 8
	s_delay_alu instid0(VALU_DEP_1) | instskip(SKIP_2) | instid1(VALU_DEP_2)
	v_cmp_lt_i16_e32 vcc_lo, -1, v0
	v_cndmask_b32_e32 v0, 0xff800000, v100, vcc_lo
	v_cmp_eq_u32_e32 vcc_lo, 0, v2
	v_cndmask_b32_e32 v0, 0x7f800001, v0, vcc_lo
; %bb.10219:                            ;   in Loop: Header=BB4_9783 Depth=2
	s_or_b32 exec_lo, exec_lo, s29
.LBB4_10220:                            ;   in Loop: Header=BB4_9783 Depth=2
	s_delay_alu instid0(SALU_CYCLE_1)
	s_or_b32 exec_lo, exec_lo, s28
.LBB4_10221:                            ;   in Loop: Header=BB4_9783 Depth=2
	s_delay_alu instid0(SALU_CYCLE_1) | instskip(NEXT) | instid1(VALU_DEP_1)
	s_or_b32 exec_lo, exec_lo, s10
	v_dual_mul_f32 v2, s27, v0 :: v_dual_mov_b32 v11, v15
                                        ; implicit-def: $vgpr44
	s_mov_b32 s10, exec_lo
	s_delay_alu instid0(VALU_DEP_1) | instskip(SKIP_2) | instid1(VALU_DEP_3)
	v_and_b32_e32 v10, 0x7f800000, v2
	v_and_b32_e32 v14, 0x7fffff, v2
	v_lshrrev_b32_e32 v0, 24, v2
	v_cmpx_ne_u64_e32 0x7f800000, v[10:11]
	s_xor_b32 s28, exec_lo, s10
	s_cbranch_execz .LBB4_10235
; %bb.10222:                            ;   in Loop: Header=BB4_9783 Depth=2
	v_and_b32_e32 v10, 0x7fffffff, v2
	v_mov_b32_e32 v11, v15
	v_and_b32_e32 v0, 0x80, v0
                                        ; implicit-def: $vgpr44
	s_mov_b32 s10, exec_lo
	s_delay_alu instid0(VALU_DEP_2)
	v_cmpx_gt_u64_e32 0x47600001, v[10:11]
	s_xor_b32 s29, exec_lo, s10
	s_cbranch_execz .LBB4_10232
; %bb.10223:                            ;   in Loop: Header=BB4_9783 Depth=2
	v_mov_b32_e32 v44, 0
	s_mov_b32 s40, exec_lo
	v_cmpx_ne_u32_e32 0, v2
	s_cbranch_execz .LBB4_10231
; %bb.10224:                            ;   in Loop: Header=BB4_9783 Depth=2
	v_bfe_u32 v2, v2, 23, 8
	v_or_b32_e32 v20, 0x800000, v14
	v_mov_b32_e32 v21, v15
	s_delay_alu instid0(VALU_DEP_3) | instskip(SKIP_1) | instid1(VALU_DEP_2)
	v_sub_nc_u32_e32 v3, 0x71, v2
	v_cmp_gt_u32_e32 vcc_lo, 0x72, v2
	v_cndmask_b32_e32 v3, 0, v3, vcc_lo
	v_cmp_eq_u32_e32 vcc_lo, 0, v2
	v_cndmask_b32_e32 v20, v20, v14, vcc_lo
	s_delay_alu instid0(VALU_DEP_3) | instskip(NEXT) | instid1(VALU_DEP_1)
	v_cndmask_b32_e64 v3, v3, 0x70, vcc_lo
	v_dual_add_nc_u32 v10, 21, v3 :: v_dual_add_nc_u32 v24, 20, v3
	s_delay_alu instid0(VALU_DEP_1) | instskip(NEXT) | instid1(VALU_DEP_2)
	v_lshlrev_b64_e64 v[10:11], v10, -1
	v_lshlrev_b64_e64 v[86:87], v24, 1
	s_delay_alu instid0(VALU_DEP_2) | instskip(NEXT) | instid1(VALU_DEP_3)
	v_bfi_b32 v97, v11, 0, 0
	v_bfi_b32 v96, v10, 0, v20
	v_lshrrev_b64 v[10:11], v3, v[20:21]
	s_delay_alu instid0(VALU_DEP_2) | instskip(NEXT) | instid1(VALU_DEP_2)
	v_cmp_eq_u64_e64 s10, v[96:97], v[86:87]
	v_mov_b64_e32 v[86:87], v[10:11]
	s_and_saveexec_b32 s41, s10
; %bb.10225:                            ;   in Loop: Header=BB4_9783 Depth=2
	v_bfe_u32 v20, v10, 21, 1
	v_mov_b32_e32 v21, v15
	s_delay_alu instid0(VALU_DEP_1) | instskip(NEXT) | instid1(VALU_DEP_1)
	v_add_nc_u64_e32 v[20:21], v[10:11], v[20:21]
	v_add_nc_u64_e32 v[86:87], -1, v[20:21]
; %bb.10226:                            ;   in Loop: Header=BB4_9783 Depth=2
	s_or_b32 exec_lo, exec_lo, s41
	v_add_nc_u32_e32 v2, 0xffffff81, v2
	v_lshrrev_b32_e32 v11, 23, v10
	s_mov_b32 s10, exec_lo
	s_delay_alu instid0(VALU_DEP_2) | instskip(NEXT) | instid1(VALU_DEP_1)
	v_cndmask_b32_e64 v2, v2, 0xffffff82, vcc_lo
	v_add3_u32 v3, v3, v2, v11
	v_and_b32_e32 v2, 0x1fffff, v86
	s_delay_alu instid0(VALU_DEP_1) | instskip(NEXT) | instid1(VALU_DEP_1)
	v_dual_add_nc_u32 v20, 14, v3 :: v_dual_add_nc_u32 v14, v2, v10
                                        ; implicit-def: $vgpr10_vgpr11
                                        ; implicit-def: $vgpr2
	v_cmpx_ne_u32_e32 0, v20
	s_xor_b32 s10, exec_lo, s10
; %bb.10227:                            ;   in Loop: Header=BB4_9783 Depth=2
	s_delay_alu instid0(VALU_DEP_2) | instskip(SKIP_2) | instid1(VALU_DEP_2)
	v_cmp_lt_u64_e32 vcc_lo, 0xffffff, v[14:15]
	v_add_nc_u32_e32 v2, 15, v3
	v_cndmask_b32_e64 v3, 0, 1, vcc_lo
	v_cndmask_b32_e32 v2, v20, v2, vcc_lo
	s_delay_alu instid0(VALU_DEP_2)
	v_lshrrev_b64 v[10:11], v3, v[14:15]
; %bb.10228:                            ;   in Loop: Header=BB4_9783 Depth=2
	s_and_not1_saveexec_b32 s10, s10
; %bb.10229:                            ;   in Loop: Header=BB4_9783 Depth=2
	v_mov_b64_e32 v[10:11], v[14:15]
	v_bfe_u32 v2, v14, 23, 1
; %bb.10230:                            ;   in Loop: Header=BB4_9783 Depth=2
	s_or_b32 exec_lo, exec_lo, s10
	s_delay_alu instid0(VALU_DEP_2) | instskip(NEXT) | instid1(VALU_DEP_2)
	v_lshrrev_b64 v[10:11], 21, v[10:11]
	v_cmp_gt_i32_e32 vcc_lo, 32, v2
	v_min_i32_e32 v3, 31, v2
	v_cmp_eq_u32_e64 s10, 0, v2
	s_delay_alu instid0(VALU_DEP_4) | instskip(NEXT) | instid1(VALU_DEP_3)
	v_cndmask_b32_e32 v11, 0, v11, vcc_lo
	v_dual_cndmask_b32 v10, 3, v10 :: v_dual_lshlrev_b32 v3, 2, v3
	s_delay_alu instid0(VALU_DEP_1) | instskip(NEXT) | instid1(VALU_DEP_2)
	v_and_b32_e32 v3, 0xfc, v3
	v_cmp_eq_u64_e32 vcc_lo, 0, v[10:11]
	s_delay_alu instid0(VALU_DEP_2)
	v_and_or_b32 v2, v10, 3, v3
	s_and_b32 s10, s10, vcc_lo
	s_delay_alu instid0(VALU_DEP_1) | instid1(SALU_CYCLE_1)
	v_cndmask_b32_e64 v2, v2, 0, s10
	s_delay_alu instid0(VALU_DEP_1)
	v_or_b32_e32 v44, v2, v0
.LBB4_10231:                            ;   in Loop: Header=BB4_9783 Depth=2
	s_or_b32 exec_lo, exec_lo, s40
                                        ; implicit-def: $vgpr0
.LBB4_10232:                            ;   in Loop: Header=BB4_9783 Depth=2
	s_and_not1_saveexec_b32 s10, s29
; %bb.10233:                            ;   in Loop: Header=BB4_9783 Depth=2
	v_or_b32_e32 v44, 0x7b, v0
; %bb.10234:                            ;   in Loop: Header=BB4_9783 Depth=2
	s_or_b32 exec_lo, exec_lo, s10
                                        ; implicit-def: $vgpr2
                                        ; implicit-def: $vgpr0
.LBB4_10235:                            ;   in Loop: Header=BB4_9783 Depth=2
	s_and_not1_saveexec_b32 s10, s28
	s_cbranch_execz .LBB4_10241
; %bb.10236:                            ;   in Loop: Header=BB4_9783 Depth=2
	s_mov_b32 s28, exec_lo
                                        ; implicit-def: $vgpr44
	v_cmpx_ne_u64_e32 0, v[14:15]
	s_xor_b32 s28, exec_lo, s28
; %bb.10237:                            ;   in Loop: Header=BB4_9783 Depth=2
	v_or_b32_e32 v44, 0x7f, v0
                                        ; implicit-def: $vgpr2
; %bb.10238:                            ;   in Loop: Header=BB4_9783 Depth=2
	s_and_not1_saveexec_b32 s28, s28
; %bb.10239:                            ;   in Loop: Header=BB4_9783 Depth=2
	v_cmp_lt_i32_e32 vcc_lo, -1, v2
	v_cndmask_b32_e32 v44, 0xfc, v101, vcc_lo
; %bb.10240:                            ;   in Loop: Header=BB4_9783 Depth=2
	s_or_b32 exec_lo, exec_lo, s28
.LBB4_10241:                            ;   in Loop: Header=BB4_9783 Depth=2
	s_delay_alu instid0(SALU_CYCLE_1)
	s_or_b32 exec_lo, exec_lo, s10
	v_mov_b32_e32 v0, 0
	s_mov_b32 s10, exec_lo
	v_cmpx_lt_u64_e64 s[12:13], v[12:13]
	s_cbranch_execz .LBB4_10251
; %bb.10242:                            ;   in Loop: Header=BB4_9783 Depth=2
	v_lshrrev_b32_e32 v10, 24, v13
	v_bfrev_b32_e32 v0, 1
	s_mov_b32 s28, exec_lo
	s_delay_alu instid0(VALU_DEP_2)
	v_cmpx_ne_u32_e32 0x80, v10
	s_cbranch_execz .LBB4_10250
; %bb.10243:                            ;   in Loop: Header=BB4_9783 Depth=2
	v_and_b32_e32 v0, 0x7c000000, v13
	v_bfe_u32 v2, v13, 24, 2
	s_delay_alu instid0(VALU_DEP_2) | instskip(SKIP_1) | instid1(SALU_CYCLE_1)
	v_cmp_ne_u32_e32 vcc_lo, 0x7c000000, v0
                                        ; implicit-def: $vgpr0
	s_and_saveexec_b32 s29, vcc_lo
	s_xor_b32 s29, exec_lo, s29
	s_cbranch_execz .LBB4_10247
; %bb.10244:                            ;   in Loop: Header=BB4_9783 Depth=2
	v_bfe_u32 v0, v13, 26, 5
	s_mov_b32 s40, exec_lo
	s_delay_alu instid0(VALU_DEP_1)
	v_cmpx_eq_u32_e32 0, v0
; %bb.10245:                            ;   in Loop: Header=BB4_9783 Depth=2
	v_clz_i32_u32_e32 v0, v2
	s_delay_alu instid0(VALU_DEP_1) | instskip(NEXT) | instid1(VALU_DEP_1)
	v_min_u32_e32 v0, 32, v0
	v_subrev_nc_u32_e32 v2, 29, v0
	s_delay_alu instid0(VALU_DEP_1) | instskip(NEXT) | instid1(VALU_DEP_1)
	v_lshlrev_b64_e32 v[2:3], v2, v[10:11]
	v_dual_sub_nc_u32 v0, 30, v0 :: v_dual_bitop2_b32 v2, 3, v2 bitop3:0x40
; %bb.10246:                            ;   in Loop: Header=BB4_9783 Depth=2
	s_or_b32 exec_lo, exec_lo, s40
	v_and_b32_e32 v3, 0x80000000, v13
                                        ; implicit-def: $vgpr12_vgpr13
	s_delay_alu instid0(VALU_DEP_1) | instskip(NEXT) | instid1(VALU_DEP_1)
	v_lshl_add_u32 v0, v0, 23, v3
	v_lshl_or_b32 v0, v2, 21, v0
                                        ; implicit-def: $vgpr2
	s_delay_alu instid0(VALU_DEP_1)
	v_add_nc_u32_e32 v0, 0x38000000, v0
.LBB4_10247:                            ;   in Loop: Header=BB4_9783 Depth=2
	s_and_not1_saveexec_b32 s29, s29
; %bb.10248:                            ;   in Loop: Header=BB4_9783 Depth=2
	v_cmp_lt_i64_e32 vcc_lo, -1, v[12:13]
	v_cndmask_b32_e32 v0, 0xff800000, v100, vcc_lo
	v_cmp_eq_u32_e32 vcc_lo, 0, v2
	s_delay_alu instid0(VALU_DEP_2)
	v_cndmask_b32_e32 v0, 0x7f800001, v0, vcc_lo
; %bb.10249:                            ;   in Loop: Header=BB4_9783 Depth=2
	s_or_b32 exec_lo, exec_lo, s29
.LBB4_10250:                            ;   in Loop: Header=BB4_9783 Depth=2
	s_delay_alu instid0(SALU_CYCLE_1)
	s_or_b32 exec_lo, exec_lo, s28
.LBB4_10251:                            ;   in Loop: Header=BB4_9783 Depth=2
	s_delay_alu instid0(SALU_CYCLE_1) | instskip(NEXT) | instid1(VALU_DEP_1)
	s_or_b32 exec_lo, exec_lo, s10
	v_dual_mul_f32 v2, s27, v0 :: v_dual_mov_b32 v11, v15
                                        ; implicit-def: $vgpr45
	s_mov_b32 s10, exec_lo
	s_delay_alu instid0(VALU_DEP_1) | instskip(SKIP_2) | instid1(VALU_DEP_3)
	v_and_b32_e32 v10, 0x7f800000, v2
	v_and_b32_e32 v14, 0x7fffff, v2
	v_lshrrev_b32_e32 v0, 24, v2
	v_cmpx_ne_u64_e32 0x7f800000, v[10:11]
	s_xor_b32 s28, exec_lo, s10
	s_cbranch_execz .LBB4_10265
; %bb.10252:                            ;   in Loop: Header=BB4_9783 Depth=2
	v_and_b32_e32 v10, 0x7fffffff, v2
	v_mov_b32_e32 v11, v15
	v_and_b32_e32 v0, 0x80, v0
                                        ; implicit-def: $vgpr45
	s_mov_b32 s10, exec_lo
	s_delay_alu instid0(VALU_DEP_2)
	v_cmpx_gt_u64_e32 0x47600001, v[10:11]
	s_xor_b32 s29, exec_lo, s10
	s_cbranch_execz .LBB4_10262
; %bb.10253:                            ;   in Loop: Header=BB4_9783 Depth=2
	v_mov_b32_e32 v45, 0
	s_mov_b32 s40, exec_lo
	v_cmpx_ne_u32_e32 0, v2
	s_cbranch_execz .LBB4_10261
; %bb.10254:                            ;   in Loop: Header=BB4_9783 Depth=2
	v_bfe_u32 v2, v2, 23, 8
	v_or_b32_e32 v12, 0x800000, v14
	v_mov_b32_e32 v13, v15
	s_mov_b32 s41, exec_lo
	s_delay_alu instid0(VALU_DEP_3) | instskip(SKIP_1) | instid1(VALU_DEP_2)
	v_sub_nc_u32_e32 v3, 0x71, v2
	v_cmp_gt_u32_e32 vcc_lo, 0x72, v2
	v_cndmask_b32_e32 v3, 0, v3, vcc_lo
	v_cmp_eq_u32_e32 vcc_lo, 0, v2
	v_cndmask_b32_e32 v12, v12, v14, vcc_lo
	s_delay_alu instid0(VALU_DEP_3) | instskip(NEXT) | instid1(VALU_DEP_1)
	v_cndmask_b32_e64 v3, v3, 0x70, vcc_lo
	v_dual_add_nc_u32 v10, 21, v3 :: v_dual_add_nc_u32 v20, 20, v3
	s_delay_alu instid0(VALU_DEP_1) | instskip(NEXT) | instid1(VALU_DEP_2)
	v_lshlrev_b64_e64 v[10:11], v10, -1
	v_lshlrev_b64_e64 v[20:21], v20, 1
	s_delay_alu instid0(VALU_DEP_2) | instskip(NEXT) | instid1(VALU_DEP_3)
	v_bfi_b32 v87, v11, 0, 0
	v_bfi_b32 v86, v10, 0, v12
	v_lshrrev_b64 v[10:11], v3, v[12:13]
	s_delay_alu instid0(VALU_DEP_1) | instskip(NEXT) | instid1(VALU_DEP_3)
	v_mov_b64_e32 v[12:13], v[10:11]
	v_cmpx_eq_u64_e64 v[86:87], v[20:21]
; %bb.10255:                            ;   in Loop: Header=BB4_9783 Depth=2
	v_bfe_u32 v12, v10, 21, 1
	v_mov_b32_e32 v13, v15
	s_delay_alu instid0(VALU_DEP_1) | instskip(NEXT) | instid1(VALU_DEP_1)
	v_add_nc_u64_e32 v[12:13], v[10:11], v[12:13]
	v_add_nc_u64_e32 v[12:13], -1, v[12:13]
; %bb.10256:                            ;   in Loop: Header=BB4_9783 Depth=2
	s_or_b32 exec_lo, exec_lo, s41
	v_add_nc_u32_e32 v2, 0xffffff81, v2
	v_lshrrev_b32_e32 v11, 23, v10
	s_mov_b32 s10, exec_lo
	s_delay_alu instid0(VALU_DEP_2) | instskip(NEXT) | instid1(VALU_DEP_1)
	v_cndmask_b32_e64 v2, v2, 0xffffff82, vcc_lo
	v_add3_u32 v3, v3, v2, v11
	v_and_b32_e32 v2, 0x1fffff, v12
	s_delay_alu instid0(VALU_DEP_1) | instskip(NEXT) | instid1(VALU_DEP_1)
	v_dual_add_nc_u32 v12, 14, v3 :: v_dual_add_nc_u32 v14, v2, v10
                                        ; implicit-def: $vgpr10_vgpr11
                                        ; implicit-def: $vgpr2
	v_cmpx_ne_u32_e32 0, v12
	s_xor_b32 s10, exec_lo, s10
; %bb.10257:                            ;   in Loop: Header=BB4_9783 Depth=2
	s_delay_alu instid0(VALU_DEP_2) | instskip(SKIP_2) | instid1(VALU_DEP_2)
	v_cmp_lt_u64_e32 vcc_lo, 0xffffff, v[14:15]
	v_add_nc_u32_e32 v2, 15, v3
	v_cndmask_b32_e64 v3, 0, 1, vcc_lo
	v_cndmask_b32_e32 v2, v12, v2, vcc_lo
	s_delay_alu instid0(VALU_DEP_2)
	v_lshrrev_b64 v[10:11], v3, v[14:15]
; %bb.10258:                            ;   in Loop: Header=BB4_9783 Depth=2
	s_and_not1_saveexec_b32 s10, s10
; %bb.10259:                            ;   in Loop: Header=BB4_9783 Depth=2
	v_mov_b64_e32 v[10:11], v[14:15]
	v_bfe_u32 v2, v14, 23, 1
; %bb.10260:                            ;   in Loop: Header=BB4_9783 Depth=2
	s_or_b32 exec_lo, exec_lo, s10
	s_delay_alu instid0(VALU_DEP_2) | instskip(NEXT) | instid1(VALU_DEP_2)
	v_lshrrev_b64 v[10:11], 21, v[10:11]
	v_cmp_gt_i32_e32 vcc_lo, 32, v2
	v_min_i32_e32 v3, 31, v2
	v_cmp_eq_u32_e64 s10, 0, v2
	s_delay_alu instid0(VALU_DEP_4) | instskip(NEXT) | instid1(VALU_DEP_3)
	v_cndmask_b32_e32 v11, 0, v11, vcc_lo
	v_dual_cndmask_b32 v10, 3, v10 :: v_dual_lshlrev_b32 v3, 2, v3
	s_delay_alu instid0(VALU_DEP_1) | instskip(NEXT) | instid1(VALU_DEP_2)
	v_and_b32_e32 v3, 0xfc, v3
	v_cmp_eq_u64_e32 vcc_lo, 0, v[10:11]
	s_delay_alu instid0(VALU_DEP_2)
	v_and_or_b32 v2, v10, 3, v3
	s_and_b32 s10, s10, vcc_lo
	s_delay_alu instid0(VALU_DEP_1) | instid1(SALU_CYCLE_1)
	v_cndmask_b32_e64 v2, v2, 0, s10
	s_delay_alu instid0(VALU_DEP_1)
	v_or_b32_e32 v45, v2, v0
.LBB4_10261:                            ;   in Loop: Header=BB4_9783 Depth=2
	s_or_b32 exec_lo, exec_lo, s40
                                        ; implicit-def: $vgpr0
.LBB4_10262:                            ;   in Loop: Header=BB4_9783 Depth=2
	s_and_not1_saveexec_b32 s10, s29
; %bb.10263:                            ;   in Loop: Header=BB4_9783 Depth=2
	v_or_b32_e32 v45, 0x7b, v0
; %bb.10264:                            ;   in Loop: Header=BB4_9783 Depth=2
	s_or_b32 exec_lo, exec_lo, s10
                                        ; implicit-def: $vgpr2
                                        ; implicit-def: $vgpr0
.LBB4_10265:                            ;   in Loop: Header=BB4_9783 Depth=2
	s_and_not1_saveexec_b32 s10, s28
	s_cbranch_execz .LBB4_10271
; %bb.10266:                            ;   in Loop: Header=BB4_9783 Depth=2
	s_mov_b32 s28, exec_lo
                                        ; implicit-def: $vgpr45
	v_cmpx_ne_u64_e32 0, v[14:15]
	s_xor_b32 s28, exec_lo, s28
; %bb.10267:                            ;   in Loop: Header=BB4_9783 Depth=2
	v_or_b32_e32 v45, 0x7f, v0
                                        ; implicit-def: $vgpr2
; %bb.10268:                            ;   in Loop: Header=BB4_9783 Depth=2
	s_and_not1_saveexec_b32 s28, s28
; %bb.10269:                            ;   in Loop: Header=BB4_9783 Depth=2
	v_cmp_lt_i32_e32 vcc_lo, -1, v2
	v_cndmask_b32_e32 v45, 0xfc, v101, vcc_lo
; %bb.10270:                            ;   in Loop: Header=BB4_9783 Depth=2
	s_or_b32 exec_lo, exec_lo, s28
.LBB4_10271:                            ;   in Loop: Header=BB4_9783 Depth=2
	s_delay_alu instid0(SALU_CYCLE_1) | instskip(SKIP_3) | instid1(VALU_DEP_1)
	s_or_b32 exec_lo, exec_lo, s10
	global_load_b128 v[10:13], v[84:85], off offset:512 th:TH_LOAD_NT
	s_wait_loadcnt 0x0
	v_and_b32_e32 v0, 0xff, v10
	v_cmp_ne_u16_e32 vcc_lo, 0, v0
	v_mov_b32_e32 v0, 0
	s_wait_xcnt 0x0
	s_and_saveexec_b32 s10, vcc_lo
	s_cbranch_execz .LBB4_10281
; %bb.10272:                            ;   in Loop: Header=BB4_9783 Depth=2
	v_bfe_i32 v3, v10, 0, 8
	v_bfrev_b32_e32 v0, 1
	s_mov_b32 s28, exec_lo
	s_delay_alu instid0(VALU_DEP_2)
	v_cmpx_ne_u16_e32 0xff80, v3
	s_cbranch_execz .LBB4_10280
; %bb.10273:                            ;   in Loop: Header=BB4_9783 Depth=2
	v_and_b32_e32 v0, 0x7c, v10
	v_and_b32_e32 v2, 3, v10
	s_delay_alu instid0(VALU_DEP_2) | instskip(SKIP_1) | instid1(SALU_CYCLE_1)
	v_cmp_ne_u32_e32 vcc_lo, 0x7c, v0
                                        ; implicit-def: $vgpr0
	s_and_saveexec_b32 s29, vcc_lo
	s_xor_b32 s29, exec_lo, s29
	s_cbranch_execz .LBB4_10277
; %bb.10274:                            ;   in Loop: Header=BB4_9783 Depth=2
	v_bfe_u32 v0, v10, 2, 5
	s_mov_b32 s40, exec_lo
	s_delay_alu instid0(VALU_DEP_1)
	v_cmpx_eq_u32_e32 0, v0
; %bb.10275:                            ;   in Loop: Header=BB4_9783 Depth=2
	v_clz_i32_u32_e32 v0, v2
	s_delay_alu instid0(VALU_DEP_1) | instskip(NEXT) | instid1(VALU_DEP_1)
	v_min_u32_e32 v0, 32, v0
	v_subrev_nc_u32_e32 v2, 29, v0
	s_delay_alu instid0(VALU_DEP_1) | instskip(NEXT) | instid1(VALU_DEP_1)
	v_lshlrev_b64_e32 v[2:3], v2, v[10:11]
	v_dual_sub_nc_u32 v0, 30, v0 :: v_dual_bitop2_b32 v2, 3, v2 bitop3:0x40
; %bb.10276:                            ;   in Loop: Header=BB4_9783 Depth=2
	s_or_b32 exec_lo, exec_lo, s40
	v_lshlrev_b32_e32 v3, 24, v10
	s_delay_alu instid0(VALU_DEP_1) | instskip(NEXT) | instid1(VALU_DEP_1)
	v_and_b32_e32 v3, 0x80000000, v3
	v_lshl_add_u32 v0, v0, 23, v3
                                        ; implicit-def: $vgpr3
	s_delay_alu instid0(VALU_DEP_1) | instskip(NEXT) | instid1(VALU_DEP_1)
	v_lshl_or_b32 v0, v2, 21, v0
                                        ; implicit-def: $vgpr2
	v_add_nc_u32_e32 v0, 0x38000000, v0
.LBB4_10277:                            ;   in Loop: Header=BB4_9783 Depth=2
	s_and_not1_saveexec_b32 s29, s29
; %bb.10278:                            ;   in Loop: Header=BB4_9783 Depth=2
	v_cmp_lt_i16_e32 vcc_lo, -1, v3
	v_cndmask_b32_e32 v0, 0xff800000, v100, vcc_lo
	v_cmp_eq_u32_e32 vcc_lo, 0, v2
	s_delay_alu instid0(VALU_DEP_2)
	v_cndmask_b32_e32 v0, 0x7f800001, v0, vcc_lo
; %bb.10279:                            ;   in Loop: Header=BB4_9783 Depth=2
	s_or_b32 exec_lo, exec_lo, s29
.LBB4_10280:                            ;   in Loop: Header=BB4_9783 Depth=2
	s_delay_alu instid0(SALU_CYCLE_1)
	s_or_b32 exec_lo, exec_lo, s28
.LBB4_10281:                            ;   in Loop: Header=BB4_9783 Depth=2
	s_delay_alu instid0(SALU_CYCLE_1) | instskip(NEXT) | instid1(VALU_DEP_1)
	s_or_b32 exec_lo, exec_lo, s10
	v_dual_mul_f32 v2, s27, v0 :: v_dual_mov_b32 v21, v15
                                        ; implicit-def: $vgpr46
	s_mov_b32 s10, exec_lo
	s_delay_alu instid0(VALU_DEP_1) | instskip(SKIP_2) | instid1(VALU_DEP_3)
	v_and_b32_e32 v20, 0x7f800000, v2
	v_and_b32_e32 v14, 0x7fffff, v2
	v_lshrrev_b32_e32 v0, 24, v2
	v_cmpx_ne_u64_e32 0x7f800000, v[20:21]
	s_xor_b32 s28, exec_lo, s10
	s_cbranch_execz .LBB4_10295
; %bb.10282:                            ;   in Loop: Header=BB4_9783 Depth=2
	v_and_b32_e32 v20, 0x7fffffff, v2
	v_mov_b32_e32 v21, v15
	v_and_b32_e32 v0, 0x80, v0
                                        ; implicit-def: $vgpr46
	s_mov_b32 s10, exec_lo
	s_delay_alu instid0(VALU_DEP_2)
	v_cmpx_gt_u64_e32 0x47600001, v[20:21]
	s_xor_b32 s29, exec_lo, s10
	s_cbranch_execz .LBB4_10292
; %bb.10283:                            ;   in Loop: Header=BB4_9783 Depth=2
	v_mov_b32_e32 v46, 0
	s_mov_b32 s40, exec_lo
	v_cmpx_ne_u32_e32 0, v2
	s_cbranch_execz .LBB4_10291
; %bb.10284:                            ;   in Loop: Header=BB4_9783 Depth=2
	v_bfe_u32 v2, v2, 23, 8
	v_or_b32_e32 v24, 0x800000, v14
	v_mov_b32_e32 v87, v15
	s_delay_alu instid0(VALU_DEP_3) | instskip(SKIP_1) | instid1(VALU_DEP_2)
	v_sub_nc_u32_e32 v3, 0x71, v2
	v_cmp_gt_u32_e32 vcc_lo, 0x72, v2
	v_cndmask_b32_e32 v3, 0, v3, vcc_lo
	v_cmp_eq_u32_e32 vcc_lo, 0, v2
	v_cndmask_b32_e32 v86, v24, v14, vcc_lo
	s_delay_alu instid0(VALU_DEP_3) | instskip(NEXT) | instid1(VALU_DEP_1)
	v_cndmask_b32_e64 v3, v3, 0x70, vcc_lo
	v_dual_add_nc_u32 v20, 21, v3 :: v_dual_add_nc_u32 v25, 20, v3
	s_delay_alu instid0(VALU_DEP_1) | instskip(NEXT) | instid1(VALU_DEP_2)
	v_lshlrev_b64_e64 v[20:21], v20, -1
	v_lshlrev_b64_e64 v[96:97], v25, 1
	s_delay_alu instid0(VALU_DEP_2) | instskip(SKIP_1) | instid1(VALU_DEP_4)
	v_bfi_b32 v20, v20, 0, v86
	v_lshrrev_b64 v[86:87], v3, v[86:87]
	v_bfi_b32 v21, v21, 0, 0
	s_delay_alu instid0(VALU_DEP_1) | instskip(NEXT) | instid1(VALU_DEP_3)
	v_cmp_eq_u64_e64 s10, v[20:21], v[96:97]
	v_mov_b64_e32 v[96:97], v[86:87]
	s_and_saveexec_b32 s41, s10
; %bb.10285:                            ;   in Loop: Header=BB4_9783 Depth=2
	v_bfe_u32 v20, v86, 21, 1
	v_mov_b32_e32 v21, v15
	s_delay_alu instid0(VALU_DEP_1) | instskip(NEXT) | instid1(VALU_DEP_1)
	v_add_nc_u64_e32 v[20:21], v[86:87], v[20:21]
	v_add_nc_u64_e32 v[96:97], -1, v[20:21]
; %bb.10286:                            ;   in Loop: Header=BB4_9783 Depth=2
	s_or_b32 exec_lo, exec_lo, s41
	v_add_nc_u32_e32 v2, 0xffffff81, v2
	v_lshrrev_b32_e32 v14, 23, v86
	s_mov_b32 s10, exec_lo
	s_delay_alu instid0(VALU_DEP_2) | instskip(NEXT) | instid1(VALU_DEP_1)
	v_cndmask_b32_e64 v2, v2, 0xffffff82, vcc_lo
	v_add3_u32 v3, v3, v2, v14
	v_and_b32_e32 v2, 0x1fffff, v96
	s_delay_alu instid0(VALU_DEP_1) | instskip(NEXT) | instid1(VALU_DEP_1)
	v_dual_add_nc_u32 v20, 14, v3 :: v_dual_add_nc_u32 v14, v2, v86
                                        ; implicit-def: $vgpr86_vgpr87
                                        ; implicit-def: $vgpr2
	v_cmpx_ne_u32_e32 0, v20
	s_xor_b32 s10, exec_lo, s10
; %bb.10287:                            ;   in Loop: Header=BB4_9783 Depth=2
	s_delay_alu instid0(VALU_DEP_2) | instskip(SKIP_2) | instid1(VALU_DEP_2)
	v_cmp_lt_u64_e32 vcc_lo, 0xffffff, v[14:15]
	v_add_nc_u32_e32 v2, 15, v3
	v_cndmask_b32_e64 v3, 0, 1, vcc_lo
	v_cndmask_b32_e32 v2, v20, v2, vcc_lo
	s_delay_alu instid0(VALU_DEP_2)
	v_lshrrev_b64 v[86:87], v3, v[14:15]
; %bb.10288:                            ;   in Loop: Header=BB4_9783 Depth=2
	s_and_not1_saveexec_b32 s10, s10
; %bb.10289:                            ;   in Loop: Header=BB4_9783 Depth=2
	v_mov_b64_e32 v[86:87], v[14:15]
	v_bfe_u32 v2, v14, 23, 1
; %bb.10290:                            ;   in Loop: Header=BB4_9783 Depth=2
	s_or_b32 exec_lo, exec_lo, s10
	s_delay_alu instid0(VALU_DEP_2) | instskip(NEXT) | instid1(VALU_DEP_2)
	v_lshrrev_b64 v[20:21], 21, v[86:87]
	v_cmp_gt_i32_e32 vcc_lo, 32, v2
	v_min_i32_e32 v3, 31, v2
	v_cmp_eq_u32_e64 s10, 0, v2
	s_delay_alu instid0(VALU_DEP_2) | instskip(SKIP_1) | instid1(VALU_DEP_2)
	v_dual_cndmask_b32 v21, 0, v21, vcc_lo :: v_dual_lshlrev_b32 v3, 2, v3
	v_cndmask_b32_e32 v20, 3, v20, vcc_lo
	v_and_b32_e32 v3, 0xfc, v3
	s_delay_alu instid0(VALU_DEP_2) | instskip(NEXT) | instid1(VALU_DEP_2)
	v_cmp_eq_u64_e32 vcc_lo, 0, v[20:21]
	v_and_or_b32 v2, v20, 3, v3
	s_and_b32 s10, s10, vcc_lo
	s_delay_alu instid0(VALU_DEP_1) | instid1(SALU_CYCLE_1)
	v_cndmask_b32_e64 v2, v2, 0, s10
	s_delay_alu instid0(VALU_DEP_1)
	v_or_b32_e32 v46, v2, v0
.LBB4_10291:                            ;   in Loop: Header=BB4_9783 Depth=2
	s_or_b32 exec_lo, exec_lo, s40
                                        ; implicit-def: $vgpr0
.LBB4_10292:                            ;   in Loop: Header=BB4_9783 Depth=2
	s_and_not1_saveexec_b32 s10, s29
; %bb.10293:                            ;   in Loop: Header=BB4_9783 Depth=2
	v_or_b32_e32 v46, 0x7b, v0
; %bb.10294:                            ;   in Loop: Header=BB4_9783 Depth=2
	s_or_b32 exec_lo, exec_lo, s10
                                        ; implicit-def: $vgpr2
                                        ; implicit-def: $vgpr0
.LBB4_10295:                            ;   in Loop: Header=BB4_9783 Depth=2
	s_and_not1_saveexec_b32 s10, s28
	s_cbranch_execz .LBB4_10301
; %bb.10296:                            ;   in Loop: Header=BB4_9783 Depth=2
	s_mov_b32 s28, exec_lo
                                        ; implicit-def: $vgpr46
	v_cmpx_ne_u64_e32 0, v[14:15]
	s_xor_b32 s28, exec_lo, s28
; %bb.10297:                            ;   in Loop: Header=BB4_9783 Depth=2
	v_or_b32_e32 v46, 0x7f, v0
                                        ; implicit-def: $vgpr2
; %bb.10298:                            ;   in Loop: Header=BB4_9783 Depth=2
	s_and_not1_saveexec_b32 s28, s28
; %bb.10299:                            ;   in Loop: Header=BB4_9783 Depth=2
	v_cmp_lt_i32_e32 vcc_lo, -1, v2
	v_cndmask_b32_e32 v46, 0xfc, v101, vcc_lo
; %bb.10300:                            ;   in Loop: Header=BB4_9783 Depth=2
	s_or_b32 exec_lo, exec_lo, s28
.LBB4_10301:                            ;   in Loop: Header=BB4_9783 Depth=2
	s_delay_alu instid0(SALU_CYCLE_1) | instskip(SKIP_3) | instid1(VALU_DEP_2)
	s_or_b32 exec_lo, exec_lo, s10
	v_lshrrev_b16 v86, 8, v10
	v_mov_b32_e32 v2, 0
	s_mov_b32 s10, exec_lo
	v_cmpx_ne_u16_e32 0, v86
	s_cbranch_execz .LBB4_10311
; %bb.10302:                            ;   in Loop: Header=BB4_9783 Depth=2
	v_bfrev_b32_e32 v2, 1
	s_mov_b32 s28, exec_lo
	v_cmpx_ne_u16_e32 0x80, v86
	s_cbranch_execz .LBB4_10310
; %bb.10303:                            ;   in Loop: Header=BB4_9783 Depth=2
	v_and_b32_e32 v3, 0xffff, v86
	s_delay_alu instid0(VALU_DEP_1) | instskip(SKIP_1) | instid1(VALU_DEP_2)
	v_and_b32_e32 v2, 0x7c, v3
	v_and_b32_e32 v0, 3, v3
	v_cmp_ne_u32_e32 vcc_lo, 0x7c, v2
                                        ; implicit-def: $vgpr2
	s_and_saveexec_b32 s29, vcc_lo
	s_delay_alu instid0(SALU_CYCLE_1)
	s_xor_b32 s29, exec_lo, s29
	s_cbranch_execz .LBB4_10307
; %bb.10304:                            ;   in Loop: Header=BB4_9783 Depth=2
	v_bfe_u32 v2, v3, 2, 5
	s_mov_b32 s40, exec_lo
	s_delay_alu instid0(VALU_DEP_1)
	v_cmpx_eq_u32_e32 0, v2
	s_cbranch_execz .LBB4_10306
; %bb.10305:                            ;   in Loop: Header=BB4_9783 Depth=2
	v_clz_i32_u32_e32 v0, v0
	s_delay_alu instid0(VALU_DEP_1) | instskip(SKIP_1) | instid1(VALU_DEP_2)
	v_min_u32_e32 v0, 32, v0
	v_mov_b32_e32 v87, v15
	v_subrev_nc_u32_e32 v2, 29, v0
	s_delay_alu instid0(VALU_DEP_1) | instskip(SKIP_1) | instid1(VALU_DEP_2)
	v_lshlrev_b64_e32 v[20:21], v2, v[86:87]
	v_sub_nc_u32_e32 v2, 30, v0
	v_and_b32_e32 v0, 3, v20
.LBB4_10306:                            ;   in Loop: Header=BB4_9783 Depth=2
	s_or_b32 exec_lo, exec_lo, s40
	v_lshlrev_b32_e32 v3, 16, v10
	s_delay_alu instid0(VALU_DEP_1) | instskip(NEXT) | instid1(VALU_DEP_1)
	v_and_b32_e32 v3, 0x80000000, v3
	v_lshl_add_u32 v2, v2, 23, v3
	s_delay_alu instid0(VALU_DEP_1) | instskip(NEXT) | instid1(VALU_DEP_1)
	v_lshl_or_b32 v0, v0, 21, v2
	v_add_nc_u32_e32 v2, 0x38000000, v0
                                        ; implicit-def: $vgpr0
.LBB4_10307:                            ;   in Loop: Header=BB4_9783 Depth=2
	s_and_not1_saveexec_b32 s29, s29
; %bb.10308:                            ;   in Loop: Header=BB4_9783 Depth=2
	v_cmp_lt_i16_e32 vcc_lo, -1, v10
	v_cndmask_b32_e32 v2, 0xff800000, v100, vcc_lo
	v_cmp_eq_u32_e32 vcc_lo, 0, v0
	s_delay_alu instid0(VALU_DEP_2)
	v_cndmask_b32_e32 v2, 0x7f800001, v2, vcc_lo
; %bb.10309:                            ;   in Loop: Header=BB4_9783 Depth=2
	s_or_b32 exec_lo, exec_lo, s29
.LBB4_10310:                            ;   in Loop: Header=BB4_9783 Depth=2
	s_delay_alu instid0(SALU_CYCLE_1)
	s_or_b32 exec_lo, exec_lo, s28
.LBB4_10311:                            ;   in Loop: Header=BB4_9783 Depth=2
	s_delay_alu instid0(SALU_CYCLE_1) | instskip(NEXT) | instid1(VALU_DEP_1)
	s_or_b32 exec_lo, exec_lo, s10
	v_dual_mul_f32 v2, s27, v2 :: v_dual_mov_b32 v21, v15
                                        ; implicit-def: $vgpr47
	s_mov_b32 s10, exec_lo
	s_delay_alu instid0(VALU_DEP_1) | instskip(SKIP_2) | instid1(VALU_DEP_3)
	v_and_b32_e32 v20, 0x7f800000, v2
	v_and_b32_e32 v14, 0x7fffff, v2
	v_lshrrev_b32_e32 v0, 24, v2
	v_cmpx_ne_u64_e32 0x7f800000, v[20:21]
	s_xor_b32 s28, exec_lo, s10
	s_cbranch_execz .LBB4_10325
; %bb.10312:                            ;   in Loop: Header=BB4_9783 Depth=2
	v_and_b32_e32 v20, 0x7fffffff, v2
	v_mov_b32_e32 v21, v15
	v_and_b32_e32 v0, 0x80, v0
                                        ; implicit-def: $vgpr47
	s_mov_b32 s10, exec_lo
	s_delay_alu instid0(VALU_DEP_2)
	v_cmpx_gt_u64_e32 0x47600001, v[20:21]
	s_xor_b32 s29, exec_lo, s10
	s_cbranch_execz .LBB4_10322
; %bb.10313:                            ;   in Loop: Header=BB4_9783 Depth=2
	v_mov_b32_e32 v47, 0
	s_mov_b32 s40, exec_lo
	v_cmpx_ne_u32_e32 0, v2
	s_cbranch_execz .LBB4_10321
; %bb.10314:                            ;   in Loop: Header=BB4_9783 Depth=2
	v_bfe_u32 v2, v2, 23, 8
	v_or_b32_e32 v24, 0x800000, v14
	v_mov_b32_e32 v87, v15
	s_delay_alu instid0(VALU_DEP_3) | instskip(SKIP_1) | instid1(VALU_DEP_2)
	v_sub_nc_u32_e32 v3, 0x71, v2
	v_cmp_gt_u32_e32 vcc_lo, 0x72, v2
	v_cndmask_b32_e32 v3, 0, v3, vcc_lo
	v_cmp_eq_u32_e32 vcc_lo, 0, v2
	v_cndmask_b32_e32 v86, v24, v14, vcc_lo
	s_delay_alu instid0(VALU_DEP_3) | instskip(NEXT) | instid1(VALU_DEP_1)
	v_cndmask_b32_e64 v3, v3, 0x70, vcc_lo
	v_dual_add_nc_u32 v20, 21, v3 :: v_dual_add_nc_u32 v25, 20, v3
	s_delay_alu instid0(VALU_DEP_1) | instskip(NEXT) | instid1(VALU_DEP_2)
	v_lshlrev_b64_e64 v[20:21], v20, -1
	v_lshlrev_b64_e64 v[96:97], v25, 1
	s_delay_alu instid0(VALU_DEP_2) | instskip(SKIP_1) | instid1(VALU_DEP_4)
	v_bfi_b32 v20, v20, 0, v86
	v_lshrrev_b64 v[86:87], v3, v[86:87]
	v_bfi_b32 v21, v21, 0, 0
	s_delay_alu instid0(VALU_DEP_1) | instskip(NEXT) | instid1(VALU_DEP_3)
	v_cmp_eq_u64_e64 s10, v[20:21], v[96:97]
	v_mov_b64_e32 v[96:97], v[86:87]
	s_and_saveexec_b32 s41, s10
; %bb.10315:                            ;   in Loop: Header=BB4_9783 Depth=2
	v_bfe_u32 v20, v86, 21, 1
	v_mov_b32_e32 v21, v15
	s_delay_alu instid0(VALU_DEP_1) | instskip(NEXT) | instid1(VALU_DEP_1)
	v_add_nc_u64_e32 v[20:21], v[86:87], v[20:21]
	v_add_nc_u64_e32 v[96:97], -1, v[20:21]
; %bb.10316:                            ;   in Loop: Header=BB4_9783 Depth=2
	s_or_b32 exec_lo, exec_lo, s41
	v_add_nc_u32_e32 v2, 0xffffff81, v2
	v_lshrrev_b32_e32 v14, 23, v86
	s_mov_b32 s10, exec_lo
	s_delay_alu instid0(VALU_DEP_2) | instskip(NEXT) | instid1(VALU_DEP_1)
	v_cndmask_b32_e64 v2, v2, 0xffffff82, vcc_lo
	v_add3_u32 v3, v3, v2, v14
	v_and_b32_e32 v2, 0x1fffff, v96
	s_delay_alu instid0(VALU_DEP_1) | instskip(NEXT) | instid1(VALU_DEP_1)
	v_dual_add_nc_u32 v20, 14, v3 :: v_dual_add_nc_u32 v14, v2, v86
                                        ; implicit-def: $vgpr86_vgpr87
                                        ; implicit-def: $vgpr2
	v_cmpx_ne_u32_e32 0, v20
	s_xor_b32 s10, exec_lo, s10
; %bb.10317:                            ;   in Loop: Header=BB4_9783 Depth=2
	s_delay_alu instid0(VALU_DEP_2) | instskip(SKIP_2) | instid1(VALU_DEP_2)
	v_cmp_lt_u64_e32 vcc_lo, 0xffffff, v[14:15]
	v_add_nc_u32_e32 v2, 15, v3
	v_cndmask_b32_e64 v3, 0, 1, vcc_lo
	v_cndmask_b32_e32 v2, v20, v2, vcc_lo
	s_delay_alu instid0(VALU_DEP_2)
	v_lshrrev_b64 v[86:87], v3, v[14:15]
; %bb.10318:                            ;   in Loop: Header=BB4_9783 Depth=2
	s_and_not1_saveexec_b32 s10, s10
; %bb.10319:                            ;   in Loop: Header=BB4_9783 Depth=2
	v_mov_b64_e32 v[86:87], v[14:15]
	v_bfe_u32 v2, v14, 23, 1
; %bb.10320:                            ;   in Loop: Header=BB4_9783 Depth=2
	s_or_b32 exec_lo, exec_lo, s10
	s_delay_alu instid0(VALU_DEP_2) | instskip(NEXT) | instid1(VALU_DEP_2)
	v_lshrrev_b64 v[20:21], 21, v[86:87]
	v_cmp_gt_i32_e32 vcc_lo, 32, v2
	v_min_i32_e32 v3, 31, v2
	v_cmp_eq_u32_e64 s10, 0, v2
	s_delay_alu instid0(VALU_DEP_2) | instskip(SKIP_1) | instid1(VALU_DEP_2)
	v_dual_cndmask_b32 v21, 0, v21, vcc_lo :: v_dual_lshlrev_b32 v3, 2, v3
	v_cndmask_b32_e32 v20, 3, v20, vcc_lo
	v_and_b32_e32 v3, 0xfc, v3
	s_delay_alu instid0(VALU_DEP_2) | instskip(NEXT) | instid1(VALU_DEP_2)
	v_cmp_eq_u64_e32 vcc_lo, 0, v[20:21]
	v_and_or_b32 v2, v20, 3, v3
	s_and_b32 s10, s10, vcc_lo
	s_delay_alu instid0(VALU_DEP_1) | instid1(SALU_CYCLE_1)
	v_cndmask_b32_e64 v2, v2, 0, s10
	s_delay_alu instid0(VALU_DEP_1)
	v_or_b32_e32 v47, v2, v0
.LBB4_10321:                            ;   in Loop: Header=BB4_9783 Depth=2
	s_or_b32 exec_lo, exec_lo, s40
                                        ; implicit-def: $vgpr0
.LBB4_10322:                            ;   in Loop: Header=BB4_9783 Depth=2
	s_and_not1_saveexec_b32 s10, s29
; %bb.10323:                            ;   in Loop: Header=BB4_9783 Depth=2
	v_or_b32_e32 v47, 0x7b, v0
; %bb.10324:                            ;   in Loop: Header=BB4_9783 Depth=2
	s_or_b32 exec_lo, exec_lo, s10
                                        ; implicit-def: $vgpr2
                                        ; implicit-def: $vgpr0
.LBB4_10325:                            ;   in Loop: Header=BB4_9783 Depth=2
	s_and_not1_saveexec_b32 s10, s28
	s_cbranch_execz .LBB4_10331
; %bb.10326:                            ;   in Loop: Header=BB4_9783 Depth=2
	s_mov_b32 s28, exec_lo
                                        ; implicit-def: $vgpr47
	v_cmpx_ne_u64_e32 0, v[14:15]
	s_xor_b32 s28, exec_lo, s28
; %bb.10327:                            ;   in Loop: Header=BB4_9783 Depth=2
	v_or_b32_e32 v47, 0x7f, v0
                                        ; implicit-def: $vgpr2
; %bb.10328:                            ;   in Loop: Header=BB4_9783 Depth=2
	s_and_not1_saveexec_b32 s28, s28
; %bb.10329:                            ;   in Loop: Header=BB4_9783 Depth=2
	v_cmp_lt_i32_e32 vcc_lo, -1, v2
	v_cndmask_b32_e32 v47, 0xfc, v101, vcc_lo
; %bb.10330:                            ;   in Loop: Header=BB4_9783 Depth=2
	s_or_b32 exec_lo, exec_lo, s28
.LBB4_10331:                            ;   in Loop: Header=BB4_9783 Depth=2
	s_delay_alu instid0(SALU_CYCLE_1) | instskip(SKIP_2) | instid1(VALU_DEP_1)
	s_or_b32 exec_lo, exec_lo, s10
	v_dual_lshrrev_b32 v14, 16, v10 :: v_dual_mov_b32 v2, 0
	s_mov_b32 s10, exec_lo
	v_and_b32_e32 v0, 0xff, v14
	s_delay_alu instid0(VALU_DEP_1)
	v_cmpx_ne_u16_e32 0, v0
	s_cbranch_execz .LBB4_10341
; %bb.10332:                            ;   in Loop: Header=BB4_9783 Depth=2
	v_bfrev_b32_e32 v2, 1
	s_mov_b32 s28, exec_lo
	v_cmpx_ne_u16_e32 0x80, v0
	s_cbranch_execz .LBB4_10340
; %bb.10333:                            ;   in Loop: Header=BB4_9783 Depth=2
	v_and_b32_e32 v2, 0x7c0000, v10
	v_bfe_u32 v0, v10, 16, 2
	s_delay_alu instid0(VALU_DEP_2) | instskip(SKIP_1) | instid1(SALU_CYCLE_1)
	v_cmp_ne_u32_e32 vcc_lo, 0x7c0000, v2
                                        ; implicit-def: $vgpr2
	s_and_saveexec_b32 s29, vcc_lo
	s_xor_b32 s29, exec_lo, s29
	s_cbranch_execz .LBB4_10337
; %bb.10334:                            ;   in Loop: Header=BB4_9783 Depth=2
	v_bfe_u32 v2, v10, 18, 5
	s_mov_b32 s40, exec_lo
	s_delay_alu instid0(VALU_DEP_1)
	v_cmpx_eq_u32_e32 0, v2
; %bb.10335:                            ;   in Loop: Header=BB4_9783 Depth=2
	v_clz_i32_u32_e32 v0, v0
	s_delay_alu instid0(VALU_DEP_1) | instskip(NEXT) | instid1(VALU_DEP_1)
	v_min_u32_e32 v0, 32, v0
	v_subrev_nc_u32_e32 v2, 29, v0
	s_delay_alu instid0(VALU_DEP_1) | instskip(SKIP_1) | instid1(VALU_DEP_2)
	v_lshlrev_b64_e32 v[20:21], v2, v[14:15]
	v_sub_nc_u32_e32 v2, 30, v0
	v_and_b32_e32 v0, 3, v20
; %bb.10336:                            ;   in Loop: Header=BB4_9783 Depth=2
	s_or_b32 exec_lo, exec_lo, s40
	v_lshlrev_b32_e32 v3, 24, v14
                                        ; implicit-def: $vgpr14
	s_delay_alu instid0(VALU_DEP_1) | instskip(NEXT) | instid1(VALU_DEP_1)
	v_and_b32_e32 v3, 0x80000000, v3
	v_lshl_add_u32 v2, v2, 23, v3
	s_delay_alu instid0(VALU_DEP_1) | instskip(NEXT) | instid1(VALU_DEP_1)
	v_lshl_or_b32 v0, v0, 21, v2
	v_add_nc_u32_e32 v2, 0x38000000, v0
                                        ; implicit-def: $vgpr0
.LBB4_10337:                            ;   in Loop: Header=BB4_9783 Depth=2
	s_and_not1_saveexec_b32 s29, s29
; %bb.10338:                            ;   in Loop: Header=BB4_9783 Depth=2
	v_bfe_i32 v2, v14, 0, 8
	s_delay_alu instid0(VALU_DEP_1) | instskip(SKIP_2) | instid1(VALU_DEP_2)
	v_cmp_lt_i16_e32 vcc_lo, -1, v2
	v_cndmask_b32_e32 v2, 0xff800000, v100, vcc_lo
	v_cmp_eq_u32_e32 vcc_lo, 0, v0
	v_cndmask_b32_e32 v2, 0x7f800001, v2, vcc_lo
; %bb.10339:                            ;   in Loop: Header=BB4_9783 Depth=2
	s_or_b32 exec_lo, exec_lo, s29
.LBB4_10340:                            ;   in Loop: Header=BB4_9783 Depth=2
	s_delay_alu instid0(SALU_CYCLE_1)
	s_or_b32 exec_lo, exec_lo, s28
.LBB4_10341:                            ;   in Loop: Header=BB4_9783 Depth=2
	s_delay_alu instid0(SALU_CYCLE_1) | instskip(NEXT) | instid1(VALU_DEP_1)
	s_or_b32 exec_lo, exec_lo, s10
	v_dual_mul_f32 v2, s27, v2 :: v_dual_mov_b32 v21, v15
                                        ; implicit-def: $vgpr56
	s_mov_b32 s10, exec_lo
	s_delay_alu instid0(VALU_DEP_1) | instskip(SKIP_2) | instid1(VALU_DEP_3)
	v_and_b32_e32 v20, 0x7f800000, v2
	v_and_b32_e32 v14, 0x7fffff, v2
	v_lshrrev_b32_e32 v0, 24, v2
	v_cmpx_ne_u64_e32 0x7f800000, v[20:21]
	s_xor_b32 s28, exec_lo, s10
	s_cbranch_execz .LBB4_10355
; %bb.10342:                            ;   in Loop: Header=BB4_9783 Depth=2
	v_and_b32_e32 v20, 0x7fffffff, v2
	v_mov_b32_e32 v21, v15
	v_and_b32_e32 v0, 0x80, v0
                                        ; implicit-def: $vgpr56
	s_mov_b32 s10, exec_lo
	s_delay_alu instid0(VALU_DEP_2)
	v_cmpx_gt_u64_e32 0x47600001, v[20:21]
	s_xor_b32 s29, exec_lo, s10
	s_cbranch_execz .LBB4_10352
; %bb.10343:                            ;   in Loop: Header=BB4_9783 Depth=2
	v_mov_b32_e32 v56, 0
	s_mov_b32 s40, exec_lo
	v_cmpx_ne_u32_e32 0, v2
	s_cbranch_execz .LBB4_10351
; %bb.10344:                            ;   in Loop: Header=BB4_9783 Depth=2
	v_bfe_u32 v2, v2, 23, 8
	v_or_b32_e32 v24, 0x800000, v14
	v_mov_b32_e32 v87, v15
	s_delay_alu instid0(VALU_DEP_3) | instskip(SKIP_1) | instid1(VALU_DEP_2)
	v_sub_nc_u32_e32 v3, 0x71, v2
	v_cmp_gt_u32_e32 vcc_lo, 0x72, v2
	v_cndmask_b32_e32 v3, 0, v3, vcc_lo
	v_cmp_eq_u32_e32 vcc_lo, 0, v2
	v_cndmask_b32_e32 v86, v24, v14, vcc_lo
	s_delay_alu instid0(VALU_DEP_3) | instskip(NEXT) | instid1(VALU_DEP_1)
	v_cndmask_b32_e64 v3, v3, 0x70, vcc_lo
	v_dual_add_nc_u32 v20, 21, v3 :: v_dual_add_nc_u32 v25, 20, v3
	s_delay_alu instid0(VALU_DEP_1) | instskip(NEXT) | instid1(VALU_DEP_2)
	v_lshlrev_b64_e64 v[20:21], v20, -1
	v_lshlrev_b64_e64 v[96:97], v25, 1
	s_delay_alu instid0(VALU_DEP_2) | instskip(SKIP_1) | instid1(VALU_DEP_4)
	v_bfi_b32 v20, v20, 0, v86
	v_lshrrev_b64 v[86:87], v3, v[86:87]
	v_bfi_b32 v21, v21, 0, 0
	s_delay_alu instid0(VALU_DEP_1) | instskip(NEXT) | instid1(VALU_DEP_3)
	v_cmp_eq_u64_e64 s10, v[20:21], v[96:97]
	v_mov_b64_e32 v[96:97], v[86:87]
	s_and_saveexec_b32 s41, s10
; %bb.10345:                            ;   in Loop: Header=BB4_9783 Depth=2
	v_bfe_u32 v20, v86, 21, 1
	v_mov_b32_e32 v21, v15
	s_delay_alu instid0(VALU_DEP_1) | instskip(NEXT) | instid1(VALU_DEP_1)
	v_add_nc_u64_e32 v[20:21], v[86:87], v[20:21]
	v_add_nc_u64_e32 v[96:97], -1, v[20:21]
; %bb.10346:                            ;   in Loop: Header=BB4_9783 Depth=2
	s_or_b32 exec_lo, exec_lo, s41
	v_add_nc_u32_e32 v2, 0xffffff81, v2
	v_lshrrev_b32_e32 v14, 23, v86
	s_mov_b32 s10, exec_lo
	s_delay_alu instid0(VALU_DEP_2) | instskip(NEXT) | instid1(VALU_DEP_1)
	v_cndmask_b32_e64 v2, v2, 0xffffff82, vcc_lo
	v_add3_u32 v3, v3, v2, v14
	v_and_b32_e32 v2, 0x1fffff, v96
	s_delay_alu instid0(VALU_DEP_1) | instskip(NEXT) | instid1(VALU_DEP_1)
	v_dual_add_nc_u32 v20, 14, v3 :: v_dual_add_nc_u32 v14, v2, v86
                                        ; implicit-def: $vgpr86_vgpr87
                                        ; implicit-def: $vgpr2
	v_cmpx_ne_u32_e32 0, v20
	s_xor_b32 s10, exec_lo, s10
; %bb.10347:                            ;   in Loop: Header=BB4_9783 Depth=2
	s_delay_alu instid0(VALU_DEP_2) | instskip(SKIP_2) | instid1(VALU_DEP_2)
	v_cmp_lt_u64_e32 vcc_lo, 0xffffff, v[14:15]
	v_add_nc_u32_e32 v2, 15, v3
	v_cndmask_b32_e64 v3, 0, 1, vcc_lo
	v_cndmask_b32_e32 v2, v20, v2, vcc_lo
	s_delay_alu instid0(VALU_DEP_2)
	v_lshrrev_b64 v[86:87], v3, v[14:15]
; %bb.10348:                            ;   in Loop: Header=BB4_9783 Depth=2
	s_and_not1_saveexec_b32 s10, s10
; %bb.10349:                            ;   in Loop: Header=BB4_9783 Depth=2
	v_mov_b64_e32 v[86:87], v[14:15]
	v_bfe_u32 v2, v14, 23, 1
; %bb.10350:                            ;   in Loop: Header=BB4_9783 Depth=2
	s_or_b32 exec_lo, exec_lo, s10
	s_delay_alu instid0(VALU_DEP_2) | instskip(NEXT) | instid1(VALU_DEP_2)
	v_lshrrev_b64 v[20:21], 21, v[86:87]
	v_cmp_gt_i32_e32 vcc_lo, 32, v2
	v_min_i32_e32 v3, 31, v2
	v_cmp_eq_u32_e64 s10, 0, v2
	s_delay_alu instid0(VALU_DEP_2) | instskip(SKIP_1) | instid1(VALU_DEP_2)
	v_dual_cndmask_b32 v21, 0, v21, vcc_lo :: v_dual_lshlrev_b32 v3, 2, v3
	v_cndmask_b32_e32 v20, 3, v20, vcc_lo
	v_and_b32_e32 v3, 0xfc, v3
	s_delay_alu instid0(VALU_DEP_2) | instskip(NEXT) | instid1(VALU_DEP_2)
	v_cmp_eq_u64_e32 vcc_lo, 0, v[20:21]
	v_and_or_b32 v2, v20, 3, v3
	s_and_b32 s10, s10, vcc_lo
	s_delay_alu instid0(VALU_DEP_1) | instid1(SALU_CYCLE_1)
	v_cndmask_b32_e64 v2, v2, 0, s10
	s_delay_alu instid0(VALU_DEP_1)
	v_or_b32_e32 v56, v2, v0
.LBB4_10351:                            ;   in Loop: Header=BB4_9783 Depth=2
	s_or_b32 exec_lo, exec_lo, s40
                                        ; implicit-def: $vgpr0
.LBB4_10352:                            ;   in Loop: Header=BB4_9783 Depth=2
	s_and_not1_saveexec_b32 s10, s29
; %bb.10353:                            ;   in Loop: Header=BB4_9783 Depth=2
	v_or_b32_e32 v56, 0x7b, v0
; %bb.10354:                            ;   in Loop: Header=BB4_9783 Depth=2
	s_or_b32 exec_lo, exec_lo, s10
                                        ; implicit-def: $vgpr2
                                        ; implicit-def: $vgpr0
.LBB4_10355:                            ;   in Loop: Header=BB4_9783 Depth=2
	s_and_not1_saveexec_b32 s10, s28
	s_cbranch_execz .LBB4_10361
; %bb.10356:                            ;   in Loop: Header=BB4_9783 Depth=2
	s_mov_b32 s28, exec_lo
                                        ; implicit-def: $vgpr56
	v_cmpx_ne_u64_e32 0, v[14:15]
	s_xor_b32 s28, exec_lo, s28
; %bb.10357:                            ;   in Loop: Header=BB4_9783 Depth=2
	v_or_b32_e32 v56, 0x7f, v0
                                        ; implicit-def: $vgpr2
; %bb.10358:                            ;   in Loop: Header=BB4_9783 Depth=2
	s_and_not1_saveexec_b32 s28, s28
; %bb.10359:                            ;   in Loop: Header=BB4_9783 Depth=2
	v_cmp_lt_i32_e32 vcc_lo, -1, v2
	v_cndmask_b32_e32 v56, 0xfc, v101, vcc_lo
; %bb.10360:                            ;   in Loop: Header=BB4_9783 Depth=2
	s_or_b32 exec_lo, exec_lo, s28
.LBB4_10361:                            ;   in Loop: Header=BB4_9783 Depth=2
	s_delay_alu instid0(SALU_CYCLE_1)
	s_or_b32 exec_lo, exec_lo, s10
	v_mov_b32_e32 v0, 0
	s_mov_b32 s10, exec_lo
	v_cmpx_lt_u32_e32 0xffffff, v10
	s_cbranch_execz .LBB4_10371
; %bb.10362:                            ;   in Loop: Header=BB4_9783 Depth=2
	v_lshrrev_b32_e32 v14, 24, v10
	v_bfrev_b32_e32 v0, 1
	s_mov_b32 s28, exec_lo
	s_delay_alu instid0(VALU_DEP_2)
	v_cmpx_ne_u32_e32 0x80, v14
	s_cbranch_execz .LBB4_10370
; %bb.10363:                            ;   in Loop: Header=BB4_9783 Depth=2
	v_and_b32_e32 v0, 0x7c000000, v10
	v_bfe_u32 v2, v10, 24, 2
	s_delay_alu instid0(VALU_DEP_2) | instskip(SKIP_1) | instid1(SALU_CYCLE_1)
	v_cmp_ne_u32_e32 vcc_lo, 0x7c000000, v0
                                        ; implicit-def: $vgpr0
	s_and_saveexec_b32 s29, vcc_lo
	s_xor_b32 s29, exec_lo, s29
	s_cbranch_execz .LBB4_10367
; %bb.10364:                            ;   in Loop: Header=BB4_9783 Depth=2
	v_bfe_u32 v0, v10, 26, 5
	s_mov_b32 s40, exec_lo
	s_delay_alu instid0(VALU_DEP_1)
	v_cmpx_eq_u32_e32 0, v0
; %bb.10365:                            ;   in Loop: Header=BB4_9783 Depth=2
	v_clz_i32_u32_e32 v0, v2
	s_delay_alu instid0(VALU_DEP_1) | instskip(NEXT) | instid1(VALU_DEP_1)
	v_min_u32_e32 v0, 32, v0
	v_subrev_nc_u32_e32 v2, 29, v0
	s_delay_alu instid0(VALU_DEP_1) | instskip(NEXT) | instid1(VALU_DEP_1)
	v_lshlrev_b64_e32 v[2:3], v2, v[14:15]
	v_dual_sub_nc_u32 v0, 30, v0 :: v_dual_bitop2_b32 v2, 3, v2 bitop3:0x40
; %bb.10366:                            ;   in Loop: Header=BB4_9783 Depth=2
	s_or_b32 exec_lo, exec_lo, s40
	v_and_b32_e32 v3, 0x80000000, v10
	s_delay_alu instid0(VALU_DEP_1) | instskip(NEXT) | instid1(VALU_DEP_1)
	v_lshl_add_u32 v0, v0, 23, v3
	v_lshl_or_b32 v0, v2, 21, v0
                                        ; implicit-def: $vgpr2
	s_delay_alu instid0(VALU_DEP_1)
	v_add_nc_u32_e32 v0, 0x38000000, v0
.LBB4_10367:                            ;   in Loop: Header=BB4_9783 Depth=2
	s_and_not1_saveexec_b32 s29, s29
; %bb.10368:                            ;   in Loop: Header=BB4_9783 Depth=2
	v_cmp_lt_i32_e32 vcc_lo, -1, v10
	v_cndmask_b32_e32 v0, 0xff800000, v100, vcc_lo
	v_cmp_eq_u32_e32 vcc_lo, 0, v2
	s_delay_alu instid0(VALU_DEP_2)
	v_cndmask_b32_e32 v0, 0x7f800001, v0, vcc_lo
; %bb.10369:                            ;   in Loop: Header=BB4_9783 Depth=2
	s_or_b32 exec_lo, exec_lo, s29
.LBB4_10370:                            ;   in Loop: Header=BB4_9783 Depth=2
	s_delay_alu instid0(SALU_CYCLE_1)
	s_or_b32 exec_lo, exec_lo, s28
.LBB4_10371:                            ;   in Loop: Header=BB4_9783 Depth=2
	s_delay_alu instid0(SALU_CYCLE_1) | instskip(NEXT) | instid1(VALU_DEP_1)
	s_or_b32 exec_lo, exec_lo, s10
	v_dual_mul_f32 v2, s27, v0 :: v_dual_mov_b32 v21, v15
                                        ; implicit-def: $vgpr57
	s_mov_b32 s10, exec_lo
	s_delay_alu instid0(VALU_DEP_1) | instskip(SKIP_2) | instid1(VALU_DEP_3)
	v_and_b32_e32 v20, 0x7f800000, v2
	v_and_b32_e32 v14, 0x7fffff, v2
	v_lshrrev_b32_e32 v0, 24, v2
	v_cmpx_ne_u64_e32 0x7f800000, v[20:21]
	s_xor_b32 s28, exec_lo, s10
	s_cbranch_execz .LBB4_10385
; %bb.10372:                            ;   in Loop: Header=BB4_9783 Depth=2
	v_and_b32_e32 v20, 0x7fffffff, v2
	v_mov_b32_e32 v21, v15
	v_and_b32_e32 v0, 0x80, v0
                                        ; implicit-def: $vgpr57
	s_mov_b32 s10, exec_lo
	s_delay_alu instid0(VALU_DEP_2)
	v_cmpx_gt_u64_e32 0x47600001, v[20:21]
	s_xor_b32 s29, exec_lo, s10
	s_cbranch_execz .LBB4_10382
; %bb.10373:                            ;   in Loop: Header=BB4_9783 Depth=2
	v_mov_b32_e32 v57, 0
	s_mov_b32 s40, exec_lo
	v_cmpx_ne_u32_e32 0, v2
	s_cbranch_execz .LBB4_10381
; %bb.10374:                            ;   in Loop: Header=BB4_9783 Depth=2
	v_bfe_u32 v2, v2, 23, 8
	v_or_b32_e32 v24, 0x800000, v14
	v_mov_b32_e32 v87, v15
	s_delay_alu instid0(VALU_DEP_3) | instskip(SKIP_1) | instid1(VALU_DEP_2)
	v_sub_nc_u32_e32 v3, 0x71, v2
	v_cmp_gt_u32_e32 vcc_lo, 0x72, v2
	v_cndmask_b32_e32 v3, 0, v3, vcc_lo
	v_cmp_eq_u32_e32 vcc_lo, 0, v2
	v_cndmask_b32_e32 v86, v24, v14, vcc_lo
	s_delay_alu instid0(VALU_DEP_3) | instskip(NEXT) | instid1(VALU_DEP_1)
	v_cndmask_b32_e64 v3, v3, 0x70, vcc_lo
	v_dual_add_nc_u32 v20, 21, v3 :: v_dual_add_nc_u32 v25, 20, v3
	s_delay_alu instid0(VALU_DEP_1) | instskip(NEXT) | instid1(VALU_DEP_2)
	v_lshlrev_b64_e64 v[20:21], v20, -1
	v_lshlrev_b64_e64 v[96:97], v25, 1
	s_delay_alu instid0(VALU_DEP_2) | instskip(SKIP_1) | instid1(VALU_DEP_4)
	v_bfi_b32 v20, v20, 0, v86
	v_lshrrev_b64 v[86:87], v3, v[86:87]
	v_bfi_b32 v21, v21, 0, 0
	s_delay_alu instid0(VALU_DEP_1) | instskip(NEXT) | instid1(VALU_DEP_3)
	v_cmp_eq_u64_e64 s10, v[20:21], v[96:97]
	v_mov_b64_e32 v[96:97], v[86:87]
	s_and_saveexec_b32 s41, s10
; %bb.10375:                            ;   in Loop: Header=BB4_9783 Depth=2
	v_bfe_u32 v20, v86, 21, 1
	v_mov_b32_e32 v21, v15
	s_delay_alu instid0(VALU_DEP_1) | instskip(NEXT) | instid1(VALU_DEP_1)
	v_add_nc_u64_e32 v[20:21], v[86:87], v[20:21]
	v_add_nc_u64_e32 v[96:97], -1, v[20:21]
; %bb.10376:                            ;   in Loop: Header=BB4_9783 Depth=2
	s_or_b32 exec_lo, exec_lo, s41
	v_add_nc_u32_e32 v2, 0xffffff81, v2
	v_lshrrev_b32_e32 v14, 23, v86
	s_mov_b32 s10, exec_lo
	s_delay_alu instid0(VALU_DEP_2) | instskip(NEXT) | instid1(VALU_DEP_1)
	v_cndmask_b32_e64 v2, v2, 0xffffff82, vcc_lo
	v_add3_u32 v3, v3, v2, v14
	v_and_b32_e32 v2, 0x1fffff, v96
	s_delay_alu instid0(VALU_DEP_1) | instskip(NEXT) | instid1(VALU_DEP_1)
	v_dual_add_nc_u32 v20, 14, v3 :: v_dual_add_nc_u32 v14, v2, v86
                                        ; implicit-def: $vgpr86_vgpr87
                                        ; implicit-def: $vgpr2
	v_cmpx_ne_u32_e32 0, v20
	s_xor_b32 s10, exec_lo, s10
; %bb.10377:                            ;   in Loop: Header=BB4_9783 Depth=2
	s_delay_alu instid0(VALU_DEP_2) | instskip(SKIP_2) | instid1(VALU_DEP_2)
	v_cmp_lt_u64_e32 vcc_lo, 0xffffff, v[14:15]
	v_add_nc_u32_e32 v2, 15, v3
	v_cndmask_b32_e64 v3, 0, 1, vcc_lo
	v_cndmask_b32_e32 v2, v20, v2, vcc_lo
	s_delay_alu instid0(VALU_DEP_2)
	v_lshrrev_b64 v[86:87], v3, v[14:15]
; %bb.10378:                            ;   in Loop: Header=BB4_9783 Depth=2
	s_and_not1_saveexec_b32 s10, s10
; %bb.10379:                            ;   in Loop: Header=BB4_9783 Depth=2
	v_mov_b64_e32 v[86:87], v[14:15]
	v_bfe_u32 v2, v14, 23, 1
; %bb.10380:                            ;   in Loop: Header=BB4_9783 Depth=2
	s_or_b32 exec_lo, exec_lo, s10
	s_delay_alu instid0(VALU_DEP_2) | instskip(NEXT) | instid1(VALU_DEP_2)
	v_lshrrev_b64 v[20:21], 21, v[86:87]
	v_cmp_gt_i32_e32 vcc_lo, 32, v2
	v_min_i32_e32 v3, 31, v2
	v_cmp_eq_u32_e64 s10, 0, v2
	s_delay_alu instid0(VALU_DEP_2) | instskip(SKIP_1) | instid1(VALU_DEP_2)
	v_dual_cndmask_b32 v21, 0, v21, vcc_lo :: v_dual_lshlrev_b32 v3, 2, v3
	v_cndmask_b32_e32 v20, 3, v20, vcc_lo
	v_and_b32_e32 v3, 0xfc, v3
	s_delay_alu instid0(VALU_DEP_2) | instskip(NEXT) | instid1(VALU_DEP_2)
	v_cmp_eq_u64_e32 vcc_lo, 0, v[20:21]
	v_and_or_b32 v2, v20, 3, v3
	s_and_b32 s10, s10, vcc_lo
	s_delay_alu instid0(VALU_DEP_1) | instid1(SALU_CYCLE_1)
	v_cndmask_b32_e64 v2, v2, 0, s10
	s_delay_alu instid0(VALU_DEP_1)
	v_or_b32_e32 v57, v2, v0
.LBB4_10381:                            ;   in Loop: Header=BB4_9783 Depth=2
	s_or_b32 exec_lo, exec_lo, s40
                                        ; implicit-def: $vgpr0
.LBB4_10382:                            ;   in Loop: Header=BB4_9783 Depth=2
	s_and_not1_saveexec_b32 s10, s29
; %bb.10383:                            ;   in Loop: Header=BB4_9783 Depth=2
	v_or_b32_e32 v57, 0x7b, v0
; %bb.10384:                            ;   in Loop: Header=BB4_9783 Depth=2
	s_or_b32 exec_lo, exec_lo, s10
                                        ; implicit-def: $vgpr2
                                        ; implicit-def: $vgpr0
.LBB4_10385:                            ;   in Loop: Header=BB4_9783 Depth=2
	s_and_not1_saveexec_b32 s10, s28
	s_cbranch_execz .LBB4_10391
; %bb.10386:                            ;   in Loop: Header=BB4_9783 Depth=2
	s_mov_b32 s28, exec_lo
                                        ; implicit-def: $vgpr57
	v_cmpx_ne_u64_e32 0, v[14:15]
	s_xor_b32 s28, exec_lo, s28
; %bb.10387:                            ;   in Loop: Header=BB4_9783 Depth=2
	v_or_b32_e32 v57, 0x7f, v0
                                        ; implicit-def: $vgpr2
; %bb.10388:                            ;   in Loop: Header=BB4_9783 Depth=2
	s_and_not1_saveexec_b32 s28, s28
; %bb.10389:                            ;   in Loop: Header=BB4_9783 Depth=2
	v_cmp_lt_i32_e32 vcc_lo, -1, v2
	v_cndmask_b32_e32 v57, 0xfc, v101, vcc_lo
; %bb.10390:                            ;   in Loop: Header=BB4_9783 Depth=2
	s_or_b32 exec_lo, exec_lo, s28
.LBB4_10391:                            ;   in Loop: Header=BB4_9783 Depth=2
	s_delay_alu instid0(SALU_CYCLE_1) | instskip(SKIP_3) | instid1(VALU_DEP_2)
	s_or_b32 exec_lo, exec_lo, s10
	v_and_b32_e32 v0, 0xff, v11
	v_dual_mov_b32 v14, v11 :: v_dual_mov_b32 v2, 0
	s_mov_b32 s10, exec_lo
	v_cmpx_ne_u16_e32 0, v0
	s_cbranch_execz .LBB4_10401
; %bb.10392:                            ;   in Loop: Header=BB4_9783 Depth=2
	v_bfrev_b32_e32 v2, 1
	s_mov_b32 s28, exec_lo
	v_cmpx_ne_u16_e32 0x80, v0
	s_cbranch_execz .LBB4_10400
; %bb.10393:                            ;   in Loop: Header=BB4_9783 Depth=2
	v_and_b32_e32 v2, 0x7c, v11
	v_and_b32_e32 v0, 3, v11
	s_delay_alu instid0(VALU_DEP_2) | instskip(SKIP_1) | instid1(SALU_CYCLE_1)
	v_cmp_ne_u32_e32 vcc_lo, 0x7c, v2
                                        ; implicit-def: $vgpr2
	s_and_saveexec_b32 s29, vcc_lo
	s_xor_b32 s29, exec_lo, s29
	s_cbranch_execz .LBB4_10397
; %bb.10394:                            ;   in Loop: Header=BB4_9783 Depth=2
	v_bfe_u32 v2, v11, 2, 5
	s_mov_b32 s40, exec_lo
	s_delay_alu instid0(VALU_DEP_1)
	v_cmpx_eq_u32_e32 0, v2
; %bb.10395:                            ;   in Loop: Header=BB4_9783 Depth=2
	v_clz_i32_u32_e32 v0, v0
	s_delay_alu instid0(VALU_DEP_1) | instskip(NEXT) | instid1(VALU_DEP_1)
	v_min_u32_e32 v0, 32, v0
	v_subrev_nc_u32_e32 v2, 29, v0
	s_delay_alu instid0(VALU_DEP_1) | instskip(SKIP_1) | instid1(VALU_DEP_2)
	v_lshlrev_b64_e32 v[20:21], v2, v[14:15]
	v_sub_nc_u32_e32 v2, 30, v0
	v_and_b32_e32 v0, 3, v20
; %bb.10396:                            ;   in Loop: Header=BB4_9783 Depth=2
	s_or_b32 exec_lo, exec_lo, s40
	v_lshlrev_b32_e32 v3, 24, v11
	s_delay_alu instid0(VALU_DEP_1) | instskip(NEXT) | instid1(VALU_DEP_1)
	v_and_b32_e32 v3, 0x80000000, v3
	v_lshl_add_u32 v2, v2, 23, v3
	s_delay_alu instid0(VALU_DEP_1) | instskip(NEXT) | instid1(VALU_DEP_1)
	v_lshl_or_b32 v0, v0, 21, v2
	v_add_nc_u32_e32 v2, 0x38000000, v0
                                        ; implicit-def: $vgpr0
.LBB4_10397:                            ;   in Loop: Header=BB4_9783 Depth=2
	s_and_not1_saveexec_b32 s29, s29
; %bb.10398:                            ;   in Loop: Header=BB4_9783 Depth=2
	v_bfe_i32 v2, v11, 0, 8
	s_delay_alu instid0(VALU_DEP_1) | instskip(SKIP_2) | instid1(VALU_DEP_2)
	v_cmp_lt_i16_e32 vcc_lo, -1, v2
	v_cndmask_b32_e32 v2, 0xff800000, v100, vcc_lo
	v_cmp_eq_u32_e32 vcc_lo, 0, v0
	v_cndmask_b32_e32 v2, 0x7f800001, v2, vcc_lo
; %bb.10399:                            ;   in Loop: Header=BB4_9783 Depth=2
	s_or_b32 exec_lo, exec_lo, s29
.LBB4_10400:                            ;   in Loop: Header=BB4_9783 Depth=2
	s_delay_alu instid0(SALU_CYCLE_1)
	s_or_b32 exec_lo, exec_lo, s28
.LBB4_10401:                            ;   in Loop: Header=BB4_9783 Depth=2
	s_delay_alu instid0(SALU_CYCLE_1) | instskip(NEXT) | instid1(VALU_DEP_1)
	s_or_b32 exec_lo, exec_lo, s10
	v_dual_mul_f32 v2, s27, v2 :: v_dual_mov_b32 v21, v15
	v_mov_b32_e32 v87, v15
                                        ; implicit-def: $vgpr58
	s_mov_b32 s10, exec_lo
	s_delay_alu instid0(VALU_DEP_2) | instskip(SKIP_2) | instid1(VALU_DEP_3)
	v_and_b32_e32 v20, 0x7f800000, v2
	v_and_b32_e32 v86, 0x7fffff, v2
	v_lshrrev_b32_e32 v0, 24, v2
	v_cmpx_ne_u64_e32 0x7f800000, v[20:21]
	s_xor_b32 s28, exec_lo, s10
	s_cbranch_execz .LBB4_10415
; %bb.10402:                            ;   in Loop: Header=BB4_9783 Depth=2
	v_and_b32_e32 v20, 0x7fffffff, v2
	v_mov_b32_e32 v21, v15
	v_and_b32_e32 v0, 0x80, v0
                                        ; implicit-def: $vgpr58
	s_mov_b32 s10, exec_lo
	s_delay_alu instid0(VALU_DEP_2)
	v_cmpx_gt_u64_e32 0x47600001, v[20:21]
	s_xor_b32 s29, exec_lo, s10
	s_cbranch_execz .LBB4_10412
; %bb.10403:                            ;   in Loop: Header=BB4_9783 Depth=2
	v_mov_b32_e32 v58, 0
	s_mov_b32 s40, exec_lo
	v_cmpx_ne_u32_e32 0, v2
	s_cbranch_execz .LBB4_10411
; %bb.10404:                            ;   in Loop: Header=BB4_9783 Depth=2
	v_bfe_u32 v2, v2, 23, 8
	v_or_b32_e32 v24, 0x800000, v86
	s_delay_alu instid0(VALU_DEP_2) | instskip(SKIP_1) | instid1(VALU_DEP_2)
	v_sub_nc_u32_e32 v3, 0x71, v2
	v_cmp_gt_u32_e32 vcc_lo, 0x72, v2
	v_cndmask_b32_e32 v3, 0, v3, vcc_lo
	v_cmp_eq_u32_e32 vcc_lo, 0, v2
	v_cndmask_b32_e32 v86, v24, v86, vcc_lo
	s_delay_alu instid0(VALU_DEP_3) | instskip(NEXT) | instid1(VALU_DEP_1)
	v_cndmask_b32_e64 v3, v3, 0x70, vcc_lo
	v_dual_add_nc_u32 v20, 21, v3 :: v_dual_add_nc_u32 v25, 20, v3
	s_delay_alu instid0(VALU_DEP_1) | instskip(NEXT) | instid1(VALU_DEP_2)
	v_lshlrev_b64_e64 v[20:21], v20, -1
	v_lshlrev_b64_e64 v[96:97], v25, 1
	s_delay_alu instid0(VALU_DEP_2) | instskip(SKIP_1) | instid1(VALU_DEP_4)
	v_bfi_b32 v20, v20, 0, v86
	v_lshrrev_b64 v[86:87], v3, v[86:87]
	v_bfi_b32 v21, v21, 0, 0
	s_delay_alu instid0(VALU_DEP_1) | instskip(NEXT) | instid1(VALU_DEP_3)
	v_cmp_eq_u64_e64 s10, v[20:21], v[96:97]
	v_mov_b64_e32 v[96:97], v[86:87]
	s_and_saveexec_b32 s41, s10
; %bb.10405:                            ;   in Loop: Header=BB4_9783 Depth=2
	v_bfe_u32 v20, v86, 21, 1
	v_mov_b32_e32 v21, v15
	s_delay_alu instid0(VALU_DEP_1) | instskip(NEXT) | instid1(VALU_DEP_1)
	v_add_nc_u64_e32 v[20:21], v[86:87], v[20:21]
	v_add_nc_u64_e32 v[96:97], -1, v[20:21]
; %bb.10406:                            ;   in Loop: Header=BB4_9783 Depth=2
	s_or_b32 exec_lo, exec_lo, s41
	v_dual_mov_b32 v87, v15 :: v_dual_add_nc_u32 v2, 0xffffff81, v2
	v_lshrrev_b32_e32 v20, 23, v86
	s_mov_b32 s10, exec_lo
	s_delay_alu instid0(VALU_DEP_2) | instskip(NEXT) | instid1(VALU_DEP_1)
	v_cndmask_b32_e64 v2, v2, 0xffffff82, vcc_lo
	v_add3_u32 v3, v3, v2, v20
	v_and_b32_e32 v2, 0x1fffff, v96
	s_delay_alu instid0(VALU_DEP_1) | instskip(NEXT) | instid1(VALU_DEP_1)
	v_dual_add_nc_u32 v20, 14, v3 :: v_dual_add_nc_u32 v86, v2, v86
                                        ; implicit-def: $vgpr2
	v_cmpx_ne_u32_e32 0, v20
	s_xor_b32 s10, exec_lo, s10
; %bb.10407:                            ;   in Loop: Header=BB4_9783 Depth=2
	s_delay_alu instid0(VALU_DEP_2) | instskip(SKIP_2) | instid1(VALU_DEP_2)
	v_cmp_lt_u64_e32 vcc_lo, 0xffffff, v[86:87]
	v_add_nc_u32_e32 v2, 15, v3
	v_cndmask_b32_e64 v3, 0, 1, vcc_lo
	v_cndmask_b32_e32 v2, v20, v2, vcc_lo
	s_delay_alu instid0(VALU_DEP_2)
	v_lshrrev_b64 v[86:87], v3, v[86:87]
; %bb.10408:                            ;   in Loop: Header=BB4_9783 Depth=2
	s_and_not1_saveexec_b32 s10, s10
; %bb.10409:                            ;   in Loop: Header=BB4_9783 Depth=2
	s_delay_alu instid0(VALU_DEP_1)
	v_bfe_u32 v2, v86, 23, 1
; %bb.10410:                            ;   in Loop: Header=BB4_9783 Depth=2
	s_or_b32 exec_lo, exec_lo, s10
	s_delay_alu instid0(VALU_DEP_2) | instskip(NEXT) | instid1(VALU_DEP_2)
	v_lshrrev_b64 v[20:21], 21, v[86:87]
	v_cmp_gt_i32_e32 vcc_lo, 32, v2
	v_min_i32_e32 v3, 31, v2
	v_cmp_eq_u32_e64 s10, 0, v2
	s_delay_alu instid0(VALU_DEP_2) | instskip(SKIP_1) | instid1(VALU_DEP_2)
	v_dual_cndmask_b32 v21, 0, v21, vcc_lo :: v_dual_lshlrev_b32 v3, 2, v3
	v_cndmask_b32_e32 v20, 3, v20, vcc_lo
	v_and_b32_e32 v3, 0xfc, v3
	s_delay_alu instid0(VALU_DEP_2) | instskip(NEXT) | instid1(VALU_DEP_2)
	v_cmp_eq_u64_e32 vcc_lo, 0, v[20:21]
	v_and_or_b32 v2, v20, 3, v3
	s_and_b32 s10, s10, vcc_lo
	s_delay_alu instid0(VALU_DEP_1) | instid1(SALU_CYCLE_1)
	v_cndmask_b32_e64 v2, v2, 0, s10
	s_delay_alu instid0(VALU_DEP_1)
	v_or_b32_e32 v58, v2, v0
.LBB4_10411:                            ;   in Loop: Header=BB4_9783 Depth=2
	s_or_b32 exec_lo, exec_lo, s40
                                        ; implicit-def: $vgpr0
.LBB4_10412:                            ;   in Loop: Header=BB4_9783 Depth=2
	s_and_not1_saveexec_b32 s10, s29
; %bb.10413:                            ;   in Loop: Header=BB4_9783 Depth=2
	v_or_b32_e32 v58, 0x7b, v0
; %bb.10414:                            ;   in Loop: Header=BB4_9783 Depth=2
	s_or_b32 exec_lo, exec_lo, s10
                                        ; implicit-def: $vgpr2
                                        ; implicit-def: $vgpr86_vgpr87
                                        ; implicit-def: $vgpr0
.LBB4_10415:                            ;   in Loop: Header=BB4_9783 Depth=2
	s_and_not1_saveexec_b32 s10, s28
	s_cbranch_execz .LBB4_10421
; %bb.10416:                            ;   in Loop: Header=BB4_9783 Depth=2
	s_mov_b32 s28, exec_lo
                                        ; implicit-def: $vgpr58
	v_cmpx_ne_u64_e32 0, v[86:87]
	s_xor_b32 s28, exec_lo, s28
; %bb.10417:                            ;   in Loop: Header=BB4_9783 Depth=2
	v_or_b32_e32 v58, 0x7f, v0
                                        ; implicit-def: $vgpr2
; %bb.10418:                            ;   in Loop: Header=BB4_9783 Depth=2
	s_and_not1_saveexec_b32 s28, s28
; %bb.10419:                            ;   in Loop: Header=BB4_9783 Depth=2
	v_cmp_lt_i32_e32 vcc_lo, -1, v2
	v_cndmask_b32_e32 v58, 0xfc, v101, vcc_lo
; %bb.10420:                            ;   in Loop: Header=BB4_9783 Depth=2
	s_or_b32 exec_lo, exec_lo, s28
.LBB4_10421:                            ;   in Loop: Header=BB4_9783 Depth=2
	s_delay_alu instid0(SALU_CYCLE_1) | instskip(SKIP_3) | instid1(VALU_DEP_2)
	s_or_b32 exec_lo, exec_lo, s10
	v_lshrrev_b16 v86, 8, v14
	v_mov_b32_e32 v2, 0
	s_mov_b32 s10, exec_lo
	v_cmpx_ne_u16_e32 0, v86
	s_cbranch_execz .LBB4_10431
; %bb.10422:                            ;   in Loop: Header=BB4_9783 Depth=2
	v_bfrev_b32_e32 v2, 1
	s_mov_b32 s28, exec_lo
	v_cmpx_ne_u16_e32 0x80, v86
	s_cbranch_execz .LBB4_10430
; %bb.10423:                            ;   in Loop: Header=BB4_9783 Depth=2
	v_and_b32_e32 v3, 0xffff, v86
	s_delay_alu instid0(VALU_DEP_1) | instskip(SKIP_1) | instid1(VALU_DEP_2)
	v_and_b32_e32 v2, 0x7c, v3
	v_and_b32_e32 v0, 3, v3
	v_cmp_ne_u32_e32 vcc_lo, 0x7c, v2
                                        ; implicit-def: $vgpr2
	s_and_saveexec_b32 s29, vcc_lo
	s_delay_alu instid0(SALU_CYCLE_1)
	s_xor_b32 s29, exec_lo, s29
	s_cbranch_execz .LBB4_10427
; %bb.10424:                            ;   in Loop: Header=BB4_9783 Depth=2
	v_bfe_u32 v2, v3, 2, 5
	s_mov_b32 s40, exec_lo
	s_delay_alu instid0(VALU_DEP_1)
	v_cmpx_eq_u32_e32 0, v2
	s_cbranch_execz .LBB4_10426
; %bb.10425:                            ;   in Loop: Header=BB4_9783 Depth=2
	v_clz_i32_u32_e32 v0, v0
	s_delay_alu instid0(VALU_DEP_1) | instskip(SKIP_1) | instid1(VALU_DEP_2)
	v_min_u32_e32 v0, 32, v0
	v_mov_b32_e32 v87, v15
	v_subrev_nc_u32_e32 v2, 29, v0
	s_delay_alu instid0(VALU_DEP_1) | instskip(SKIP_1) | instid1(VALU_DEP_2)
	v_lshlrev_b64_e32 v[20:21], v2, v[86:87]
	v_sub_nc_u32_e32 v2, 30, v0
	v_and_b32_e32 v0, 3, v20
.LBB4_10426:                            ;   in Loop: Header=BB4_9783 Depth=2
	s_or_b32 exec_lo, exec_lo, s40
	v_lshlrev_b32_e32 v3, 16, v14
	s_delay_alu instid0(VALU_DEP_1) | instskip(NEXT) | instid1(VALU_DEP_1)
	v_and_b32_e32 v3, 0x80000000, v3
	v_lshl_add_u32 v2, v2, 23, v3
	s_delay_alu instid0(VALU_DEP_1) | instskip(NEXT) | instid1(VALU_DEP_1)
	v_lshl_or_b32 v0, v0, 21, v2
	v_add_nc_u32_e32 v2, 0x38000000, v0
                                        ; implicit-def: $vgpr0
.LBB4_10427:                            ;   in Loop: Header=BB4_9783 Depth=2
	s_and_not1_saveexec_b32 s29, s29
; %bb.10428:                            ;   in Loop: Header=BB4_9783 Depth=2
	v_cmp_lt_i16_e32 vcc_lo, -1, v14
	v_cndmask_b32_e32 v2, 0xff800000, v100, vcc_lo
	v_cmp_eq_u32_e32 vcc_lo, 0, v0
	s_delay_alu instid0(VALU_DEP_2)
	v_cndmask_b32_e32 v2, 0x7f800001, v2, vcc_lo
; %bb.10429:                            ;   in Loop: Header=BB4_9783 Depth=2
	s_or_b32 exec_lo, exec_lo, s29
.LBB4_10430:                            ;   in Loop: Header=BB4_9783 Depth=2
	s_delay_alu instid0(SALU_CYCLE_1)
	s_or_b32 exec_lo, exec_lo, s28
.LBB4_10431:                            ;   in Loop: Header=BB4_9783 Depth=2
	s_delay_alu instid0(SALU_CYCLE_1) | instskip(NEXT) | instid1(VALU_DEP_1)
	s_or_b32 exec_lo, exec_lo, s10
	v_dual_mul_f32 v2, s27, v2 :: v_dual_mov_b32 v21, v15
                                        ; implicit-def: $vgpr59
	s_mov_b32 s10, exec_lo
	s_delay_alu instid0(VALU_DEP_1) | instskip(SKIP_2) | instid1(VALU_DEP_3)
	v_and_b32_e32 v20, 0x7f800000, v2
	v_and_b32_e32 v14, 0x7fffff, v2
	v_lshrrev_b32_e32 v0, 24, v2
	v_cmpx_ne_u64_e32 0x7f800000, v[20:21]
	s_xor_b32 s28, exec_lo, s10
	s_cbranch_execz .LBB4_10445
; %bb.10432:                            ;   in Loop: Header=BB4_9783 Depth=2
	v_and_b32_e32 v20, 0x7fffffff, v2
	v_mov_b32_e32 v21, v15
	v_and_b32_e32 v0, 0x80, v0
                                        ; implicit-def: $vgpr59
	s_mov_b32 s10, exec_lo
	s_delay_alu instid0(VALU_DEP_2)
	v_cmpx_gt_u64_e32 0x47600001, v[20:21]
	s_xor_b32 s29, exec_lo, s10
	s_cbranch_execz .LBB4_10442
; %bb.10433:                            ;   in Loop: Header=BB4_9783 Depth=2
	v_mov_b32_e32 v59, 0
	s_mov_b32 s40, exec_lo
	v_cmpx_ne_u32_e32 0, v2
	s_cbranch_execz .LBB4_10441
; %bb.10434:                            ;   in Loop: Header=BB4_9783 Depth=2
	v_bfe_u32 v2, v2, 23, 8
	v_or_b32_e32 v24, 0x800000, v14
	v_mov_b32_e32 v87, v15
	s_delay_alu instid0(VALU_DEP_3) | instskip(SKIP_1) | instid1(VALU_DEP_2)
	v_sub_nc_u32_e32 v3, 0x71, v2
	v_cmp_gt_u32_e32 vcc_lo, 0x72, v2
	v_cndmask_b32_e32 v3, 0, v3, vcc_lo
	v_cmp_eq_u32_e32 vcc_lo, 0, v2
	v_cndmask_b32_e32 v86, v24, v14, vcc_lo
	s_delay_alu instid0(VALU_DEP_3) | instskip(NEXT) | instid1(VALU_DEP_1)
	v_cndmask_b32_e64 v3, v3, 0x70, vcc_lo
	v_dual_add_nc_u32 v20, 21, v3 :: v_dual_add_nc_u32 v25, 20, v3
	s_delay_alu instid0(VALU_DEP_1) | instskip(NEXT) | instid1(VALU_DEP_2)
	v_lshlrev_b64_e64 v[20:21], v20, -1
	v_lshlrev_b64_e64 v[96:97], v25, 1
	s_delay_alu instid0(VALU_DEP_2) | instskip(SKIP_1) | instid1(VALU_DEP_4)
	v_bfi_b32 v20, v20, 0, v86
	v_lshrrev_b64 v[86:87], v3, v[86:87]
	v_bfi_b32 v21, v21, 0, 0
	s_delay_alu instid0(VALU_DEP_1) | instskip(NEXT) | instid1(VALU_DEP_3)
	v_cmp_eq_u64_e64 s10, v[20:21], v[96:97]
	v_mov_b64_e32 v[96:97], v[86:87]
	s_and_saveexec_b32 s41, s10
; %bb.10435:                            ;   in Loop: Header=BB4_9783 Depth=2
	v_bfe_u32 v20, v86, 21, 1
	v_mov_b32_e32 v21, v15
	s_delay_alu instid0(VALU_DEP_1) | instskip(NEXT) | instid1(VALU_DEP_1)
	v_add_nc_u64_e32 v[20:21], v[86:87], v[20:21]
	v_add_nc_u64_e32 v[96:97], -1, v[20:21]
; %bb.10436:                            ;   in Loop: Header=BB4_9783 Depth=2
	s_or_b32 exec_lo, exec_lo, s41
	v_add_nc_u32_e32 v2, 0xffffff81, v2
	v_lshrrev_b32_e32 v14, 23, v86
	s_mov_b32 s10, exec_lo
	s_delay_alu instid0(VALU_DEP_2) | instskip(NEXT) | instid1(VALU_DEP_1)
	v_cndmask_b32_e64 v2, v2, 0xffffff82, vcc_lo
	v_add3_u32 v3, v3, v2, v14
	v_and_b32_e32 v2, 0x1fffff, v96
	s_delay_alu instid0(VALU_DEP_1) | instskip(NEXT) | instid1(VALU_DEP_1)
	v_dual_add_nc_u32 v20, 14, v3 :: v_dual_add_nc_u32 v14, v2, v86
                                        ; implicit-def: $vgpr86_vgpr87
                                        ; implicit-def: $vgpr2
	v_cmpx_ne_u32_e32 0, v20
	s_xor_b32 s10, exec_lo, s10
; %bb.10437:                            ;   in Loop: Header=BB4_9783 Depth=2
	s_delay_alu instid0(VALU_DEP_2) | instskip(SKIP_2) | instid1(VALU_DEP_2)
	v_cmp_lt_u64_e32 vcc_lo, 0xffffff, v[14:15]
	v_add_nc_u32_e32 v2, 15, v3
	v_cndmask_b32_e64 v3, 0, 1, vcc_lo
	v_cndmask_b32_e32 v2, v20, v2, vcc_lo
	s_delay_alu instid0(VALU_DEP_2)
	v_lshrrev_b64 v[86:87], v3, v[14:15]
; %bb.10438:                            ;   in Loop: Header=BB4_9783 Depth=2
	s_and_not1_saveexec_b32 s10, s10
; %bb.10439:                            ;   in Loop: Header=BB4_9783 Depth=2
	v_mov_b64_e32 v[86:87], v[14:15]
	v_bfe_u32 v2, v14, 23, 1
; %bb.10440:                            ;   in Loop: Header=BB4_9783 Depth=2
	s_or_b32 exec_lo, exec_lo, s10
	s_delay_alu instid0(VALU_DEP_2) | instskip(NEXT) | instid1(VALU_DEP_2)
	v_lshrrev_b64 v[20:21], 21, v[86:87]
	v_cmp_gt_i32_e32 vcc_lo, 32, v2
	v_min_i32_e32 v3, 31, v2
	v_cmp_eq_u32_e64 s10, 0, v2
	s_delay_alu instid0(VALU_DEP_2) | instskip(SKIP_1) | instid1(VALU_DEP_2)
	v_dual_cndmask_b32 v21, 0, v21, vcc_lo :: v_dual_lshlrev_b32 v3, 2, v3
	v_cndmask_b32_e32 v20, 3, v20, vcc_lo
	v_and_b32_e32 v3, 0xfc, v3
	s_delay_alu instid0(VALU_DEP_2) | instskip(NEXT) | instid1(VALU_DEP_2)
	v_cmp_eq_u64_e32 vcc_lo, 0, v[20:21]
	v_and_or_b32 v2, v20, 3, v3
	s_and_b32 s10, s10, vcc_lo
	s_delay_alu instid0(VALU_DEP_1) | instid1(SALU_CYCLE_1)
	v_cndmask_b32_e64 v2, v2, 0, s10
	s_delay_alu instid0(VALU_DEP_1)
	v_or_b32_e32 v59, v2, v0
.LBB4_10441:                            ;   in Loop: Header=BB4_9783 Depth=2
	s_or_b32 exec_lo, exec_lo, s40
                                        ; implicit-def: $vgpr0
.LBB4_10442:                            ;   in Loop: Header=BB4_9783 Depth=2
	s_and_not1_saveexec_b32 s10, s29
; %bb.10443:                            ;   in Loop: Header=BB4_9783 Depth=2
	v_or_b32_e32 v59, 0x7b, v0
; %bb.10444:                            ;   in Loop: Header=BB4_9783 Depth=2
	s_or_b32 exec_lo, exec_lo, s10
                                        ; implicit-def: $vgpr2
                                        ; implicit-def: $vgpr0
.LBB4_10445:                            ;   in Loop: Header=BB4_9783 Depth=2
	s_and_not1_saveexec_b32 s10, s28
	s_cbranch_execz .LBB4_10451
; %bb.10446:                            ;   in Loop: Header=BB4_9783 Depth=2
	s_mov_b32 s28, exec_lo
                                        ; implicit-def: $vgpr59
	v_cmpx_ne_u64_e32 0, v[14:15]
	s_xor_b32 s28, exec_lo, s28
; %bb.10447:                            ;   in Loop: Header=BB4_9783 Depth=2
	v_or_b32_e32 v59, 0x7f, v0
                                        ; implicit-def: $vgpr2
; %bb.10448:                            ;   in Loop: Header=BB4_9783 Depth=2
	s_and_not1_saveexec_b32 s28, s28
; %bb.10449:                            ;   in Loop: Header=BB4_9783 Depth=2
	v_cmp_lt_i32_e32 vcc_lo, -1, v2
	v_cndmask_b32_e32 v59, 0xfc, v101, vcc_lo
; %bb.10450:                            ;   in Loop: Header=BB4_9783 Depth=2
	s_or_b32 exec_lo, exec_lo, s28
.LBB4_10451:                            ;   in Loop: Header=BB4_9783 Depth=2
	s_delay_alu instid0(SALU_CYCLE_1) | instskip(SKIP_2) | instid1(VALU_DEP_1)
	s_or_b32 exec_lo, exec_lo, s10
	v_dual_lshrrev_b32 v14, 16, v11 :: v_dual_mov_b32 v2, 0
	s_mov_b32 s10, exec_lo
	v_and_b32_e32 v0, 0xff, v14
	s_delay_alu instid0(VALU_DEP_1)
	v_cmpx_ne_u16_e32 0, v0
	s_cbranch_execz .LBB4_10461
; %bb.10452:                            ;   in Loop: Header=BB4_9783 Depth=2
	v_bfrev_b32_e32 v2, 1
	s_mov_b32 s28, exec_lo
	v_cmpx_ne_u16_e32 0x80, v0
	s_cbranch_execz .LBB4_10460
; %bb.10453:                            ;   in Loop: Header=BB4_9783 Depth=2
	v_and_b32_e32 v2, 0x7c0000, v11
	v_bfe_u32 v0, v11, 16, 2
	s_delay_alu instid0(VALU_DEP_2) | instskip(SKIP_1) | instid1(SALU_CYCLE_1)
	v_cmp_ne_u32_e32 vcc_lo, 0x7c0000, v2
                                        ; implicit-def: $vgpr2
	s_and_saveexec_b32 s29, vcc_lo
	s_xor_b32 s29, exec_lo, s29
	s_cbranch_execz .LBB4_10457
; %bb.10454:                            ;   in Loop: Header=BB4_9783 Depth=2
	v_bfe_u32 v2, v11, 18, 5
	s_mov_b32 s40, exec_lo
	s_delay_alu instid0(VALU_DEP_1)
	v_cmpx_eq_u32_e32 0, v2
; %bb.10455:                            ;   in Loop: Header=BB4_9783 Depth=2
	v_clz_i32_u32_e32 v0, v0
	s_delay_alu instid0(VALU_DEP_1) | instskip(NEXT) | instid1(VALU_DEP_1)
	v_min_u32_e32 v0, 32, v0
	v_subrev_nc_u32_e32 v2, 29, v0
	s_delay_alu instid0(VALU_DEP_1) | instskip(SKIP_1) | instid1(VALU_DEP_2)
	v_lshlrev_b64_e32 v[20:21], v2, v[14:15]
	v_sub_nc_u32_e32 v2, 30, v0
	v_and_b32_e32 v0, 3, v20
; %bb.10456:                            ;   in Loop: Header=BB4_9783 Depth=2
	s_or_b32 exec_lo, exec_lo, s40
	v_lshlrev_b32_e32 v3, 24, v14
                                        ; implicit-def: $vgpr14
	s_delay_alu instid0(VALU_DEP_1) | instskip(NEXT) | instid1(VALU_DEP_1)
	v_and_b32_e32 v3, 0x80000000, v3
	v_lshl_add_u32 v2, v2, 23, v3
	s_delay_alu instid0(VALU_DEP_1) | instskip(NEXT) | instid1(VALU_DEP_1)
	v_lshl_or_b32 v0, v0, 21, v2
	v_add_nc_u32_e32 v2, 0x38000000, v0
                                        ; implicit-def: $vgpr0
.LBB4_10457:                            ;   in Loop: Header=BB4_9783 Depth=2
	s_and_not1_saveexec_b32 s29, s29
; %bb.10458:                            ;   in Loop: Header=BB4_9783 Depth=2
	v_bfe_i32 v2, v14, 0, 8
	s_delay_alu instid0(VALU_DEP_1) | instskip(SKIP_2) | instid1(VALU_DEP_2)
	v_cmp_lt_i16_e32 vcc_lo, -1, v2
	v_cndmask_b32_e32 v2, 0xff800000, v100, vcc_lo
	v_cmp_eq_u32_e32 vcc_lo, 0, v0
	v_cndmask_b32_e32 v2, 0x7f800001, v2, vcc_lo
; %bb.10459:                            ;   in Loop: Header=BB4_9783 Depth=2
	s_or_b32 exec_lo, exec_lo, s29
.LBB4_10460:                            ;   in Loop: Header=BB4_9783 Depth=2
	s_delay_alu instid0(SALU_CYCLE_1)
	s_or_b32 exec_lo, exec_lo, s28
.LBB4_10461:                            ;   in Loop: Header=BB4_9783 Depth=2
	s_delay_alu instid0(SALU_CYCLE_1) | instskip(NEXT) | instid1(VALU_DEP_1)
	s_or_b32 exec_lo, exec_lo, s10
	v_dual_mul_f32 v2, s27, v2 :: v_dual_mov_b32 v21, v15
                                        ; implicit-def: $vgpr60
	s_mov_b32 s10, exec_lo
	s_delay_alu instid0(VALU_DEP_1) | instskip(SKIP_2) | instid1(VALU_DEP_3)
	v_and_b32_e32 v20, 0x7f800000, v2
	v_and_b32_e32 v14, 0x7fffff, v2
	v_lshrrev_b32_e32 v0, 24, v2
	v_cmpx_ne_u64_e32 0x7f800000, v[20:21]
	s_xor_b32 s28, exec_lo, s10
	s_cbranch_execz .LBB4_10475
; %bb.10462:                            ;   in Loop: Header=BB4_9783 Depth=2
	v_and_b32_e32 v20, 0x7fffffff, v2
	v_mov_b32_e32 v21, v15
	v_and_b32_e32 v0, 0x80, v0
                                        ; implicit-def: $vgpr60
	s_mov_b32 s10, exec_lo
	s_delay_alu instid0(VALU_DEP_2)
	v_cmpx_gt_u64_e32 0x47600001, v[20:21]
	s_xor_b32 s29, exec_lo, s10
	s_cbranch_execz .LBB4_10472
; %bb.10463:                            ;   in Loop: Header=BB4_9783 Depth=2
	v_mov_b32_e32 v60, 0
	s_mov_b32 s40, exec_lo
	v_cmpx_ne_u32_e32 0, v2
	s_cbranch_execz .LBB4_10471
; %bb.10464:                            ;   in Loop: Header=BB4_9783 Depth=2
	v_bfe_u32 v2, v2, 23, 8
	v_or_b32_e32 v24, 0x800000, v14
	v_mov_b32_e32 v87, v15
	s_delay_alu instid0(VALU_DEP_3) | instskip(SKIP_1) | instid1(VALU_DEP_2)
	v_sub_nc_u32_e32 v3, 0x71, v2
	v_cmp_gt_u32_e32 vcc_lo, 0x72, v2
	v_cndmask_b32_e32 v3, 0, v3, vcc_lo
	v_cmp_eq_u32_e32 vcc_lo, 0, v2
	v_cndmask_b32_e32 v86, v24, v14, vcc_lo
	s_delay_alu instid0(VALU_DEP_3) | instskip(NEXT) | instid1(VALU_DEP_1)
	v_cndmask_b32_e64 v3, v3, 0x70, vcc_lo
	v_dual_add_nc_u32 v20, 21, v3 :: v_dual_add_nc_u32 v25, 20, v3
	s_delay_alu instid0(VALU_DEP_1) | instskip(NEXT) | instid1(VALU_DEP_2)
	v_lshlrev_b64_e64 v[20:21], v20, -1
	v_lshlrev_b64_e64 v[96:97], v25, 1
	s_delay_alu instid0(VALU_DEP_2) | instskip(SKIP_1) | instid1(VALU_DEP_4)
	v_bfi_b32 v20, v20, 0, v86
	v_lshrrev_b64 v[86:87], v3, v[86:87]
	v_bfi_b32 v21, v21, 0, 0
	s_delay_alu instid0(VALU_DEP_1) | instskip(NEXT) | instid1(VALU_DEP_3)
	v_cmp_eq_u64_e64 s10, v[20:21], v[96:97]
	v_mov_b64_e32 v[96:97], v[86:87]
	s_and_saveexec_b32 s41, s10
; %bb.10465:                            ;   in Loop: Header=BB4_9783 Depth=2
	v_bfe_u32 v20, v86, 21, 1
	v_mov_b32_e32 v21, v15
	s_delay_alu instid0(VALU_DEP_1) | instskip(NEXT) | instid1(VALU_DEP_1)
	v_add_nc_u64_e32 v[20:21], v[86:87], v[20:21]
	v_add_nc_u64_e32 v[96:97], -1, v[20:21]
; %bb.10466:                            ;   in Loop: Header=BB4_9783 Depth=2
	s_or_b32 exec_lo, exec_lo, s41
	v_add_nc_u32_e32 v2, 0xffffff81, v2
	v_lshrrev_b32_e32 v14, 23, v86
	s_mov_b32 s10, exec_lo
	s_delay_alu instid0(VALU_DEP_2) | instskip(NEXT) | instid1(VALU_DEP_1)
	v_cndmask_b32_e64 v2, v2, 0xffffff82, vcc_lo
	v_add3_u32 v3, v3, v2, v14
	v_and_b32_e32 v2, 0x1fffff, v96
	s_delay_alu instid0(VALU_DEP_1) | instskip(NEXT) | instid1(VALU_DEP_1)
	v_dual_add_nc_u32 v20, 14, v3 :: v_dual_add_nc_u32 v14, v2, v86
                                        ; implicit-def: $vgpr86_vgpr87
                                        ; implicit-def: $vgpr2
	v_cmpx_ne_u32_e32 0, v20
	s_xor_b32 s10, exec_lo, s10
; %bb.10467:                            ;   in Loop: Header=BB4_9783 Depth=2
	s_delay_alu instid0(VALU_DEP_2) | instskip(SKIP_2) | instid1(VALU_DEP_2)
	v_cmp_lt_u64_e32 vcc_lo, 0xffffff, v[14:15]
	v_add_nc_u32_e32 v2, 15, v3
	v_cndmask_b32_e64 v3, 0, 1, vcc_lo
	v_cndmask_b32_e32 v2, v20, v2, vcc_lo
	s_delay_alu instid0(VALU_DEP_2)
	v_lshrrev_b64 v[86:87], v3, v[14:15]
; %bb.10468:                            ;   in Loop: Header=BB4_9783 Depth=2
	s_and_not1_saveexec_b32 s10, s10
; %bb.10469:                            ;   in Loop: Header=BB4_9783 Depth=2
	v_mov_b64_e32 v[86:87], v[14:15]
	v_bfe_u32 v2, v14, 23, 1
; %bb.10470:                            ;   in Loop: Header=BB4_9783 Depth=2
	s_or_b32 exec_lo, exec_lo, s10
	s_delay_alu instid0(VALU_DEP_2) | instskip(NEXT) | instid1(VALU_DEP_2)
	v_lshrrev_b64 v[20:21], 21, v[86:87]
	v_cmp_gt_i32_e32 vcc_lo, 32, v2
	v_min_i32_e32 v3, 31, v2
	v_cmp_eq_u32_e64 s10, 0, v2
	s_delay_alu instid0(VALU_DEP_2) | instskip(SKIP_1) | instid1(VALU_DEP_2)
	v_dual_cndmask_b32 v21, 0, v21, vcc_lo :: v_dual_lshlrev_b32 v3, 2, v3
	v_cndmask_b32_e32 v20, 3, v20, vcc_lo
	v_and_b32_e32 v3, 0xfc, v3
	s_delay_alu instid0(VALU_DEP_2) | instskip(NEXT) | instid1(VALU_DEP_2)
	v_cmp_eq_u64_e32 vcc_lo, 0, v[20:21]
	v_and_or_b32 v2, v20, 3, v3
	s_and_b32 s10, s10, vcc_lo
	s_delay_alu instid0(VALU_DEP_1) | instid1(SALU_CYCLE_1)
	v_cndmask_b32_e64 v2, v2, 0, s10
	s_delay_alu instid0(VALU_DEP_1)
	v_or_b32_e32 v60, v2, v0
.LBB4_10471:                            ;   in Loop: Header=BB4_9783 Depth=2
	s_or_b32 exec_lo, exec_lo, s40
                                        ; implicit-def: $vgpr0
.LBB4_10472:                            ;   in Loop: Header=BB4_9783 Depth=2
	s_and_not1_saveexec_b32 s10, s29
; %bb.10473:                            ;   in Loop: Header=BB4_9783 Depth=2
	v_or_b32_e32 v60, 0x7b, v0
; %bb.10474:                            ;   in Loop: Header=BB4_9783 Depth=2
	s_or_b32 exec_lo, exec_lo, s10
                                        ; implicit-def: $vgpr2
                                        ; implicit-def: $vgpr0
.LBB4_10475:                            ;   in Loop: Header=BB4_9783 Depth=2
	s_and_not1_saveexec_b32 s10, s28
	s_cbranch_execz .LBB4_10481
; %bb.10476:                            ;   in Loop: Header=BB4_9783 Depth=2
	s_mov_b32 s28, exec_lo
                                        ; implicit-def: $vgpr60
	v_cmpx_ne_u64_e32 0, v[14:15]
	s_xor_b32 s28, exec_lo, s28
; %bb.10477:                            ;   in Loop: Header=BB4_9783 Depth=2
	v_or_b32_e32 v60, 0x7f, v0
                                        ; implicit-def: $vgpr2
; %bb.10478:                            ;   in Loop: Header=BB4_9783 Depth=2
	s_and_not1_saveexec_b32 s28, s28
; %bb.10479:                            ;   in Loop: Header=BB4_9783 Depth=2
	v_cmp_lt_i32_e32 vcc_lo, -1, v2
	v_cndmask_b32_e32 v60, 0xfc, v101, vcc_lo
; %bb.10480:                            ;   in Loop: Header=BB4_9783 Depth=2
	s_or_b32 exec_lo, exec_lo, s28
.LBB4_10481:                            ;   in Loop: Header=BB4_9783 Depth=2
	s_delay_alu instid0(SALU_CYCLE_1)
	s_or_b32 exec_lo, exec_lo, s10
	v_mov_b32_e32 v0, 0
	s_mov_b32 s10, exec_lo
	v_cmpx_lt_u64_e64 s[12:13], v[10:11]
	s_cbranch_execz .LBB4_10491
; %bb.10482:                            ;   in Loop: Header=BB4_9783 Depth=2
	v_lshrrev_b32_e32 v14, 24, v11
	v_bfrev_b32_e32 v0, 1
	s_mov_b32 s28, exec_lo
	s_delay_alu instid0(VALU_DEP_2)
	v_cmpx_ne_u32_e32 0x80, v14
	s_cbranch_execz .LBB4_10490
; %bb.10483:                            ;   in Loop: Header=BB4_9783 Depth=2
	v_and_b32_e32 v0, 0x7c000000, v11
	v_bfe_u32 v2, v11, 24, 2
	s_delay_alu instid0(VALU_DEP_2) | instskip(SKIP_1) | instid1(SALU_CYCLE_1)
	v_cmp_ne_u32_e32 vcc_lo, 0x7c000000, v0
                                        ; implicit-def: $vgpr0
	s_and_saveexec_b32 s29, vcc_lo
	s_xor_b32 s29, exec_lo, s29
	s_cbranch_execz .LBB4_10487
; %bb.10484:                            ;   in Loop: Header=BB4_9783 Depth=2
	v_bfe_u32 v0, v11, 26, 5
	s_mov_b32 s40, exec_lo
	s_delay_alu instid0(VALU_DEP_1)
	v_cmpx_eq_u32_e32 0, v0
; %bb.10485:                            ;   in Loop: Header=BB4_9783 Depth=2
	v_clz_i32_u32_e32 v0, v2
	s_delay_alu instid0(VALU_DEP_1) | instskip(NEXT) | instid1(VALU_DEP_1)
	v_min_u32_e32 v0, 32, v0
	v_subrev_nc_u32_e32 v2, 29, v0
	s_delay_alu instid0(VALU_DEP_1) | instskip(NEXT) | instid1(VALU_DEP_1)
	v_lshlrev_b64_e32 v[2:3], v2, v[14:15]
	v_dual_sub_nc_u32 v0, 30, v0 :: v_dual_bitop2_b32 v2, 3, v2 bitop3:0x40
; %bb.10486:                            ;   in Loop: Header=BB4_9783 Depth=2
	s_or_b32 exec_lo, exec_lo, s40
	v_and_b32_e32 v3, 0x80000000, v11
	s_delay_alu instid0(VALU_DEP_1) | instskip(NEXT) | instid1(VALU_DEP_1)
	v_lshl_add_u32 v0, v0, 23, v3
	v_lshl_or_b32 v0, v2, 21, v0
                                        ; implicit-def: $vgpr2
	s_delay_alu instid0(VALU_DEP_1)
	v_add_nc_u32_e32 v0, 0x38000000, v0
.LBB4_10487:                            ;   in Loop: Header=BB4_9783 Depth=2
	s_and_not1_saveexec_b32 s29, s29
; %bb.10488:                            ;   in Loop: Header=BB4_9783 Depth=2
	v_cmp_lt_i64_e32 vcc_lo, -1, v[10:11]
	v_cndmask_b32_e32 v0, 0xff800000, v100, vcc_lo
	v_cmp_eq_u32_e32 vcc_lo, 0, v2
	s_delay_alu instid0(VALU_DEP_2)
	v_cndmask_b32_e32 v0, 0x7f800001, v0, vcc_lo
; %bb.10489:                            ;   in Loop: Header=BB4_9783 Depth=2
	s_or_b32 exec_lo, exec_lo, s29
.LBB4_10490:                            ;   in Loop: Header=BB4_9783 Depth=2
	s_delay_alu instid0(SALU_CYCLE_1)
	s_or_b32 exec_lo, exec_lo, s28
.LBB4_10491:                            ;   in Loop: Header=BB4_9783 Depth=2
	s_delay_alu instid0(SALU_CYCLE_1) | instskip(NEXT) | instid1(VALU_DEP_1)
	s_or_b32 exec_lo, exec_lo, s10
	v_dual_mul_f32 v2, s27, v0 :: v_dual_mov_b32 v11, v15
                                        ; implicit-def: $vgpr61
	s_mov_b32 s10, exec_lo
	s_delay_alu instid0(VALU_DEP_1) | instskip(SKIP_2) | instid1(VALU_DEP_3)
	v_and_b32_e32 v10, 0x7f800000, v2
	v_and_b32_e32 v14, 0x7fffff, v2
	v_lshrrev_b32_e32 v0, 24, v2
	v_cmpx_ne_u64_e32 0x7f800000, v[10:11]
	s_xor_b32 s28, exec_lo, s10
	s_cbranch_execz .LBB4_10505
; %bb.10492:                            ;   in Loop: Header=BB4_9783 Depth=2
	v_and_b32_e32 v10, 0x7fffffff, v2
	v_mov_b32_e32 v11, v15
	v_and_b32_e32 v0, 0x80, v0
                                        ; implicit-def: $vgpr61
	s_mov_b32 s10, exec_lo
	s_delay_alu instid0(VALU_DEP_2)
	v_cmpx_gt_u64_e32 0x47600001, v[10:11]
	s_xor_b32 s29, exec_lo, s10
	s_cbranch_execz .LBB4_10502
; %bb.10493:                            ;   in Loop: Header=BB4_9783 Depth=2
	v_mov_b32_e32 v61, 0
	s_mov_b32 s40, exec_lo
	v_cmpx_ne_u32_e32 0, v2
	s_cbranch_execz .LBB4_10501
; %bb.10494:                            ;   in Loop: Header=BB4_9783 Depth=2
	v_bfe_u32 v2, v2, 23, 8
	v_or_b32_e32 v20, 0x800000, v14
	v_mov_b32_e32 v21, v15
	s_delay_alu instid0(VALU_DEP_3) | instskip(SKIP_1) | instid1(VALU_DEP_2)
	v_sub_nc_u32_e32 v3, 0x71, v2
	v_cmp_gt_u32_e32 vcc_lo, 0x72, v2
	v_cndmask_b32_e32 v3, 0, v3, vcc_lo
	v_cmp_eq_u32_e32 vcc_lo, 0, v2
	v_cndmask_b32_e32 v20, v20, v14, vcc_lo
	s_delay_alu instid0(VALU_DEP_3) | instskip(NEXT) | instid1(VALU_DEP_1)
	v_cndmask_b32_e64 v3, v3, 0x70, vcc_lo
	v_dual_add_nc_u32 v10, 21, v3 :: v_dual_add_nc_u32 v24, 20, v3
	s_delay_alu instid0(VALU_DEP_1) | instskip(NEXT) | instid1(VALU_DEP_2)
	v_lshlrev_b64_e64 v[10:11], v10, -1
	v_lshlrev_b64_e64 v[86:87], v24, 1
	s_delay_alu instid0(VALU_DEP_2) | instskip(NEXT) | instid1(VALU_DEP_3)
	v_bfi_b32 v97, v11, 0, 0
	v_bfi_b32 v96, v10, 0, v20
	v_lshrrev_b64 v[10:11], v3, v[20:21]
	s_delay_alu instid0(VALU_DEP_2) | instskip(NEXT) | instid1(VALU_DEP_2)
	v_cmp_eq_u64_e64 s10, v[96:97], v[86:87]
	v_mov_b64_e32 v[86:87], v[10:11]
	s_and_saveexec_b32 s41, s10
; %bb.10495:                            ;   in Loop: Header=BB4_9783 Depth=2
	v_bfe_u32 v20, v10, 21, 1
	v_mov_b32_e32 v21, v15
	s_delay_alu instid0(VALU_DEP_1) | instskip(NEXT) | instid1(VALU_DEP_1)
	v_add_nc_u64_e32 v[20:21], v[10:11], v[20:21]
	v_add_nc_u64_e32 v[86:87], -1, v[20:21]
; %bb.10496:                            ;   in Loop: Header=BB4_9783 Depth=2
	s_or_b32 exec_lo, exec_lo, s41
	v_add_nc_u32_e32 v2, 0xffffff81, v2
	v_lshrrev_b32_e32 v11, 23, v10
	s_mov_b32 s10, exec_lo
	s_delay_alu instid0(VALU_DEP_2) | instskip(NEXT) | instid1(VALU_DEP_1)
	v_cndmask_b32_e64 v2, v2, 0xffffff82, vcc_lo
	v_add3_u32 v3, v3, v2, v11
	v_and_b32_e32 v2, 0x1fffff, v86
	s_delay_alu instid0(VALU_DEP_1) | instskip(NEXT) | instid1(VALU_DEP_1)
	v_dual_add_nc_u32 v20, 14, v3 :: v_dual_add_nc_u32 v14, v2, v10
                                        ; implicit-def: $vgpr10_vgpr11
                                        ; implicit-def: $vgpr2
	v_cmpx_ne_u32_e32 0, v20
	s_xor_b32 s10, exec_lo, s10
; %bb.10497:                            ;   in Loop: Header=BB4_9783 Depth=2
	s_delay_alu instid0(VALU_DEP_2) | instskip(SKIP_2) | instid1(VALU_DEP_2)
	v_cmp_lt_u64_e32 vcc_lo, 0xffffff, v[14:15]
	v_add_nc_u32_e32 v2, 15, v3
	v_cndmask_b32_e64 v3, 0, 1, vcc_lo
	v_cndmask_b32_e32 v2, v20, v2, vcc_lo
	s_delay_alu instid0(VALU_DEP_2)
	v_lshrrev_b64 v[10:11], v3, v[14:15]
; %bb.10498:                            ;   in Loop: Header=BB4_9783 Depth=2
	s_and_not1_saveexec_b32 s10, s10
; %bb.10499:                            ;   in Loop: Header=BB4_9783 Depth=2
	v_mov_b64_e32 v[10:11], v[14:15]
	v_bfe_u32 v2, v14, 23, 1
; %bb.10500:                            ;   in Loop: Header=BB4_9783 Depth=2
	s_or_b32 exec_lo, exec_lo, s10
	s_delay_alu instid0(VALU_DEP_2) | instskip(NEXT) | instid1(VALU_DEP_2)
	v_lshrrev_b64 v[10:11], 21, v[10:11]
	v_cmp_gt_i32_e32 vcc_lo, 32, v2
	v_min_i32_e32 v3, 31, v2
	v_cmp_eq_u32_e64 s10, 0, v2
	s_delay_alu instid0(VALU_DEP_4) | instskip(NEXT) | instid1(VALU_DEP_3)
	v_cndmask_b32_e32 v11, 0, v11, vcc_lo
	v_dual_cndmask_b32 v10, 3, v10 :: v_dual_lshlrev_b32 v3, 2, v3
	s_delay_alu instid0(VALU_DEP_1) | instskip(NEXT) | instid1(VALU_DEP_2)
	v_and_b32_e32 v3, 0xfc, v3
	v_cmp_eq_u64_e32 vcc_lo, 0, v[10:11]
	s_delay_alu instid0(VALU_DEP_2)
	v_and_or_b32 v2, v10, 3, v3
	s_and_b32 s10, s10, vcc_lo
	s_delay_alu instid0(VALU_DEP_1) | instid1(SALU_CYCLE_1)
	v_cndmask_b32_e64 v2, v2, 0, s10
	s_delay_alu instid0(VALU_DEP_1)
	v_or_b32_e32 v61, v2, v0
.LBB4_10501:                            ;   in Loop: Header=BB4_9783 Depth=2
	s_or_b32 exec_lo, exec_lo, s40
                                        ; implicit-def: $vgpr0
.LBB4_10502:                            ;   in Loop: Header=BB4_9783 Depth=2
	s_and_not1_saveexec_b32 s10, s29
; %bb.10503:                            ;   in Loop: Header=BB4_9783 Depth=2
	v_or_b32_e32 v61, 0x7b, v0
; %bb.10504:                            ;   in Loop: Header=BB4_9783 Depth=2
	s_or_b32 exec_lo, exec_lo, s10
                                        ; implicit-def: $vgpr2
                                        ; implicit-def: $vgpr0
.LBB4_10505:                            ;   in Loop: Header=BB4_9783 Depth=2
	s_and_not1_saveexec_b32 s10, s28
	s_cbranch_execz .LBB4_10511
; %bb.10506:                            ;   in Loop: Header=BB4_9783 Depth=2
	s_mov_b32 s28, exec_lo
                                        ; implicit-def: $vgpr61
	v_cmpx_ne_u64_e32 0, v[14:15]
	s_xor_b32 s28, exec_lo, s28
; %bb.10507:                            ;   in Loop: Header=BB4_9783 Depth=2
	v_or_b32_e32 v61, 0x7f, v0
                                        ; implicit-def: $vgpr2
; %bb.10508:                            ;   in Loop: Header=BB4_9783 Depth=2
	s_and_not1_saveexec_b32 s28, s28
; %bb.10509:                            ;   in Loop: Header=BB4_9783 Depth=2
	v_cmp_lt_i32_e32 vcc_lo, -1, v2
	v_cndmask_b32_e32 v61, 0xfc, v101, vcc_lo
; %bb.10510:                            ;   in Loop: Header=BB4_9783 Depth=2
	s_or_b32 exec_lo, exec_lo, s28
.LBB4_10511:                            ;   in Loop: Header=BB4_9783 Depth=2
	s_delay_alu instid0(SALU_CYCLE_1) | instskip(SKIP_1) | instid1(VALU_DEP_1)
	s_or_b32 exec_lo, exec_lo, s10
	v_and_b32_e32 v0, 0xff, v12
	v_cmp_ne_u16_e32 vcc_lo, 0, v0
	v_mov_b32_e32 v0, 0
	s_and_saveexec_b32 s10, vcc_lo
	s_cbranch_execz .LBB4_10521
; %bb.10512:                            ;   in Loop: Header=BB4_9783 Depth=2
	v_bfe_i32 v3, v12, 0, 8
	v_bfrev_b32_e32 v0, 1
	s_mov_b32 s28, exec_lo
	s_delay_alu instid0(VALU_DEP_2)
	v_cmpx_ne_u16_e32 0xff80, v3
	s_cbranch_execz .LBB4_10520
; %bb.10513:                            ;   in Loop: Header=BB4_9783 Depth=2
	v_and_b32_e32 v0, 0x7c, v12
	v_and_b32_e32 v2, 3, v12
	s_delay_alu instid0(VALU_DEP_2) | instskip(SKIP_1) | instid1(SALU_CYCLE_1)
	v_cmp_ne_u32_e32 vcc_lo, 0x7c, v0
                                        ; implicit-def: $vgpr0
	s_and_saveexec_b32 s29, vcc_lo
	s_xor_b32 s29, exec_lo, s29
	s_cbranch_execz .LBB4_10517
; %bb.10514:                            ;   in Loop: Header=BB4_9783 Depth=2
	v_bfe_u32 v0, v12, 2, 5
	s_mov_b32 s40, exec_lo
	s_delay_alu instid0(VALU_DEP_1)
	v_cmpx_eq_u32_e32 0, v0
; %bb.10515:                            ;   in Loop: Header=BB4_9783 Depth=2
	v_clz_i32_u32_e32 v0, v2
	s_delay_alu instid0(VALU_DEP_1) | instskip(NEXT) | instid1(VALU_DEP_1)
	v_min_u32_e32 v0, 32, v0
	v_subrev_nc_u32_e32 v2, 29, v0
	s_delay_alu instid0(VALU_DEP_1) | instskip(NEXT) | instid1(VALU_DEP_1)
	v_lshlrev_b64_e32 v[2:3], v2, v[12:13]
	v_dual_sub_nc_u32 v0, 30, v0 :: v_dual_bitop2_b32 v2, 3, v2 bitop3:0x40
; %bb.10516:                            ;   in Loop: Header=BB4_9783 Depth=2
	s_or_b32 exec_lo, exec_lo, s40
	v_lshlrev_b32_e32 v3, 24, v12
	s_delay_alu instid0(VALU_DEP_1) | instskip(NEXT) | instid1(VALU_DEP_1)
	v_and_b32_e32 v3, 0x80000000, v3
	v_lshl_add_u32 v0, v0, 23, v3
                                        ; implicit-def: $vgpr3
	s_delay_alu instid0(VALU_DEP_1) | instskip(NEXT) | instid1(VALU_DEP_1)
	v_lshl_or_b32 v0, v2, 21, v0
                                        ; implicit-def: $vgpr2
	v_add_nc_u32_e32 v0, 0x38000000, v0
.LBB4_10517:                            ;   in Loop: Header=BB4_9783 Depth=2
	s_and_not1_saveexec_b32 s29, s29
; %bb.10518:                            ;   in Loop: Header=BB4_9783 Depth=2
	v_cmp_lt_i16_e32 vcc_lo, -1, v3
	v_cndmask_b32_e32 v0, 0xff800000, v100, vcc_lo
	v_cmp_eq_u32_e32 vcc_lo, 0, v2
	s_delay_alu instid0(VALU_DEP_2)
	v_cndmask_b32_e32 v0, 0x7f800001, v0, vcc_lo
; %bb.10519:                            ;   in Loop: Header=BB4_9783 Depth=2
	s_or_b32 exec_lo, exec_lo, s29
.LBB4_10520:                            ;   in Loop: Header=BB4_9783 Depth=2
	s_delay_alu instid0(SALU_CYCLE_1)
	s_or_b32 exec_lo, exec_lo, s28
.LBB4_10521:                            ;   in Loop: Header=BB4_9783 Depth=2
	s_delay_alu instid0(SALU_CYCLE_1) | instskip(NEXT) | instid1(VALU_DEP_1)
	s_or_b32 exec_lo, exec_lo, s10
	v_dual_mul_f32 v2, s27, v0 :: v_dual_mov_b32 v11, v15
                                        ; implicit-def: $vgpr62
	s_mov_b32 s10, exec_lo
	s_delay_alu instid0(VALU_DEP_1) | instskip(SKIP_2) | instid1(VALU_DEP_3)
	v_and_b32_e32 v10, 0x7f800000, v2
	v_and_b32_e32 v14, 0x7fffff, v2
	v_lshrrev_b32_e32 v0, 24, v2
	v_cmpx_ne_u64_e32 0x7f800000, v[10:11]
	s_xor_b32 s28, exec_lo, s10
	s_cbranch_execz .LBB4_10535
; %bb.10522:                            ;   in Loop: Header=BB4_9783 Depth=2
	v_and_b32_e32 v10, 0x7fffffff, v2
	v_mov_b32_e32 v11, v15
	v_and_b32_e32 v0, 0x80, v0
                                        ; implicit-def: $vgpr62
	s_mov_b32 s10, exec_lo
	s_delay_alu instid0(VALU_DEP_2)
	v_cmpx_gt_u64_e32 0x47600001, v[10:11]
	s_xor_b32 s29, exec_lo, s10
	s_cbranch_execz .LBB4_10532
; %bb.10523:                            ;   in Loop: Header=BB4_9783 Depth=2
	v_mov_b32_e32 v62, 0
	s_mov_b32 s40, exec_lo
	v_cmpx_ne_u32_e32 0, v2
	s_cbranch_execz .LBB4_10531
; %bb.10524:                            ;   in Loop: Header=BB4_9783 Depth=2
	v_bfe_u32 v2, v2, 23, 8
	v_or_b32_e32 v20, 0x800000, v14
	v_mov_b32_e32 v21, v15
	s_delay_alu instid0(VALU_DEP_3) | instskip(SKIP_1) | instid1(VALU_DEP_2)
	v_sub_nc_u32_e32 v3, 0x71, v2
	v_cmp_gt_u32_e32 vcc_lo, 0x72, v2
	v_cndmask_b32_e32 v3, 0, v3, vcc_lo
	v_cmp_eq_u32_e32 vcc_lo, 0, v2
	v_cndmask_b32_e32 v20, v20, v14, vcc_lo
	s_delay_alu instid0(VALU_DEP_3) | instskip(NEXT) | instid1(VALU_DEP_1)
	v_cndmask_b32_e64 v3, v3, 0x70, vcc_lo
	v_dual_add_nc_u32 v10, 21, v3 :: v_dual_add_nc_u32 v24, 20, v3
	s_delay_alu instid0(VALU_DEP_1) | instskip(NEXT) | instid1(VALU_DEP_2)
	v_lshlrev_b64_e64 v[10:11], v10, -1
	v_lshlrev_b64_e64 v[86:87], v24, 1
	s_delay_alu instid0(VALU_DEP_2) | instskip(NEXT) | instid1(VALU_DEP_3)
	v_bfi_b32 v97, v11, 0, 0
	v_bfi_b32 v96, v10, 0, v20
	v_lshrrev_b64 v[10:11], v3, v[20:21]
	s_delay_alu instid0(VALU_DEP_2) | instskip(NEXT) | instid1(VALU_DEP_2)
	v_cmp_eq_u64_e64 s10, v[96:97], v[86:87]
	v_mov_b64_e32 v[86:87], v[10:11]
	s_and_saveexec_b32 s41, s10
; %bb.10525:                            ;   in Loop: Header=BB4_9783 Depth=2
	v_bfe_u32 v20, v10, 21, 1
	v_mov_b32_e32 v21, v15
	s_delay_alu instid0(VALU_DEP_1) | instskip(NEXT) | instid1(VALU_DEP_1)
	v_add_nc_u64_e32 v[20:21], v[10:11], v[20:21]
	v_add_nc_u64_e32 v[86:87], -1, v[20:21]
; %bb.10526:                            ;   in Loop: Header=BB4_9783 Depth=2
	s_or_b32 exec_lo, exec_lo, s41
	v_add_nc_u32_e32 v2, 0xffffff81, v2
	v_lshrrev_b32_e32 v11, 23, v10
	s_mov_b32 s10, exec_lo
	s_delay_alu instid0(VALU_DEP_2) | instskip(NEXT) | instid1(VALU_DEP_1)
	v_cndmask_b32_e64 v2, v2, 0xffffff82, vcc_lo
	v_add3_u32 v3, v3, v2, v11
	v_and_b32_e32 v2, 0x1fffff, v86
	s_delay_alu instid0(VALU_DEP_1) | instskip(NEXT) | instid1(VALU_DEP_1)
	v_dual_add_nc_u32 v20, 14, v3 :: v_dual_add_nc_u32 v14, v2, v10
                                        ; implicit-def: $vgpr10_vgpr11
                                        ; implicit-def: $vgpr2
	v_cmpx_ne_u32_e32 0, v20
	s_xor_b32 s10, exec_lo, s10
; %bb.10527:                            ;   in Loop: Header=BB4_9783 Depth=2
	s_delay_alu instid0(VALU_DEP_2) | instskip(SKIP_2) | instid1(VALU_DEP_2)
	v_cmp_lt_u64_e32 vcc_lo, 0xffffff, v[14:15]
	v_add_nc_u32_e32 v2, 15, v3
	v_cndmask_b32_e64 v3, 0, 1, vcc_lo
	v_cndmask_b32_e32 v2, v20, v2, vcc_lo
	s_delay_alu instid0(VALU_DEP_2)
	v_lshrrev_b64 v[10:11], v3, v[14:15]
; %bb.10528:                            ;   in Loop: Header=BB4_9783 Depth=2
	s_and_not1_saveexec_b32 s10, s10
; %bb.10529:                            ;   in Loop: Header=BB4_9783 Depth=2
	v_mov_b64_e32 v[10:11], v[14:15]
	v_bfe_u32 v2, v14, 23, 1
; %bb.10530:                            ;   in Loop: Header=BB4_9783 Depth=2
	s_or_b32 exec_lo, exec_lo, s10
	s_delay_alu instid0(VALU_DEP_2) | instskip(NEXT) | instid1(VALU_DEP_2)
	v_lshrrev_b64 v[10:11], 21, v[10:11]
	v_cmp_gt_i32_e32 vcc_lo, 32, v2
	v_min_i32_e32 v3, 31, v2
	v_cmp_eq_u32_e64 s10, 0, v2
	s_delay_alu instid0(VALU_DEP_4) | instskip(NEXT) | instid1(VALU_DEP_3)
	v_cndmask_b32_e32 v11, 0, v11, vcc_lo
	v_dual_cndmask_b32 v10, 3, v10 :: v_dual_lshlrev_b32 v3, 2, v3
	s_delay_alu instid0(VALU_DEP_1) | instskip(NEXT) | instid1(VALU_DEP_2)
	v_and_b32_e32 v3, 0xfc, v3
	v_cmp_eq_u64_e32 vcc_lo, 0, v[10:11]
	s_delay_alu instid0(VALU_DEP_2)
	v_and_or_b32 v2, v10, 3, v3
	s_and_b32 s10, s10, vcc_lo
	s_delay_alu instid0(VALU_DEP_1) | instid1(SALU_CYCLE_1)
	v_cndmask_b32_e64 v2, v2, 0, s10
	s_delay_alu instid0(VALU_DEP_1)
	v_or_b32_e32 v62, v2, v0
.LBB4_10531:                            ;   in Loop: Header=BB4_9783 Depth=2
	s_or_b32 exec_lo, exec_lo, s40
                                        ; implicit-def: $vgpr0
.LBB4_10532:                            ;   in Loop: Header=BB4_9783 Depth=2
	s_and_not1_saveexec_b32 s10, s29
; %bb.10533:                            ;   in Loop: Header=BB4_9783 Depth=2
	v_or_b32_e32 v62, 0x7b, v0
; %bb.10534:                            ;   in Loop: Header=BB4_9783 Depth=2
	s_or_b32 exec_lo, exec_lo, s10
                                        ; implicit-def: $vgpr2
                                        ; implicit-def: $vgpr0
.LBB4_10535:                            ;   in Loop: Header=BB4_9783 Depth=2
	s_and_not1_saveexec_b32 s10, s28
	s_cbranch_execz .LBB4_10541
; %bb.10536:                            ;   in Loop: Header=BB4_9783 Depth=2
	s_mov_b32 s28, exec_lo
                                        ; implicit-def: $vgpr62
	v_cmpx_ne_u64_e32 0, v[14:15]
	s_xor_b32 s28, exec_lo, s28
; %bb.10537:                            ;   in Loop: Header=BB4_9783 Depth=2
	v_or_b32_e32 v62, 0x7f, v0
                                        ; implicit-def: $vgpr2
; %bb.10538:                            ;   in Loop: Header=BB4_9783 Depth=2
	s_and_not1_saveexec_b32 s28, s28
; %bb.10539:                            ;   in Loop: Header=BB4_9783 Depth=2
	v_cmp_lt_i32_e32 vcc_lo, -1, v2
	v_cndmask_b32_e32 v62, 0xfc, v101, vcc_lo
; %bb.10540:                            ;   in Loop: Header=BB4_9783 Depth=2
	s_or_b32 exec_lo, exec_lo, s28
.LBB4_10541:                            ;   in Loop: Header=BB4_9783 Depth=2
	s_delay_alu instid0(SALU_CYCLE_1) | instskip(SKIP_3) | instid1(VALU_DEP_2)
	s_or_b32 exec_lo, exec_lo, s10
	v_lshrrev_b16 v10, 8, v12
	v_mov_b32_e32 v2, 0
	s_mov_b32 s10, exec_lo
	v_cmpx_ne_u16_e32 0, v10
	s_cbranch_execz .LBB4_10551
; %bb.10542:                            ;   in Loop: Header=BB4_9783 Depth=2
	v_bfrev_b32_e32 v2, 1
	s_mov_b32 s28, exec_lo
	v_cmpx_ne_u16_e32 0x80, v10
	s_cbranch_execz .LBB4_10550
; %bb.10543:                            ;   in Loop: Header=BB4_9783 Depth=2
	v_and_b32_e32 v3, 0xffff, v10
	s_delay_alu instid0(VALU_DEP_1) | instskip(SKIP_1) | instid1(VALU_DEP_2)
	v_and_b32_e32 v2, 0x7c, v3
	v_and_b32_e32 v0, 3, v3
	v_cmp_ne_u32_e32 vcc_lo, 0x7c, v2
                                        ; implicit-def: $vgpr2
	s_and_saveexec_b32 s29, vcc_lo
	s_delay_alu instid0(SALU_CYCLE_1)
	s_xor_b32 s29, exec_lo, s29
	s_cbranch_execz .LBB4_10547
; %bb.10544:                            ;   in Loop: Header=BB4_9783 Depth=2
	v_bfe_u32 v2, v3, 2, 5
	s_mov_b32 s40, exec_lo
	s_delay_alu instid0(VALU_DEP_1)
	v_cmpx_eq_u32_e32 0, v2
; %bb.10545:                            ;   in Loop: Header=BB4_9783 Depth=2
	v_clz_i32_u32_e32 v0, v0
	s_delay_alu instid0(VALU_DEP_1) | instskip(SKIP_1) | instid1(VALU_DEP_2)
	v_min_u32_e32 v0, 32, v0
	v_mov_b32_e32 v11, v15
	v_subrev_nc_u32_e32 v2, 29, v0
	s_delay_alu instid0(VALU_DEP_1) | instskip(NEXT) | instid1(VALU_DEP_1)
	v_lshlrev_b64_e32 v[10:11], v2, v[10:11]
	v_dual_sub_nc_u32 v2, 30, v0 :: v_dual_bitop2_b32 v0, 3, v10 bitop3:0x40
; %bb.10546:                            ;   in Loop: Header=BB4_9783 Depth=2
	s_or_b32 exec_lo, exec_lo, s40
	v_lshlrev_b32_e32 v3, 16, v12
	s_delay_alu instid0(VALU_DEP_1) | instskip(NEXT) | instid1(VALU_DEP_1)
	v_and_b32_e32 v3, 0x80000000, v3
	v_lshl_add_u32 v2, v2, 23, v3
	s_delay_alu instid0(VALU_DEP_1) | instskip(NEXT) | instid1(VALU_DEP_1)
	v_lshl_or_b32 v0, v0, 21, v2
	v_add_nc_u32_e32 v2, 0x38000000, v0
                                        ; implicit-def: $vgpr0
.LBB4_10547:                            ;   in Loop: Header=BB4_9783 Depth=2
	s_and_not1_saveexec_b32 s29, s29
; %bb.10548:                            ;   in Loop: Header=BB4_9783 Depth=2
	v_cmp_lt_i16_e32 vcc_lo, -1, v12
	v_cndmask_b32_e32 v2, 0xff800000, v100, vcc_lo
	v_cmp_eq_u32_e32 vcc_lo, 0, v0
	s_delay_alu instid0(VALU_DEP_2)
	v_cndmask_b32_e32 v2, 0x7f800001, v2, vcc_lo
; %bb.10549:                            ;   in Loop: Header=BB4_9783 Depth=2
	s_or_b32 exec_lo, exec_lo, s29
.LBB4_10550:                            ;   in Loop: Header=BB4_9783 Depth=2
	s_delay_alu instid0(SALU_CYCLE_1)
	s_or_b32 exec_lo, exec_lo, s28
.LBB4_10551:                            ;   in Loop: Header=BB4_9783 Depth=2
	s_delay_alu instid0(SALU_CYCLE_1) | instskip(NEXT) | instid1(VALU_DEP_1)
	s_or_b32 exec_lo, exec_lo, s10
	v_dual_mul_f32 v2, s27, v2 :: v_dual_mov_b32 v11, v15
                                        ; implicit-def: $vgpr63
	s_mov_b32 s10, exec_lo
	s_delay_alu instid0(VALU_DEP_1) | instskip(SKIP_2) | instid1(VALU_DEP_3)
	v_and_b32_e32 v10, 0x7f800000, v2
	v_and_b32_e32 v14, 0x7fffff, v2
	v_lshrrev_b32_e32 v0, 24, v2
	v_cmpx_ne_u64_e32 0x7f800000, v[10:11]
	s_xor_b32 s28, exec_lo, s10
	s_cbranch_execz .LBB4_10565
; %bb.10552:                            ;   in Loop: Header=BB4_9783 Depth=2
	v_and_b32_e32 v10, 0x7fffffff, v2
	v_mov_b32_e32 v11, v15
	v_and_b32_e32 v0, 0x80, v0
                                        ; implicit-def: $vgpr63
	s_mov_b32 s10, exec_lo
	s_delay_alu instid0(VALU_DEP_2)
	v_cmpx_gt_u64_e32 0x47600001, v[10:11]
	s_xor_b32 s29, exec_lo, s10
	s_cbranch_execz .LBB4_10562
; %bb.10553:                            ;   in Loop: Header=BB4_9783 Depth=2
	v_mov_b32_e32 v63, 0
	s_mov_b32 s40, exec_lo
	v_cmpx_ne_u32_e32 0, v2
	s_cbranch_execz .LBB4_10561
; %bb.10554:                            ;   in Loop: Header=BB4_9783 Depth=2
	v_bfe_u32 v2, v2, 23, 8
	v_or_b32_e32 v20, 0x800000, v14
	v_mov_b32_e32 v21, v15
	s_delay_alu instid0(VALU_DEP_3) | instskip(SKIP_1) | instid1(VALU_DEP_2)
	v_sub_nc_u32_e32 v3, 0x71, v2
	v_cmp_gt_u32_e32 vcc_lo, 0x72, v2
	v_cndmask_b32_e32 v3, 0, v3, vcc_lo
	v_cmp_eq_u32_e32 vcc_lo, 0, v2
	v_cndmask_b32_e32 v20, v20, v14, vcc_lo
	s_delay_alu instid0(VALU_DEP_3) | instskip(NEXT) | instid1(VALU_DEP_1)
	v_cndmask_b32_e64 v3, v3, 0x70, vcc_lo
	v_dual_add_nc_u32 v10, 21, v3 :: v_dual_add_nc_u32 v24, 20, v3
	s_delay_alu instid0(VALU_DEP_1) | instskip(NEXT) | instid1(VALU_DEP_2)
	v_lshlrev_b64_e64 v[10:11], v10, -1
	v_lshlrev_b64_e64 v[86:87], v24, 1
	s_delay_alu instid0(VALU_DEP_2) | instskip(NEXT) | instid1(VALU_DEP_3)
	v_bfi_b32 v97, v11, 0, 0
	v_bfi_b32 v96, v10, 0, v20
	v_lshrrev_b64 v[10:11], v3, v[20:21]
	s_delay_alu instid0(VALU_DEP_2) | instskip(NEXT) | instid1(VALU_DEP_2)
	v_cmp_eq_u64_e64 s10, v[96:97], v[86:87]
	v_mov_b64_e32 v[86:87], v[10:11]
	s_and_saveexec_b32 s41, s10
; %bb.10555:                            ;   in Loop: Header=BB4_9783 Depth=2
	v_bfe_u32 v20, v10, 21, 1
	v_mov_b32_e32 v21, v15
	s_delay_alu instid0(VALU_DEP_1) | instskip(NEXT) | instid1(VALU_DEP_1)
	v_add_nc_u64_e32 v[20:21], v[10:11], v[20:21]
	v_add_nc_u64_e32 v[86:87], -1, v[20:21]
; %bb.10556:                            ;   in Loop: Header=BB4_9783 Depth=2
	s_or_b32 exec_lo, exec_lo, s41
	v_add_nc_u32_e32 v2, 0xffffff81, v2
	v_lshrrev_b32_e32 v11, 23, v10
	s_mov_b32 s10, exec_lo
	s_delay_alu instid0(VALU_DEP_2) | instskip(NEXT) | instid1(VALU_DEP_1)
	v_cndmask_b32_e64 v2, v2, 0xffffff82, vcc_lo
	v_add3_u32 v3, v3, v2, v11
	v_and_b32_e32 v2, 0x1fffff, v86
	s_delay_alu instid0(VALU_DEP_1) | instskip(NEXT) | instid1(VALU_DEP_1)
	v_dual_add_nc_u32 v20, 14, v3 :: v_dual_add_nc_u32 v14, v2, v10
                                        ; implicit-def: $vgpr10_vgpr11
                                        ; implicit-def: $vgpr2
	v_cmpx_ne_u32_e32 0, v20
	s_xor_b32 s10, exec_lo, s10
; %bb.10557:                            ;   in Loop: Header=BB4_9783 Depth=2
	s_delay_alu instid0(VALU_DEP_2) | instskip(SKIP_2) | instid1(VALU_DEP_2)
	v_cmp_lt_u64_e32 vcc_lo, 0xffffff, v[14:15]
	v_add_nc_u32_e32 v2, 15, v3
	v_cndmask_b32_e64 v3, 0, 1, vcc_lo
	v_cndmask_b32_e32 v2, v20, v2, vcc_lo
	s_delay_alu instid0(VALU_DEP_2)
	v_lshrrev_b64 v[10:11], v3, v[14:15]
; %bb.10558:                            ;   in Loop: Header=BB4_9783 Depth=2
	s_and_not1_saveexec_b32 s10, s10
; %bb.10559:                            ;   in Loop: Header=BB4_9783 Depth=2
	v_mov_b64_e32 v[10:11], v[14:15]
	v_bfe_u32 v2, v14, 23, 1
; %bb.10560:                            ;   in Loop: Header=BB4_9783 Depth=2
	s_or_b32 exec_lo, exec_lo, s10
	s_delay_alu instid0(VALU_DEP_2) | instskip(NEXT) | instid1(VALU_DEP_2)
	v_lshrrev_b64 v[10:11], 21, v[10:11]
	v_cmp_gt_i32_e32 vcc_lo, 32, v2
	v_min_i32_e32 v3, 31, v2
	v_cmp_eq_u32_e64 s10, 0, v2
	s_delay_alu instid0(VALU_DEP_4) | instskip(NEXT) | instid1(VALU_DEP_3)
	v_cndmask_b32_e32 v11, 0, v11, vcc_lo
	v_dual_cndmask_b32 v10, 3, v10 :: v_dual_lshlrev_b32 v3, 2, v3
	s_delay_alu instid0(VALU_DEP_1) | instskip(NEXT) | instid1(VALU_DEP_2)
	v_and_b32_e32 v3, 0xfc, v3
	v_cmp_eq_u64_e32 vcc_lo, 0, v[10:11]
	s_delay_alu instid0(VALU_DEP_2)
	v_and_or_b32 v2, v10, 3, v3
	s_and_b32 s10, s10, vcc_lo
	s_delay_alu instid0(VALU_DEP_1) | instid1(SALU_CYCLE_1)
	v_cndmask_b32_e64 v2, v2, 0, s10
	s_delay_alu instid0(VALU_DEP_1)
	v_or_b32_e32 v63, v2, v0
.LBB4_10561:                            ;   in Loop: Header=BB4_9783 Depth=2
	s_or_b32 exec_lo, exec_lo, s40
                                        ; implicit-def: $vgpr0
.LBB4_10562:                            ;   in Loop: Header=BB4_9783 Depth=2
	s_and_not1_saveexec_b32 s10, s29
; %bb.10563:                            ;   in Loop: Header=BB4_9783 Depth=2
	v_or_b32_e32 v63, 0x7b, v0
; %bb.10564:                            ;   in Loop: Header=BB4_9783 Depth=2
	s_or_b32 exec_lo, exec_lo, s10
                                        ; implicit-def: $vgpr2
                                        ; implicit-def: $vgpr0
.LBB4_10565:                            ;   in Loop: Header=BB4_9783 Depth=2
	s_and_not1_saveexec_b32 s10, s28
	s_cbranch_execz .LBB4_10571
; %bb.10566:                            ;   in Loop: Header=BB4_9783 Depth=2
	s_mov_b32 s28, exec_lo
                                        ; implicit-def: $vgpr63
	v_cmpx_ne_u64_e32 0, v[14:15]
	s_xor_b32 s28, exec_lo, s28
; %bb.10567:                            ;   in Loop: Header=BB4_9783 Depth=2
	v_or_b32_e32 v63, 0x7f, v0
                                        ; implicit-def: $vgpr2
; %bb.10568:                            ;   in Loop: Header=BB4_9783 Depth=2
	s_and_not1_saveexec_b32 s28, s28
; %bb.10569:                            ;   in Loop: Header=BB4_9783 Depth=2
	v_cmp_lt_i32_e32 vcc_lo, -1, v2
	v_cndmask_b32_e32 v63, 0xfc, v101, vcc_lo
; %bb.10570:                            ;   in Loop: Header=BB4_9783 Depth=2
	s_or_b32 exec_lo, exec_lo, s28
.LBB4_10571:                            ;   in Loop: Header=BB4_9783 Depth=2
	s_delay_alu instid0(SALU_CYCLE_1) | instskip(SKIP_2) | instid1(VALU_DEP_1)
	s_or_b32 exec_lo, exec_lo, s10
	v_dual_lshrrev_b32 v10, 16, v12 :: v_dual_mov_b32 v2, 0
	s_mov_b32 s10, exec_lo
	v_and_b32_e32 v0, 0xff, v10
	s_delay_alu instid0(VALU_DEP_1)
	v_cmpx_ne_u16_e32 0, v0
	s_cbranch_execz .LBB4_10581
; %bb.10572:                            ;   in Loop: Header=BB4_9783 Depth=2
	v_bfrev_b32_e32 v2, 1
	s_mov_b32 s28, exec_lo
	v_cmpx_ne_u16_e32 0x80, v0
	s_cbranch_execz .LBB4_10580
; %bb.10573:                            ;   in Loop: Header=BB4_9783 Depth=2
	v_and_b32_e32 v2, 0x7c0000, v12
	v_bfe_u32 v0, v12, 16, 2
	s_delay_alu instid0(VALU_DEP_2) | instskip(SKIP_1) | instid1(SALU_CYCLE_1)
	v_cmp_ne_u32_e32 vcc_lo, 0x7c0000, v2
                                        ; implicit-def: $vgpr2
	s_and_saveexec_b32 s29, vcc_lo
	s_xor_b32 s29, exec_lo, s29
	s_cbranch_execz .LBB4_10577
; %bb.10574:                            ;   in Loop: Header=BB4_9783 Depth=2
	v_bfe_u32 v2, v12, 18, 5
	s_mov_b32 s40, exec_lo
	s_delay_alu instid0(VALU_DEP_1)
	v_cmpx_eq_u32_e32 0, v2
; %bb.10575:                            ;   in Loop: Header=BB4_9783 Depth=2
	v_clz_i32_u32_e32 v0, v0
	s_delay_alu instid0(VALU_DEP_1) | instskip(NEXT) | instid1(VALU_DEP_1)
	v_min_u32_e32 v0, 32, v0
	v_subrev_nc_u32_e32 v2, 29, v0
	s_delay_alu instid0(VALU_DEP_1) | instskip(SKIP_1) | instid1(VALU_DEP_2)
	v_lshlrev_b64_e32 v[20:21], v2, v[10:11]
	v_sub_nc_u32_e32 v2, 30, v0
	v_and_b32_e32 v0, 3, v20
; %bb.10576:                            ;   in Loop: Header=BB4_9783 Depth=2
	s_or_b32 exec_lo, exec_lo, s40
	v_lshlrev_b32_e32 v3, 24, v10
                                        ; implicit-def: $vgpr10
	s_delay_alu instid0(VALU_DEP_1) | instskip(NEXT) | instid1(VALU_DEP_1)
	v_and_b32_e32 v3, 0x80000000, v3
	v_lshl_add_u32 v2, v2, 23, v3
	s_delay_alu instid0(VALU_DEP_1) | instskip(NEXT) | instid1(VALU_DEP_1)
	v_lshl_or_b32 v0, v0, 21, v2
	v_add_nc_u32_e32 v2, 0x38000000, v0
                                        ; implicit-def: $vgpr0
.LBB4_10577:                            ;   in Loop: Header=BB4_9783 Depth=2
	s_and_not1_saveexec_b32 s29, s29
; %bb.10578:                            ;   in Loop: Header=BB4_9783 Depth=2
	v_bfe_i32 v2, v10, 0, 8
	s_delay_alu instid0(VALU_DEP_1) | instskip(SKIP_2) | instid1(VALU_DEP_2)
	v_cmp_lt_i16_e32 vcc_lo, -1, v2
	v_cndmask_b32_e32 v2, 0xff800000, v100, vcc_lo
	v_cmp_eq_u32_e32 vcc_lo, 0, v0
	v_cndmask_b32_e32 v2, 0x7f800001, v2, vcc_lo
; %bb.10579:                            ;   in Loop: Header=BB4_9783 Depth=2
	s_or_b32 exec_lo, exec_lo, s29
.LBB4_10580:                            ;   in Loop: Header=BB4_9783 Depth=2
	s_delay_alu instid0(SALU_CYCLE_1)
	s_or_b32 exec_lo, exec_lo, s28
.LBB4_10581:                            ;   in Loop: Header=BB4_9783 Depth=2
	s_delay_alu instid0(SALU_CYCLE_1) | instskip(NEXT) | instid1(VALU_DEP_1)
	s_or_b32 exec_lo, exec_lo, s10
	v_dual_mul_f32 v2, s27, v2 :: v_dual_mov_b32 v11, v15
                                        ; implicit-def: $vgpr72
	s_mov_b32 s10, exec_lo
	s_delay_alu instid0(VALU_DEP_1) | instskip(SKIP_2) | instid1(VALU_DEP_3)
	v_and_b32_e32 v10, 0x7f800000, v2
	v_and_b32_e32 v14, 0x7fffff, v2
	v_lshrrev_b32_e32 v0, 24, v2
	v_cmpx_ne_u64_e32 0x7f800000, v[10:11]
	s_xor_b32 s28, exec_lo, s10
	s_cbranch_execz .LBB4_10595
; %bb.10582:                            ;   in Loop: Header=BB4_9783 Depth=2
	v_and_b32_e32 v10, 0x7fffffff, v2
	v_mov_b32_e32 v11, v15
	v_and_b32_e32 v0, 0x80, v0
                                        ; implicit-def: $vgpr72
	s_mov_b32 s10, exec_lo
	s_delay_alu instid0(VALU_DEP_2)
	v_cmpx_gt_u64_e32 0x47600001, v[10:11]
	s_xor_b32 s29, exec_lo, s10
	s_cbranch_execz .LBB4_10592
; %bb.10583:                            ;   in Loop: Header=BB4_9783 Depth=2
	v_mov_b32_e32 v72, 0
	s_mov_b32 s40, exec_lo
	v_cmpx_ne_u32_e32 0, v2
	s_cbranch_execz .LBB4_10591
; %bb.10584:                            ;   in Loop: Header=BB4_9783 Depth=2
	v_bfe_u32 v2, v2, 23, 8
	v_or_b32_e32 v20, 0x800000, v14
	v_mov_b32_e32 v21, v15
	s_delay_alu instid0(VALU_DEP_3) | instskip(SKIP_1) | instid1(VALU_DEP_2)
	v_sub_nc_u32_e32 v3, 0x71, v2
	v_cmp_gt_u32_e32 vcc_lo, 0x72, v2
	v_cndmask_b32_e32 v3, 0, v3, vcc_lo
	v_cmp_eq_u32_e32 vcc_lo, 0, v2
	v_cndmask_b32_e32 v20, v20, v14, vcc_lo
	s_delay_alu instid0(VALU_DEP_3) | instskip(NEXT) | instid1(VALU_DEP_1)
	v_cndmask_b32_e64 v3, v3, 0x70, vcc_lo
	v_dual_add_nc_u32 v10, 21, v3 :: v_dual_add_nc_u32 v24, 20, v3
	s_delay_alu instid0(VALU_DEP_1) | instskip(NEXT) | instid1(VALU_DEP_2)
	v_lshlrev_b64_e64 v[10:11], v10, -1
	v_lshlrev_b64_e64 v[86:87], v24, 1
	s_delay_alu instid0(VALU_DEP_2) | instskip(NEXT) | instid1(VALU_DEP_3)
	v_bfi_b32 v97, v11, 0, 0
	v_bfi_b32 v96, v10, 0, v20
	v_lshrrev_b64 v[10:11], v3, v[20:21]
	s_delay_alu instid0(VALU_DEP_2) | instskip(NEXT) | instid1(VALU_DEP_2)
	v_cmp_eq_u64_e64 s10, v[96:97], v[86:87]
	v_mov_b64_e32 v[86:87], v[10:11]
	s_and_saveexec_b32 s41, s10
; %bb.10585:                            ;   in Loop: Header=BB4_9783 Depth=2
	v_bfe_u32 v20, v10, 21, 1
	v_mov_b32_e32 v21, v15
	s_delay_alu instid0(VALU_DEP_1) | instskip(NEXT) | instid1(VALU_DEP_1)
	v_add_nc_u64_e32 v[20:21], v[10:11], v[20:21]
	v_add_nc_u64_e32 v[86:87], -1, v[20:21]
; %bb.10586:                            ;   in Loop: Header=BB4_9783 Depth=2
	s_or_b32 exec_lo, exec_lo, s41
	v_add_nc_u32_e32 v2, 0xffffff81, v2
	v_lshrrev_b32_e32 v11, 23, v10
	s_mov_b32 s10, exec_lo
	s_delay_alu instid0(VALU_DEP_2) | instskip(NEXT) | instid1(VALU_DEP_1)
	v_cndmask_b32_e64 v2, v2, 0xffffff82, vcc_lo
	v_add3_u32 v3, v3, v2, v11
	v_and_b32_e32 v2, 0x1fffff, v86
	s_delay_alu instid0(VALU_DEP_1) | instskip(NEXT) | instid1(VALU_DEP_1)
	v_dual_add_nc_u32 v20, 14, v3 :: v_dual_add_nc_u32 v14, v2, v10
                                        ; implicit-def: $vgpr10_vgpr11
                                        ; implicit-def: $vgpr2
	v_cmpx_ne_u32_e32 0, v20
	s_xor_b32 s10, exec_lo, s10
; %bb.10587:                            ;   in Loop: Header=BB4_9783 Depth=2
	s_delay_alu instid0(VALU_DEP_2) | instskip(SKIP_2) | instid1(VALU_DEP_2)
	v_cmp_lt_u64_e32 vcc_lo, 0xffffff, v[14:15]
	v_add_nc_u32_e32 v2, 15, v3
	v_cndmask_b32_e64 v3, 0, 1, vcc_lo
	v_cndmask_b32_e32 v2, v20, v2, vcc_lo
	s_delay_alu instid0(VALU_DEP_2)
	v_lshrrev_b64 v[10:11], v3, v[14:15]
; %bb.10588:                            ;   in Loop: Header=BB4_9783 Depth=2
	s_and_not1_saveexec_b32 s10, s10
; %bb.10589:                            ;   in Loop: Header=BB4_9783 Depth=2
	v_mov_b64_e32 v[10:11], v[14:15]
	v_bfe_u32 v2, v14, 23, 1
; %bb.10590:                            ;   in Loop: Header=BB4_9783 Depth=2
	s_or_b32 exec_lo, exec_lo, s10
	s_delay_alu instid0(VALU_DEP_2) | instskip(NEXT) | instid1(VALU_DEP_2)
	v_lshrrev_b64 v[10:11], 21, v[10:11]
	v_cmp_gt_i32_e32 vcc_lo, 32, v2
	v_min_i32_e32 v3, 31, v2
	v_cmp_eq_u32_e64 s10, 0, v2
	s_delay_alu instid0(VALU_DEP_4) | instskip(NEXT) | instid1(VALU_DEP_3)
	v_cndmask_b32_e32 v11, 0, v11, vcc_lo
	v_dual_cndmask_b32 v10, 3, v10 :: v_dual_lshlrev_b32 v3, 2, v3
	s_delay_alu instid0(VALU_DEP_1) | instskip(NEXT) | instid1(VALU_DEP_2)
	v_and_b32_e32 v3, 0xfc, v3
	v_cmp_eq_u64_e32 vcc_lo, 0, v[10:11]
	s_delay_alu instid0(VALU_DEP_2)
	v_and_or_b32 v2, v10, 3, v3
	s_and_b32 s10, s10, vcc_lo
	s_delay_alu instid0(VALU_DEP_1) | instid1(SALU_CYCLE_1)
	v_cndmask_b32_e64 v2, v2, 0, s10
	s_delay_alu instid0(VALU_DEP_1)
	v_or_b32_e32 v72, v2, v0
.LBB4_10591:                            ;   in Loop: Header=BB4_9783 Depth=2
	s_or_b32 exec_lo, exec_lo, s40
                                        ; implicit-def: $vgpr0
.LBB4_10592:                            ;   in Loop: Header=BB4_9783 Depth=2
	s_and_not1_saveexec_b32 s10, s29
; %bb.10593:                            ;   in Loop: Header=BB4_9783 Depth=2
	v_or_b32_e32 v72, 0x7b, v0
; %bb.10594:                            ;   in Loop: Header=BB4_9783 Depth=2
	s_or_b32 exec_lo, exec_lo, s10
                                        ; implicit-def: $vgpr2
                                        ; implicit-def: $vgpr0
.LBB4_10595:                            ;   in Loop: Header=BB4_9783 Depth=2
	s_and_not1_saveexec_b32 s10, s28
	s_cbranch_execz .LBB4_10601
; %bb.10596:                            ;   in Loop: Header=BB4_9783 Depth=2
	s_mov_b32 s28, exec_lo
                                        ; implicit-def: $vgpr72
	v_cmpx_ne_u64_e32 0, v[14:15]
	s_xor_b32 s28, exec_lo, s28
; %bb.10597:                            ;   in Loop: Header=BB4_9783 Depth=2
	v_or_b32_e32 v72, 0x7f, v0
                                        ; implicit-def: $vgpr2
; %bb.10598:                            ;   in Loop: Header=BB4_9783 Depth=2
	s_and_not1_saveexec_b32 s28, s28
; %bb.10599:                            ;   in Loop: Header=BB4_9783 Depth=2
	v_cmp_lt_i32_e32 vcc_lo, -1, v2
	v_cndmask_b32_e32 v72, 0xfc, v101, vcc_lo
; %bb.10600:                            ;   in Loop: Header=BB4_9783 Depth=2
	s_or_b32 exec_lo, exec_lo, s28
.LBB4_10601:                            ;   in Loop: Header=BB4_9783 Depth=2
	s_delay_alu instid0(SALU_CYCLE_1)
	s_or_b32 exec_lo, exec_lo, s10
	v_mov_b32_e32 v0, 0
	s_mov_b32 s10, exec_lo
	v_cmpx_lt_u32_e32 0xffffff, v12
	s_cbranch_execz .LBB4_10611
; %bb.10602:                            ;   in Loop: Header=BB4_9783 Depth=2
	v_lshrrev_b32_e32 v10, 24, v12
	v_bfrev_b32_e32 v0, 1
	s_mov_b32 s28, exec_lo
	s_delay_alu instid0(VALU_DEP_2)
	v_cmpx_ne_u32_e32 0x80, v10
	s_cbranch_execz .LBB4_10610
; %bb.10603:                            ;   in Loop: Header=BB4_9783 Depth=2
	v_and_b32_e32 v0, 0x7c000000, v12
	v_bfe_u32 v2, v12, 24, 2
	s_delay_alu instid0(VALU_DEP_2) | instskip(SKIP_1) | instid1(SALU_CYCLE_1)
	v_cmp_ne_u32_e32 vcc_lo, 0x7c000000, v0
                                        ; implicit-def: $vgpr0
	s_and_saveexec_b32 s29, vcc_lo
	s_xor_b32 s29, exec_lo, s29
	s_cbranch_execz .LBB4_10607
; %bb.10604:                            ;   in Loop: Header=BB4_9783 Depth=2
	v_bfe_u32 v0, v12, 26, 5
	s_mov_b32 s40, exec_lo
	s_delay_alu instid0(VALU_DEP_1)
	v_cmpx_eq_u32_e32 0, v0
; %bb.10605:                            ;   in Loop: Header=BB4_9783 Depth=2
	v_clz_i32_u32_e32 v0, v2
	s_delay_alu instid0(VALU_DEP_1) | instskip(NEXT) | instid1(VALU_DEP_1)
	v_min_u32_e32 v0, 32, v0
	v_subrev_nc_u32_e32 v2, 29, v0
	s_delay_alu instid0(VALU_DEP_1) | instskip(NEXT) | instid1(VALU_DEP_1)
	v_lshlrev_b64_e32 v[2:3], v2, v[10:11]
	v_dual_sub_nc_u32 v0, 30, v0 :: v_dual_bitop2_b32 v2, 3, v2 bitop3:0x40
; %bb.10606:                            ;   in Loop: Header=BB4_9783 Depth=2
	s_or_b32 exec_lo, exec_lo, s40
	v_and_b32_e32 v3, 0x80000000, v12
	s_delay_alu instid0(VALU_DEP_1) | instskip(NEXT) | instid1(VALU_DEP_1)
	v_lshl_add_u32 v0, v0, 23, v3
	v_lshl_or_b32 v0, v2, 21, v0
                                        ; implicit-def: $vgpr2
	s_delay_alu instid0(VALU_DEP_1)
	v_add_nc_u32_e32 v0, 0x38000000, v0
.LBB4_10607:                            ;   in Loop: Header=BB4_9783 Depth=2
	s_and_not1_saveexec_b32 s29, s29
; %bb.10608:                            ;   in Loop: Header=BB4_9783 Depth=2
	v_cmp_lt_i32_e32 vcc_lo, -1, v12
	v_cndmask_b32_e32 v0, 0xff800000, v100, vcc_lo
	v_cmp_eq_u32_e32 vcc_lo, 0, v2
	s_delay_alu instid0(VALU_DEP_2)
	v_cndmask_b32_e32 v0, 0x7f800001, v0, vcc_lo
; %bb.10609:                            ;   in Loop: Header=BB4_9783 Depth=2
	s_or_b32 exec_lo, exec_lo, s29
.LBB4_10610:                            ;   in Loop: Header=BB4_9783 Depth=2
	s_delay_alu instid0(SALU_CYCLE_1)
	s_or_b32 exec_lo, exec_lo, s28
.LBB4_10611:                            ;   in Loop: Header=BB4_9783 Depth=2
	s_delay_alu instid0(SALU_CYCLE_1) | instskip(NEXT) | instid1(VALU_DEP_1)
	s_or_b32 exec_lo, exec_lo, s10
	v_dual_mul_f32 v3, s27, v0 :: v_dual_mov_b32 v11, v15
                                        ; implicit-def: $vgpr0
	s_mov_b32 s10, exec_lo
	s_delay_alu instid0(VALU_DEP_1) | instskip(SKIP_2) | instid1(VALU_DEP_3)
	v_and_b32_e32 v10, 0x7f800000, v3
	v_and_b32_e32 v14, 0x7fffff, v3
	v_lshrrev_b32_e32 v2, 24, v3
	v_cmpx_ne_u64_e32 0x7f800000, v[10:11]
	s_xor_b32 s28, exec_lo, s10
	s_cbranch_execz .LBB4_10625
; %bb.10612:                            ;   in Loop: Header=BB4_9783 Depth=2
	v_and_b32_e32 v10, 0x7fffffff, v3
	v_mov_b32_e32 v11, v15
	v_and_b32_e32 v2, 0x80, v2
                                        ; implicit-def: $vgpr0
	s_mov_b32 s10, exec_lo
	s_delay_alu instid0(VALU_DEP_2)
	v_cmpx_gt_u64_e32 0x47600001, v[10:11]
	s_xor_b32 s29, exec_lo, s10
	s_cbranch_execz .LBB4_10622
; %bb.10613:                            ;   in Loop: Header=BB4_9783 Depth=2
	v_mov_b32_e32 v0, 0
	s_mov_b32 s40, exec_lo
	v_cmpx_ne_u32_e32 0, v3
	s_cbranch_execz .LBB4_10621
; %bb.10614:                            ;   in Loop: Header=BB4_9783 Depth=2
	v_bfe_u32 v0, v3, 23, 8
	v_or_b32_e32 v20, 0x800000, v14
	v_mov_b32_e32 v21, v15
	s_delay_alu instid0(VALU_DEP_3) | instskip(SKIP_1) | instid1(VALU_DEP_2)
	v_sub_nc_u32_e32 v3, 0x71, v0
	v_cmp_gt_u32_e32 vcc_lo, 0x72, v0
	v_cndmask_b32_e32 v3, 0, v3, vcc_lo
	v_cmp_eq_u32_e32 vcc_lo, 0, v0
	s_delay_alu instid0(VALU_DEP_2) | instskip(NEXT) | instid1(VALU_DEP_1)
	v_cndmask_b32_e64 v3, v3, 0x70, vcc_lo
	v_dual_cndmask_b32 v20, v20, v14, vcc_lo :: v_dual_add_nc_u32 v10, 21, v3
	v_add_nc_u32_e32 v24, 20, v3
	s_delay_alu instid0(VALU_DEP_2) | instskip(NEXT) | instid1(VALU_DEP_2)
	v_lshlrev_b64_e64 v[10:11], v10, -1
	v_lshlrev_b64_e64 v[86:87], v24, 1
	s_delay_alu instid0(VALU_DEP_2) | instskip(NEXT) | instid1(VALU_DEP_3)
	v_bfi_b32 v97, v11, 0, 0
	v_bfi_b32 v96, v10, 0, v20
	v_lshrrev_b64 v[10:11], v3, v[20:21]
	s_delay_alu instid0(VALU_DEP_2) | instskip(NEXT) | instid1(VALU_DEP_2)
	v_cmp_eq_u64_e64 s10, v[96:97], v[86:87]
	v_mov_b64_e32 v[86:87], v[10:11]
	s_and_saveexec_b32 s41, s10
; %bb.10615:                            ;   in Loop: Header=BB4_9783 Depth=2
	v_bfe_u32 v20, v10, 21, 1
	v_mov_b32_e32 v21, v15
	s_delay_alu instid0(VALU_DEP_1) | instskip(NEXT) | instid1(VALU_DEP_1)
	v_add_nc_u64_e32 v[20:21], v[10:11], v[20:21]
	v_add_nc_u64_e32 v[86:87], -1, v[20:21]
; %bb.10616:                            ;   in Loop: Header=BB4_9783 Depth=2
	s_or_b32 exec_lo, exec_lo, s41
	v_add_nc_u32_e32 v0, 0xffffff81, v0
	v_lshrrev_b32_e32 v11, 23, v10
	s_mov_b32 s10, exec_lo
	s_delay_alu instid0(VALU_DEP_2) | instskip(NEXT) | instid1(VALU_DEP_1)
	v_cndmask_b32_e64 v0, v0, 0xffffff82, vcc_lo
	v_add3_u32 v3, v3, v0, v11
	v_and_b32_e32 v0, 0x1fffff, v86
	s_delay_alu instid0(VALU_DEP_1) | instskip(NEXT) | instid1(VALU_DEP_1)
	v_dual_add_nc_u32 v20, 14, v3 :: v_dual_add_nc_u32 v14, v0, v10
                                        ; implicit-def: $vgpr10_vgpr11
                                        ; implicit-def: $vgpr0
	v_cmpx_ne_u32_e32 0, v20
	s_xor_b32 s10, exec_lo, s10
; %bb.10617:                            ;   in Loop: Header=BB4_9783 Depth=2
	s_delay_alu instid0(VALU_DEP_2) | instskip(SKIP_2) | instid1(VALU_DEP_2)
	v_cmp_lt_u64_e32 vcc_lo, 0xffffff, v[14:15]
	v_add_nc_u32_e32 v0, 15, v3
	v_cndmask_b32_e64 v3, 0, 1, vcc_lo
	v_cndmask_b32_e32 v0, v20, v0, vcc_lo
	s_delay_alu instid0(VALU_DEP_2)
	v_lshrrev_b64 v[10:11], v3, v[14:15]
; %bb.10618:                            ;   in Loop: Header=BB4_9783 Depth=2
	s_and_not1_saveexec_b32 s10, s10
; %bb.10619:                            ;   in Loop: Header=BB4_9783 Depth=2
	v_mov_b64_e32 v[10:11], v[14:15]
	v_bfe_u32 v0, v14, 23, 1
; %bb.10620:                            ;   in Loop: Header=BB4_9783 Depth=2
	s_or_b32 exec_lo, exec_lo, s10
	s_delay_alu instid0(VALU_DEP_2) | instskip(NEXT) | instid1(VALU_DEP_2)
	v_lshrrev_b64 v[10:11], 21, v[10:11]
	v_cmp_gt_i32_e32 vcc_lo, 32, v0
	v_min_i32_e32 v3, 31, v0
	v_cmp_eq_u32_e64 s10, 0, v0
	s_delay_alu instid0(VALU_DEP_4) | instskip(NEXT) | instid1(VALU_DEP_3)
	v_cndmask_b32_e32 v11, 0, v11, vcc_lo
	v_dual_cndmask_b32 v10, 3, v10 :: v_dual_lshlrev_b32 v3, 2, v3
	s_delay_alu instid0(VALU_DEP_1) | instskip(NEXT) | instid1(VALU_DEP_2)
	v_and_b32_e32 v3, 0xfc, v3
	v_cmp_eq_u64_e32 vcc_lo, 0, v[10:11]
	s_delay_alu instid0(VALU_DEP_2)
	v_and_or_b32 v0, v10, 3, v3
	s_and_b32 s10, s10, vcc_lo
	s_delay_alu instid0(VALU_DEP_1) | instid1(SALU_CYCLE_1)
	v_cndmask_b32_e64 v0, v0, 0, s10
	s_delay_alu instid0(VALU_DEP_1)
	v_or_b32_e32 v0, v0, v2
.LBB4_10621:                            ;   in Loop: Header=BB4_9783 Depth=2
	s_or_b32 exec_lo, exec_lo, s40
                                        ; implicit-def: $vgpr2
.LBB4_10622:                            ;   in Loop: Header=BB4_9783 Depth=2
	s_and_not1_saveexec_b32 s10, s29
; %bb.10623:                            ;   in Loop: Header=BB4_9783 Depth=2
	v_or_b32_e32 v0, 0x7b, v2
; %bb.10624:                            ;   in Loop: Header=BB4_9783 Depth=2
	s_or_b32 exec_lo, exec_lo, s10
                                        ; implicit-def: $vgpr3
                                        ; implicit-def: $vgpr2
.LBB4_10625:                            ;   in Loop: Header=BB4_9783 Depth=2
	s_and_not1_saveexec_b32 s10, s28
	s_cbranch_execz .LBB4_10631
; %bb.10626:                            ;   in Loop: Header=BB4_9783 Depth=2
	s_mov_b32 s28, exec_lo
                                        ; implicit-def: $vgpr0
	v_cmpx_ne_u64_e32 0, v[14:15]
	s_xor_b32 s28, exec_lo, s28
; %bb.10627:                            ;   in Loop: Header=BB4_9783 Depth=2
	v_or_b32_e32 v0, 0x7f, v2
                                        ; implicit-def: $vgpr3
; %bb.10628:                            ;   in Loop: Header=BB4_9783 Depth=2
	s_and_not1_saveexec_b32 s28, s28
; %bb.10629:                            ;   in Loop: Header=BB4_9783 Depth=2
	v_cmp_lt_i32_e32 vcc_lo, -1, v3
	v_cndmask_b32_e32 v0, 0xfc, v101, vcc_lo
; %bb.10630:                            ;   in Loop: Header=BB4_9783 Depth=2
	s_or_b32 exec_lo, exec_lo, s28
.LBB4_10631:                            ;   in Loop: Header=BB4_9783 Depth=2
	s_delay_alu instid0(SALU_CYCLE_1) | instskip(SKIP_3) | instid1(VALU_DEP_2)
	s_or_b32 exec_lo, exec_lo, s10
	v_and_b32_e32 v2, 0xff, v13
	v_dual_mov_b32 v14, v13 :: v_dual_mov_b32 v3, 0
	s_mov_b32 s10, exec_lo
	v_cmpx_ne_u16_e32 0, v2
	s_cbranch_execz .LBB4_10641
; %bb.10632:                            ;   in Loop: Header=BB4_9783 Depth=2
	v_bfrev_b32_e32 v3, 1
	s_mov_b32 s28, exec_lo
	v_cmpx_ne_u16_e32 0x80, v2
	s_cbranch_execz .LBB4_10640
; %bb.10633:                            ;   in Loop: Header=BB4_9783 Depth=2
	v_and_b32_e32 v3, 0x7c, v13
	v_and_b32_e32 v2, 3, v13
	s_delay_alu instid0(VALU_DEP_2) | instskip(SKIP_1) | instid1(SALU_CYCLE_1)
	v_cmp_ne_u32_e32 vcc_lo, 0x7c, v3
                                        ; implicit-def: $vgpr3
	s_and_saveexec_b32 s29, vcc_lo
	s_xor_b32 s29, exec_lo, s29
	s_cbranch_execz .LBB4_10637
; %bb.10634:                            ;   in Loop: Header=BB4_9783 Depth=2
	v_bfe_u32 v3, v13, 2, 5
	s_mov_b32 s40, exec_lo
	s_delay_alu instid0(VALU_DEP_1)
	v_cmpx_eq_u32_e32 0, v3
; %bb.10635:                            ;   in Loop: Header=BB4_9783 Depth=2
	v_clz_i32_u32_e32 v2, v2
	s_delay_alu instid0(VALU_DEP_1) | instskip(NEXT) | instid1(VALU_DEP_1)
	v_min_u32_e32 v10, 32, v2
	v_subrev_nc_u32_e32 v2, 29, v10
	s_delay_alu instid0(VALU_DEP_1) | instskip(SKIP_1) | instid1(VALU_DEP_2)
	v_lshlrev_b64_e32 v[2:3], v2, v[14:15]
	v_sub_nc_u32_e32 v3, 30, v10
	v_and_b32_e32 v2, 3, v2
; %bb.10636:                            ;   in Loop: Header=BB4_9783 Depth=2
	s_or_b32 exec_lo, exec_lo, s40
	v_lshlrev_b32_e32 v10, 24, v13
	s_delay_alu instid0(VALU_DEP_1) | instskip(NEXT) | instid1(VALU_DEP_1)
	v_and_b32_e32 v10, 0x80000000, v10
	v_lshl_add_u32 v3, v3, 23, v10
	s_delay_alu instid0(VALU_DEP_1) | instskip(NEXT) | instid1(VALU_DEP_1)
	v_lshl_or_b32 v2, v2, 21, v3
	v_add_nc_u32_e32 v3, 0x38000000, v2
                                        ; implicit-def: $vgpr2
.LBB4_10637:                            ;   in Loop: Header=BB4_9783 Depth=2
	s_and_not1_saveexec_b32 s29, s29
; %bb.10638:                            ;   in Loop: Header=BB4_9783 Depth=2
	v_bfe_i32 v3, v13, 0, 8
	s_delay_alu instid0(VALU_DEP_1) | instskip(SKIP_2) | instid1(VALU_DEP_2)
	v_cmp_lt_i16_e32 vcc_lo, -1, v3
	v_cndmask_b32_e32 v3, 0xff800000, v100, vcc_lo
	v_cmp_eq_u32_e32 vcc_lo, 0, v2
	v_cndmask_b32_e32 v3, 0x7f800001, v3, vcc_lo
; %bb.10639:                            ;   in Loop: Header=BB4_9783 Depth=2
	s_or_b32 exec_lo, exec_lo, s29
.LBB4_10640:                            ;   in Loop: Header=BB4_9783 Depth=2
	s_delay_alu instid0(SALU_CYCLE_1)
	s_or_b32 exec_lo, exec_lo, s28
.LBB4_10641:                            ;   in Loop: Header=BB4_9783 Depth=2
	s_delay_alu instid0(SALU_CYCLE_1) | instskip(NEXT) | instid1(VALU_DEP_1)
	s_or_b32 exec_lo, exec_lo, s10
	v_dual_mul_f32 v30, s27, v3 :: v_dual_mov_b32 v3, v15
	v_mov_b32_e32 v11, v15
	s_delay_alu instid0(VALU_DEP_2) | instskip(SKIP_1) | instid1(VALU_DEP_2)
	v_and_b32_e32 v2, 0x7f800000, v30
	v_and_b32_e32 v10, 0x7fffff, v30
	v_cmp_ne_u64_e32 vcc_lo, 0x7f800000, v[2:3]
	v_lshrrev_b32_e32 v2, 24, v30
                                        ; implicit-def: $vgpr3
	s_and_saveexec_b32 s10, vcc_lo
	s_delay_alu instid0(SALU_CYCLE_1)
	s_xor_b32 s28, exec_lo, s10
	s_cbranch_execz .LBB4_10655
; %bb.10642:                            ;   in Loop: Header=BB4_9783 Depth=2
	v_and_b32_e32 v20, 0x7fffffff, v30
	v_mov_b32_e32 v21, v15
	v_and_b32_e32 v2, 0x80, v2
                                        ; implicit-def: $vgpr3
	s_mov_b32 s10, exec_lo
	s_delay_alu instid0(VALU_DEP_2)
	v_cmpx_gt_u64_e32 0x47600001, v[20:21]
	s_xor_b32 s29, exec_lo, s10
	s_cbranch_execz .LBB4_10652
; %bb.10643:                            ;   in Loop: Header=BB4_9783 Depth=2
	v_mov_b32_e32 v3, 0
	s_mov_b32 s40, exec_lo
	v_cmpx_ne_u32_e32 0, v30
	s_cbranch_execz .LBB4_10651
; %bb.10644:                            ;   in Loop: Header=BB4_9783 Depth=2
	v_bfe_u32 v3, v30, 23, 8
	v_or_b32_e32 v24, 0x800000, v10
	s_delay_alu instid0(VALU_DEP_2) | instskip(SKIP_1) | instid1(VALU_DEP_2)
	v_sub_nc_u32_e32 v20, 0x71, v3
	v_cmp_gt_u32_e32 vcc_lo, 0x72, v3
	v_cndmask_b32_e32 v20, 0, v20, vcc_lo
	v_cmp_eq_u32_e32 vcc_lo, 0, v3
	v_cndmask_b32_e32 v10, v24, v10, vcc_lo
	s_delay_alu instid0(VALU_DEP_3) | instskip(NEXT) | instid1(VALU_DEP_1)
	v_cndmask_b32_e64 v20, v20, 0x70, vcc_lo
	v_add_nc_u32_e32 v21, 21, v20
	s_delay_alu instid0(VALU_DEP_1) | instskip(SKIP_1) | instid1(VALU_DEP_1)
	v_lshlrev_b64_e64 v[86:87], v21, -1
	v_add_nc_u32_e32 v21, 20, v20
	v_lshlrev_b64_e64 v[96:97], v21, 1
	s_delay_alu instid0(VALU_DEP_3) | instskip(SKIP_2) | instid1(VALU_DEP_1)
	v_bfi_b32 v86, v86, 0, v10
	v_lshrrev_b64 v[10:11], v20, v[10:11]
	v_bfi_b32 v87, v87, 0, 0
	v_cmp_eq_u64_e64 s10, v[86:87], v[96:97]
	s_delay_alu instid0(VALU_DEP_3)
	v_mov_b64_e32 v[86:87], v[10:11]
	s_and_saveexec_b32 s41, s10
; %bb.10645:                            ;   in Loop: Header=BB4_9783 Depth=2
	v_bfe_u32 v86, v10, 21, 1
	v_mov_b32_e32 v87, v15
	s_delay_alu instid0(VALU_DEP_1) | instskip(NEXT) | instid1(VALU_DEP_1)
	v_add_nc_u64_e32 v[86:87], v[10:11], v[86:87]
	v_add_nc_u64_e32 v[86:87], -1, v[86:87]
; %bb.10646:                            ;   in Loop: Header=BB4_9783 Depth=2
	s_or_b32 exec_lo, exec_lo, s41
	v_add_nc_u32_e32 v3, 0xffffff81, v3
	v_lshrrev_b32_e32 v11, 23, v10
	s_mov_b32 s10, exec_lo
	s_delay_alu instid0(VALU_DEP_2) | instskip(NEXT) | instid1(VALU_DEP_1)
	v_cndmask_b32_e64 v3, v3, 0xffffff82, vcc_lo
	v_add3_u32 v20, v20, v3, v11
	v_and_b32_e32 v3, 0x1fffff, v86
	s_delay_alu instid0(VALU_DEP_2) | instskip(NEXT) | instid1(VALU_DEP_2)
	v_dual_mov_b32 v11, v15 :: v_dual_add_nc_u32 v21, 14, v20
	v_add_nc_u32_e32 v10, v3, v10
                                        ; implicit-def: $vgpr3
	s_delay_alu instid0(VALU_DEP_2)
	v_cmpx_ne_u32_e32 0, v21
	s_xor_b32 s10, exec_lo, s10
; %bb.10647:                            ;   in Loop: Header=BB4_9783 Depth=2
	s_delay_alu instid0(VALU_DEP_2) | instskip(SKIP_2) | instid1(VALU_DEP_2)
	v_cmp_lt_u64_e32 vcc_lo, 0xffffff, v[10:11]
	v_add_nc_u32_e32 v3, 15, v20
	v_cndmask_b32_e64 v20, 0, 1, vcc_lo
	v_cndmask_b32_e32 v3, v21, v3, vcc_lo
	s_delay_alu instid0(VALU_DEP_2)
	v_lshrrev_b64 v[10:11], v20, v[10:11]
; %bb.10648:                            ;   in Loop: Header=BB4_9783 Depth=2
	s_and_not1_saveexec_b32 s10, s10
; %bb.10649:                            ;   in Loop: Header=BB4_9783 Depth=2
	s_delay_alu instid0(VALU_DEP_1)
	v_bfe_u32 v3, v10, 23, 1
; %bb.10650:                            ;   in Loop: Header=BB4_9783 Depth=2
	s_or_b32 exec_lo, exec_lo, s10
	s_delay_alu instid0(VALU_DEP_2) | instskip(NEXT) | instid1(VALU_DEP_2)
	v_lshrrev_b64 v[10:11], 21, v[10:11]
	v_cmp_gt_i32_e32 vcc_lo, 32, v3
	v_min_i32_e32 v20, 31, v3
	v_cmp_eq_u32_e64 s10, 0, v3
	s_delay_alu instid0(VALU_DEP_2) | instskip(SKIP_1) | instid1(VALU_DEP_2)
	v_dual_cndmask_b32 v10, 3, v10, vcc_lo :: v_dual_lshlrev_b32 v20, 2, v20
	v_cndmask_b32_e32 v11, 0, v11, vcc_lo
	v_and_b32_e32 v20, 0xfc, v20
	s_delay_alu instid0(VALU_DEP_2) | instskip(NEXT) | instid1(VALU_DEP_2)
	v_cmp_eq_u64_e32 vcc_lo, 0, v[10:11]
	v_and_or_b32 v3, v10, 3, v20
	s_and_b32 s10, s10, vcc_lo
	s_delay_alu instid0(VALU_DEP_1) | instid1(SALU_CYCLE_1)
	v_cndmask_b32_e64 v3, v3, 0, s10
	s_delay_alu instid0(VALU_DEP_1)
	v_or_b32_e32 v3, v3, v2
.LBB4_10651:                            ;   in Loop: Header=BB4_9783 Depth=2
	s_or_b32 exec_lo, exec_lo, s40
                                        ; implicit-def: $vgpr2
.LBB4_10652:                            ;   in Loop: Header=BB4_9783 Depth=2
	s_and_not1_saveexec_b32 s10, s29
; %bb.10653:                            ;   in Loop: Header=BB4_9783 Depth=2
	v_or_b32_e32 v3, 0x7b, v2
; %bb.10654:                            ;   in Loop: Header=BB4_9783 Depth=2
	s_or_b32 exec_lo, exec_lo, s10
                                        ; implicit-def: $vgpr30
                                        ; implicit-def: $vgpr10_vgpr11
                                        ; implicit-def: $vgpr2
.LBB4_10655:                            ;   in Loop: Header=BB4_9783 Depth=2
	s_and_not1_saveexec_b32 s10, s28
	s_cbranch_execz .LBB4_10661
; %bb.10656:                            ;   in Loop: Header=BB4_9783 Depth=2
	s_mov_b32 s28, exec_lo
                                        ; implicit-def: $vgpr3
	v_cmpx_ne_u64_e32 0, v[10:11]
	s_xor_b32 s28, exec_lo, s28
; %bb.10657:                            ;   in Loop: Header=BB4_9783 Depth=2
	v_or_b32_e32 v3, 0x7f, v2
                                        ; implicit-def: $vgpr30
; %bb.10658:                            ;   in Loop: Header=BB4_9783 Depth=2
	s_and_not1_saveexec_b32 s28, s28
; %bb.10659:                            ;   in Loop: Header=BB4_9783 Depth=2
	v_cmp_lt_i32_e32 vcc_lo, -1, v30
	v_cndmask_b32_e32 v3, 0xfc, v101, vcc_lo
; %bb.10660:                            ;   in Loop: Header=BB4_9783 Depth=2
	s_or_b32 exec_lo, exec_lo, s28
.LBB4_10661:                            ;   in Loop: Header=BB4_9783 Depth=2
	s_delay_alu instid0(SALU_CYCLE_1) | instskip(SKIP_3) | instid1(VALU_DEP_2)
	s_or_b32 exec_lo, exec_lo, s10
	v_lshrrev_b16 v10, 8, v14
	v_mov_b32_e32 v11, 0
	s_mov_b32 s10, exec_lo
	v_cmpx_ne_u16_e32 0, v10
	s_cbranch_execz .LBB4_10671
; %bb.10662:                            ;   in Loop: Header=BB4_9783 Depth=2
	v_bfrev_b32_e32 v11, 1
	s_mov_b32 s28, exec_lo
	v_cmpx_ne_u16_e32 0x80, v10
	s_cbranch_execz .LBB4_10670
; %bb.10663:                            ;   in Loop: Header=BB4_9783 Depth=2
	v_and_b32_e32 v20, 0xffff, v10
	s_delay_alu instid0(VALU_DEP_1) | instskip(SKIP_1) | instid1(VALU_DEP_2)
	v_and_b32_e32 v11, 0x7c, v20
	v_and_b32_e32 v2, 3, v20
	v_cmp_ne_u32_e32 vcc_lo, 0x7c, v11
                                        ; implicit-def: $vgpr11
	s_and_saveexec_b32 s29, vcc_lo
	s_delay_alu instid0(SALU_CYCLE_1)
	s_xor_b32 s29, exec_lo, s29
	s_cbranch_execz .LBB4_10667
; %bb.10664:                            ;   in Loop: Header=BB4_9783 Depth=2
	v_bfe_u32 v11, v20, 2, 5
	s_mov_b32 s40, exec_lo
	s_delay_alu instid0(VALU_DEP_1)
	v_cmpx_eq_u32_e32 0, v11
	s_cbranch_execz .LBB4_10666
; %bb.10665:                            ;   in Loop: Header=BB4_9783 Depth=2
	v_clz_i32_u32_e32 v2, v2
	v_mov_b32_e32 v11, v15
	s_delay_alu instid0(VALU_DEP_2) | instskip(NEXT) | instid1(VALU_DEP_1)
	v_min_u32_e32 v2, 32, v2
	v_subrev_nc_u32_e32 v20, 29, v2
	s_delay_alu instid0(VALU_DEP_1) | instskip(SKIP_1) | instid1(VALU_DEP_2)
	v_lshlrev_b64_e32 v[10:11], v20, v[10:11]
	v_sub_nc_u32_e32 v11, 30, v2
	v_and_b32_e32 v2, 3, v10
.LBB4_10666:                            ;   in Loop: Header=BB4_9783 Depth=2
	s_or_b32 exec_lo, exec_lo, s40
	v_lshlrev_b32_e32 v10, 16, v14
	s_delay_alu instid0(VALU_DEP_1) | instskip(NEXT) | instid1(VALU_DEP_1)
	v_and_b32_e32 v10, 0x80000000, v10
	v_lshl_add_u32 v10, v11, 23, v10
	s_delay_alu instid0(VALU_DEP_1) | instskip(NEXT) | instid1(VALU_DEP_1)
	v_lshl_or_b32 v2, v2, 21, v10
	v_add_nc_u32_e32 v11, 0x38000000, v2
                                        ; implicit-def: $vgpr2
.LBB4_10667:                            ;   in Loop: Header=BB4_9783 Depth=2
	s_and_not1_saveexec_b32 s29, s29
; %bb.10668:                            ;   in Loop: Header=BB4_9783 Depth=2
	v_cmp_lt_i16_e32 vcc_lo, -1, v14
	v_cndmask_b32_e32 v10, 0xff800000, v100, vcc_lo
	v_cmp_eq_u32_e32 vcc_lo, 0, v2
	s_delay_alu instid0(VALU_DEP_2)
	v_cndmask_b32_e32 v11, 0x7f800001, v10, vcc_lo
; %bb.10669:                            ;   in Loop: Header=BB4_9783 Depth=2
	s_or_b32 exec_lo, exec_lo, s29
.LBB4_10670:                            ;   in Loop: Header=BB4_9783 Depth=2
	s_delay_alu instid0(SALU_CYCLE_1)
	s_or_b32 exec_lo, exec_lo, s28
.LBB4_10671:                            ;   in Loop: Header=BB4_9783 Depth=2
	s_delay_alu instid0(SALU_CYCLE_1) | instskip(NEXT) | instid1(VALU_DEP_1)
	s_or_b32 exec_lo, exec_lo, s10
	v_dual_mul_f32 v10, s27, v11 :: v_dual_mov_b32 v21, v15
                                        ; implicit-def: $vgpr73
	s_mov_b32 s10, exec_lo
	s_delay_alu instid0(VALU_DEP_1) | instskip(SKIP_2) | instid1(VALU_DEP_3)
	v_and_b32_e32 v20, 0x7f800000, v10
	v_and_b32_e32 v14, 0x7fffff, v10
	v_lshrrev_b32_e32 v2, 24, v10
	v_cmpx_ne_u64_e32 0x7f800000, v[20:21]
	s_xor_b32 s28, exec_lo, s10
	s_cbranch_execz .LBB4_10685
; %bb.10672:                            ;   in Loop: Header=BB4_9783 Depth=2
	v_and_b32_e32 v20, 0x7fffffff, v10
	v_mov_b32_e32 v21, v15
	v_and_b32_e32 v2, 0x80, v2
                                        ; implicit-def: $vgpr73
	s_mov_b32 s10, exec_lo
	s_delay_alu instid0(VALU_DEP_2)
	v_cmpx_gt_u64_e32 0x47600001, v[20:21]
	s_xor_b32 s29, exec_lo, s10
	s_cbranch_execz .LBB4_10682
; %bb.10673:                            ;   in Loop: Header=BB4_9783 Depth=2
	v_mov_b32_e32 v73, 0
	s_mov_b32 s40, exec_lo
	v_cmpx_ne_u32_e32 0, v10
	s_cbranch_execz .LBB4_10681
; %bb.10674:                            ;   in Loop: Header=BB4_9783 Depth=2
	v_bfe_u32 v20, v10, 23, 8
	v_or_b32_e32 v24, 0x800000, v14
	s_mov_b32 s41, exec_lo
	s_delay_alu instid0(VALU_DEP_2) | instskip(SKIP_1) | instid1(VALU_DEP_2)
	v_dual_mov_b32 v87, v15 :: v_dual_sub_nc_u32 v10, 0x71, v20
	v_cmp_gt_u32_e32 vcc_lo, 0x72, v20
	v_cndmask_b32_e32 v10, 0, v10, vcc_lo
	v_cmp_eq_u32_e32 vcc_lo, 0, v20
	s_delay_alu instid0(VALU_DEP_2) | instskip(NEXT) | instid1(VALU_DEP_1)
	v_cndmask_b32_e64 v21, v10, 0x70, vcc_lo
	v_dual_cndmask_b32 v86, v24, v14, vcc_lo :: v_dual_add_nc_u32 v10, 21, v21
	v_add_nc_u32_e32 v25, 20, v21
	s_delay_alu instid0(VALU_DEP_2) | instskip(NEXT) | instid1(VALU_DEP_2)
	v_lshlrev_b64_e64 v[10:11], v10, -1
	v_lshlrev_b64_e64 v[96:97], v25, 1
	s_delay_alu instid0(VALU_DEP_2) | instskip(NEXT) | instid1(VALU_DEP_3)
	v_bfi_b32 v75, v11, 0, 0
	v_bfi_b32 v74, v10, 0, v86
	v_lshrrev_b64 v[10:11], v21, v[86:87]
	s_delay_alu instid0(VALU_DEP_1) | instskip(NEXT) | instid1(VALU_DEP_3)
	v_mov_b64_e32 v[86:87], v[10:11]
	v_cmpx_eq_u64_e64 v[74:75], v[96:97]
; %bb.10675:                            ;   in Loop: Header=BB4_9783 Depth=2
	v_bfe_u32 v86, v10, 21, 1
	v_mov_b32_e32 v87, v15
	s_delay_alu instid0(VALU_DEP_1) | instskip(NEXT) | instid1(VALU_DEP_1)
	v_add_nc_u64_e32 v[86:87], v[10:11], v[86:87]
	v_add_nc_u64_e32 v[86:87], -1, v[86:87]
; %bb.10676:                            ;   in Loop: Header=BB4_9783 Depth=2
	s_or_b32 exec_lo, exec_lo, s41
	v_add_nc_u32_e32 v11, 0xffffff81, v20
	v_lshrrev_b32_e32 v14, 23, v10
	s_mov_b32 s10, exec_lo
                                        ; implicit-def: $vgpr20
	s_delay_alu instid0(VALU_DEP_2) | instskip(NEXT) | instid1(VALU_DEP_1)
	v_cndmask_b32_e64 v11, v11, 0xffffff82, vcc_lo
	v_add3_u32 v21, v21, v11, v14
	v_and_b32_e32 v11, 0x1fffff, v86
	s_delay_alu instid0(VALU_DEP_1) | instskip(NEXT) | instid1(VALU_DEP_1)
	v_dual_add_nc_u32 v30, 14, v21 :: v_dual_add_nc_u32 v14, v11, v10
                                        ; implicit-def: $vgpr10_vgpr11
	v_cmpx_ne_u32_e32 0, v30
	s_xor_b32 s10, exec_lo, s10
; %bb.10677:                            ;   in Loop: Header=BB4_9783 Depth=2
	s_delay_alu instid0(VALU_DEP_2) | instskip(SKIP_1) | instid1(VALU_DEP_1)
	v_cmp_lt_u64_e32 vcc_lo, 0xffffff, v[14:15]
	v_add_nc_u32_e32 v10, 15, v21
	v_cndmask_b32_e32 v20, v30, v10, vcc_lo
	v_cndmask_b32_e64 v10, 0, 1, vcc_lo
	s_delay_alu instid0(VALU_DEP_1)
	v_lshrrev_b64 v[10:11], v10, v[14:15]
; %bb.10678:                            ;   in Loop: Header=BB4_9783 Depth=2
	s_and_not1_saveexec_b32 s10, s10
; %bb.10679:                            ;   in Loop: Header=BB4_9783 Depth=2
	v_mov_b64_e32 v[10:11], v[14:15]
	v_bfe_u32 v20, v14, 23, 1
; %bb.10680:                            ;   in Loop: Header=BB4_9783 Depth=2
	s_or_b32 exec_lo, exec_lo, s10
	s_delay_alu instid0(VALU_DEP_2) | instskip(NEXT) | instid1(VALU_DEP_2)
	v_lshrrev_b64 v[10:11], 21, v[10:11]
	v_cmp_gt_i32_e32 vcc_lo, 32, v20
	v_min_i32_e32 v14, 31, v20
	v_cmp_eq_u32_e64 s10, 0, v20
	s_delay_alu instid0(VALU_DEP_2) | instskip(SKIP_1) | instid1(VALU_DEP_2)
	v_dual_cndmask_b32 v11, 0, v11 :: v_dual_lshlrev_b32 v14, 2, v14
	v_cndmask_b32_e32 v10, 3, v10, vcc_lo
	v_and_b32_e32 v14, 0xfc, v14
	s_delay_alu instid0(VALU_DEP_2) | instskip(NEXT) | instid1(VALU_DEP_2)
	v_cmp_eq_u64_e32 vcc_lo, 0, v[10:11]
	v_and_or_b32 v10, v10, 3, v14
	s_and_b32 s10, s10, vcc_lo
	s_delay_alu instid0(VALU_DEP_1) | instid1(SALU_CYCLE_1)
	v_cndmask_b32_e64 v10, v10, 0, s10
	s_delay_alu instid0(VALU_DEP_1)
	v_or_b32_e32 v73, v10, v2
.LBB4_10681:                            ;   in Loop: Header=BB4_9783 Depth=2
	s_or_b32 exec_lo, exec_lo, s40
                                        ; implicit-def: $vgpr2
.LBB4_10682:                            ;   in Loop: Header=BB4_9783 Depth=2
	s_and_not1_saveexec_b32 s10, s29
; %bb.10683:                            ;   in Loop: Header=BB4_9783 Depth=2
	v_or_b32_e32 v73, 0x7b, v2
; %bb.10684:                            ;   in Loop: Header=BB4_9783 Depth=2
	s_or_b32 exec_lo, exec_lo, s10
                                        ; implicit-def: $vgpr10
                                        ; implicit-def: $vgpr2
.LBB4_10685:                            ;   in Loop: Header=BB4_9783 Depth=2
	s_and_not1_saveexec_b32 s10, s28
	s_cbranch_execz .LBB4_10691
; %bb.10686:                            ;   in Loop: Header=BB4_9783 Depth=2
	s_mov_b32 s28, exec_lo
                                        ; implicit-def: $vgpr73
	v_cmpx_ne_u64_e32 0, v[14:15]
	s_xor_b32 s28, exec_lo, s28
; %bb.10687:                            ;   in Loop: Header=BB4_9783 Depth=2
	v_or_b32_e32 v73, 0x7f, v2
                                        ; implicit-def: $vgpr10
; %bb.10688:                            ;   in Loop: Header=BB4_9783 Depth=2
	s_and_not1_saveexec_b32 s28, s28
; %bb.10689:                            ;   in Loop: Header=BB4_9783 Depth=2
	v_cmp_lt_i32_e32 vcc_lo, -1, v10
	v_cndmask_b32_e32 v73, 0xfc, v101, vcc_lo
; %bb.10690:                            ;   in Loop: Header=BB4_9783 Depth=2
	s_or_b32 exec_lo, exec_lo, s28
.LBB4_10691:                            ;   in Loop: Header=BB4_9783 Depth=2
	s_delay_alu instid0(SALU_CYCLE_1) | instskip(SKIP_2) | instid1(VALU_DEP_1)
	s_or_b32 exec_lo, exec_lo, s10
	v_dual_mov_b32 v11, 0 :: v_dual_lshrrev_b32 v10, 16, v13
	s_mov_b32 s10, exec_lo
	v_and_b32_e32 v2, 0xff, v10
	s_delay_alu instid0(VALU_DEP_1)
	v_cmpx_ne_u16_e32 0, v2
	s_cbranch_execz .LBB4_10701
; %bb.10692:                            ;   in Loop: Header=BB4_9783 Depth=2
	v_bfrev_b32_e32 v11, 1
	s_mov_b32 s28, exec_lo
	v_cmpx_ne_u16_e32 0x80, v2
	s_cbranch_execz .LBB4_10700
; %bb.10693:                            ;   in Loop: Header=BB4_9783 Depth=2
	v_and_b32_e32 v11, 0x7c0000, v13
	v_bfe_u32 v2, v13, 16, 2
	s_delay_alu instid0(VALU_DEP_2) | instskip(SKIP_1) | instid1(SALU_CYCLE_1)
	v_cmp_ne_u32_e32 vcc_lo, 0x7c0000, v11
                                        ; implicit-def: $vgpr11
	s_and_saveexec_b32 s29, vcc_lo
	s_xor_b32 s29, exec_lo, s29
	s_cbranch_execz .LBB4_10697
; %bb.10694:                            ;   in Loop: Header=BB4_9783 Depth=2
	v_bfe_u32 v11, v13, 18, 5
	s_mov_b32 s40, exec_lo
	s_delay_alu instid0(VALU_DEP_1)
	v_cmpx_eq_u32_e32 0, v11
; %bb.10695:                            ;   in Loop: Header=BB4_9783 Depth=2
	v_clz_i32_u32_e32 v2, v2
	s_delay_alu instid0(VALU_DEP_1) | instskip(NEXT) | instid1(VALU_DEP_1)
	v_min_u32_e32 v2, 32, v2
	v_subrev_nc_u32_e32 v11, 29, v2
	s_delay_alu instid0(VALU_DEP_1) | instskip(NEXT) | instid1(VALU_DEP_1)
	v_lshlrev_b64_e32 v[20:21], v11, v[10:11]
	v_dual_sub_nc_u32 v11, 30, v2 :: v_dual_bitop2_b32 v2, 3, v20 bitop3:0x40
; %bb.10696:                            ;   in Loop: Header=BB4_9783 Depth=2
	s_or_b32 exec_lo, exec_lo, s40
	v_lshlrev_b32_e32 v10, 24, v10
	s_delay_alu instid0(VALU_DEP_1) | instskip(NEXT) | instid1(VALU_DEP_1)
	v_and_b32_e32 v10, 0x80000000, v10
	v_lshl_add_u32 v10, v11, 23, v10
	s_delay_alu instid0(VALU_DEP_1) | instskip(NEXT) | instid1(VALU_DEP_1)
	v_lshl_or_b32 v2, v2, 21, v10
                                        ; implicit-def: $vgpr10
	v_add_nc_u32_e32 v11, 0x38000000, v2
                                        ; implicit-def: $vgpr2
.LBB4_10697:                            ;   in Loop: Header=BB4_9783 Depth=2
	s_and_not1_saveexec_b32 s29, s29
; %bb.10698:                            ;   in Loop: Header=BB4_9783 Depth=2
	v_bfe_i32 v10, v10, 0, 8
	s_delay_alu instid0(VALU_DEP_1) | instskip(SKIP_2) | instid1(VALU_DEP_2)
	v_cmp_lt_i16_e32 vcc_lo, -1, v10
	v_cndmask_b32_e32 v10, 0xff800000, v100, vcc_lo
	v_cmp_eq_u32_e32 vcc_lo, 0, v2
	v_cndmask_b32_e32 v11, 0x7f800001, v10, vcc_lo
; %bb.10699:                            ;   in Loop: Header=BB4_9783 Depth=2
	s_or_b32 exec_lo, exec_lo, s29
.LBB4_10700:                            ;   in Loop: Header=BB4_9783 Depth=2
	s_delay_alu instid0(SALU_CYCLE_1)
	s_or_b32 exec_lo, exec_lo, s28
.LBB4_10701:                            ;   in Loop: Header=BB4_9783 Depth=2
	s_delay_alu instid0(SALU_CYCLE_1) | instskip(NEXT) | instid1(VALU_DEP_1)
	s_or_b32 exec_lo, exec_lo, s10
	v_dual_mul_f32 v10, s27, v11 :: v_dual_mov_b32 v21, v15
                                        ; implicit-def: $vgpr74
	s_mov_b32 s10, exec_lo
	s_delay_alu instid0(VALU_DEP_1) | instskip(SKIP_2) | instid1(VALU_DEP_3)
	v_and_b32_e32 v20, 0x7f800000, v10
	v_and_b32_e32 v14, 0x7fffff, v10
	v_lshrrev_b32_e32 v2, 24, v10
	v_cmpx_ne_u64_e32 0x7f800000, v[20:21]
	s_xor_b32 s28, exec_lo, s10
	s_cbranch_execz .LBB4_10715
; %bb.10702:                            ;   in Loop: Header=BB4_9783 Depth=2
	v_and_b32_e32 v20, 0x7fffffff, v10
	v_mov_b32_e32 v21, v15
	v_and_b32_e32 v2, 0x80, v2
                                        ; implicit-def: $vgpr74
	s_mov_b32 s10, exec_lo
	s_delay_alu instid0(VALU_DEP_2)
	v_cmpx_gt_u64_e32 0x47600001, v[20:21]
	s_xor_b32 s29, exec_lo, s10
	s_cbranch_execz .LBB4_10712
; %bb.10703:                            ;   in Loop: Header=BB4_9783 Depth=2
	v_mov_b32_e32 v74, 0
	s_mov_b32 s40, exec_lo
	v_cmpx_ne_u32_e32 0, v10
	s_cbranch_execz .LBB4_10711
; %bb.10704:                            ;   in Loop: Header=BB4_9783 Depth=2
	v_bfe_u32 v20, v10, 23, 8
	v_or_b32_e32 v24, 0x800000, v14
	s_mov_b32 s41, exec_lo
	s_delay_alu instid0(VALU_DEP_2) | instskip(SKIP_1) | instid1(VALU_DEP_2)
	v_dual_mov_b32 v87, v15 :: v_dual_sub_nc_u32 v10, 0x71, v20
	v_cmp_gt_u32_e32 vcc_lo, 0x72, v20
	v_cndmask_b32_e32 v10, 0, v10, vcc_lo
	v_cmp_eq_u32_e32 vcc_lo, 0, v20
	s_delay_alu instid0(VALU_DEP_2) | instskip(NEXT) | instid1(VALU_DEP_1)
	v_cndmask_b32_e64 v21, v10, 0x70, vcc_lo
	v_dual_cndmask_b32 v86, v24, v14, vcc_lo :: v_dual_add_nc_u32 v10, 21, v21
	v_add_nc_u32_e32 v25, 20, v21
	s_delay_alu instid0(VALU_DEP_2) | instskip(NEXT) | instid1(VALU_DEP_2)
	v_lshlrev_b64_e64 v[10:11], v10, -1
	v_lshlrev_b64_e64 v[96:97], v25, 1
	s_delay_alu instid0(VALU_DEP_2) | instskip(NEXT) | instid1(VALU_DEP_3)
	v_bfi_b32 v75, v11, 0, 0
	v_bfi_b32 v74, v10, 0, v86
	v_lshrrev_b64 v[10:11], v21, v[86:87]
	s_delay_alu instid0(VALU_DEP_1) | instskip(NEXT) | instid1(VALU_DEP_3)
	v_mov_b64_e32 v[86:87], v[10:11]
	v_cmpx_eq_u64_e64 v[74:75], v[96:97]
; %bb.10705:                            ;   in Loop: Header=BB4_9783 Depth=2
	v_bfe_u32 v86, v10, 21, 1
	v_mov_b32_e32 v87, v15
	s_delay_alu instid0(VALU_DEP_1) | instskip(NEXT) | instid1(VALU_DEP_1)
	v_add_nc_u64_e32 v[86:87], v[10:11], v[86:87]
	v_add_nc_u64_e32 v[86:87], -1, v[86:87]
; %bb.10706:                            ;   in Loop: Header=BB4_9783 Depth=2
	s_or_b32 exec_lo, exec_lo, s41
	v_add_nc_u32_e32 v11, 0xffffff81, v20
	v_lshrrev_b32_e32 v14, 23, v10
	s_mov_b32 s10, exec_lo
                                        ; implicit-def: $vgpr20
	s_delay_alu instid0(VALU_DEP_2) | instskip(NEXT) | instid1(VALU_DEP_1)
	v_cndmask_b32_e64 v11, v11, 0xffffff82, vcc_lo
	v_add3_u32 v21, v21, v11, v14
	v_and_b32_e32 v11, 0x1fffff, v86
	s_delay_alu instid0(VALU_DEP_1) | instskip(NEXT) | instid1(VALU_DEP_1)
	v_dual_add_nc_u32 v30, 14, v21 :: v_dual_add_nc_u32 v14, v11, v10
                                        ; implicit-def: $vgpr10_vgpr11
	v_cmpx_ne_u32_e32 0, v30
	s_xor_b32 s10, exec_lo, s10
; %bb.10707:                            ;   in Loop: Header=BB4_9783 Depth=2
	s_delay_alu instid0(VALU_DEP_2) | instskip(SKIP_1) | instid1(VALU_DEP_1)
	v_cmp_lt_u64_e32 vcc_lo, 0xffffff, v[14:15]
	v_add_nc_u32_e32 v10, 15, v21
	v_cndmask_b32_e32 v20, v30, v10, vcc_lo
	v_cndmask_b32_e64 v10, 0, 1, vcc_lo
	s_delay_alu instid0(VALU_DEP_1)
	v_lshrrev_b64 v[10:11], v10, v[14:15]
; %bb.10708:                            ;   in Loop: Header=BB4_9783 Depth=2
	s_and_not1_saveexec_b32 s10, s10
; %bb.10709:                            ;   in Loop: Header=BB4_9783 Depth=2
	v_mov_b64_e32 v[10:11], v[14:15]
	v_bfe_u32 v20, v14, 23, 1
; %bb.10710:                            ;   in Loop: Header=BB4_9783 Depth=2
	s_or_b32 exec_lo, exec_lo, s10
	s_delay_alu instid0(VALU_DEP_2) | instskip(NEXT) | instid1(VALU_DEP_2)
	v_lshrrev_b64 v[10:11], 21, v[10:11]
	v_cmp_gt_i32_e32 vcc_lo, 32, v20
	v_min_i32_e32 v14, 31, v20
	v_cmp_eq_u32_e64 s10, 0, v20
	s_delay_alu instid0(VALU_DEP_2) | instskip(SKIP_1) | instid1(VALU_DEP_2)
	v_dual_cndmask_b32 v11, 0, v11 :: v_dual_lshlrev_b32 v14, 2, v14
	v_cndmask_b32_e32 v10, 3, v10, vcc_lo
	v_and_b32_e32 v14, 0xfc, v14
	s_delay_alu instid0(VALU_DEP_2) | instskip(NEXT) | instid1(VALU_DEP_2)
	v_cmp_eq_u64_e32 vcc_lo, 0, v[10:11]
	v_and_or_b32 v10, v10, 3, v14
	s_and_b32 s10, s10, vcc_lo
	s_delay_alu instid0(VALU_DEP_1) | instid1(SALU_CYCLE_1)
	v_cndmask_b32_e64 v10, v10, 0, s10
	s_delay_alu instid0(VALU_DEP_1)
	v_or_b32_e32 v74, v10, v2
.LBB4_10711:                            ;   in Loop: Header=BB4_9783 Depth=2
	s_or_b32 exec_lo, exec_lo, s40
                                        ; implicit-def: $vgpr2
.LBB4_10712:                            ;   in Loop: Header=BB4_9783 Depth=2
	s_and_not1_saveexec_b32 s10, s29
; %bb.10713:                            ;   in Loop: Header=BB4_9783 Depth=2
	v_or_b32_e32 v74, 0x7b, v2
; %bb.10714:                            ;   in Loop: Header=BB4_9783 Depth=2
	s_or_b32 exec_lo, exec_lo, s10
                                        ; implicit-def: $vgpr10
                                        ; implicit-def: $vgpr2
.LBB4_10715:                            ;   in Loop: Header=BB4_9783 Depth=2
	s_and_not1_saveexec_b32 s10, s28
	s_cbranch_execz .LBB4_10721
; %bb.10716:                            ;   in Loop: Header=BB4_9783 Depth=2
	s_mov_b32 s28, exec_lo
                                        ; implicit-def: $vgpr74
	v_cmpx_ne_u64_e32 0, v[14:15]
	s_xor_b32 s28, exec_lo, s28
; %bb.10717:                            ;   in Loop: Header=BB4_9783 Depth=2
	v_or_b32_e32 v74, 0x7f, v2
                                        ; implicit-def: $vgpr10
; %bb.10718:                            ;   in Loop: Header=BB4_9783 Depth=2
	s_and_not1_saveexec_b32 s28, s28
; %bb.10719:                            ;   in Loop: Header=BB4_9783 Depth=2
	v_cmp_lt_i32_e32 vcc_lo, -1, v10
	v_cndmask_b32_e32 v74, 0xfc, v101, vcc_lo
; %bb.10720:                            ;   in Loop: Header=BB4_9783 Depth=2
	s_or_b32 exec_lo, exec_lo, s28
.LBB4_10721:                            ;   in Loop: Header=BB4_9783 Depth=2
	s_delay_alu instid0(SALU_CYCLE_1)
	s_or_b32 exec_lo, exec_lo, s10
	v_mov_b32_e32 v2, 0
	s_mov_b32 s10, exec_lo
	v_cmpx_lt_u64_e64 s[12:13], v[12:13]
	s_cbranch_execz .LBB4_10731
; %bb.10722:                            ;   in Loop: Header=BB4_9783 Depth=2
	v_lshrrev_b32_e32 v10, 24, v13
	v_bfrev_b32_e32 v2, 1
	s_mov_b32 s28, exec_lo
	s_delay_alu instid0(VALU_DEP_2)
	v_cmpx_ne_u32_e32 0x80, v10
	s_cbranch_execz .LBB4_10730
; %bb.10723:                            ;   in Loop: Header=BB4_9783 Depth=2
	v_and_b32_e32 v2, 0x7c000000, v13
	v_bfe_u32 v11, v13, 24, 2
	s_delay_alu instid0(VALU_DEP_2) | instskip(SKIP_1) | instid1(SALU_CYCLE_1)
	v_cmp_ne_u32_e32 vcc_lo, 0x7c000000, v2
                                        ; implicit-def: $vgpr2
	s_and_saveexec_b32 s29, vcc_lo
	s_xor_b32 s29, exec_lo, s29
	s_cbranch_execz .LBB4_10727
; %bb.10724:                            ;   in Loop: Header=BB4_9783 Depth=2
	v_bfe_u32 v2, v13, 26, 5
	s_mov_b32 s40, exec_lo
	s_delay_alu instid0(VALU_DEP_1)
	v_cmpx_eq_u32_e32 0, v2
; %bb.10725:                            ;   in Loop: Header=BB4_9783 Depth=2
	v_clz_i32_u32_e32 v2, v11
	s_delay_alu instid0(VALU_DEP_1) | instskip(NEXT) | instid1(VALU_DEP_1)
	v_min_u32_e32 v2, 32, v2
	v_subrev_nc_u32_e32 v11, 29, v2
	v_sub_nc_u32_e32 v2, 30, v2
	s_delay_alu instid0(VALU_DEP_2) | instskip(NEXT) | instid1(VALU_DEP_1)
	v_lshlrev_b64_e32 v[10:11], v11, v[10:11]
	v_and_b32_e32 v11, 3, v10
; %bb.10726:                            ;   in Loop: Header=BB4_9783 Depth=2
	s_or_b32 exec_lo, exec_lo, s40
	v_and_b32_e32 v10, 0x80000000, v13
                                        ; implicit-def: $vgpr12_vgpr13
	s_delay_alu instid0(VALU_DEP_1) | instskip(NEXT) | instid1(VALU_DEP_1)
	v_lshl_add_u32 v2, v2, 23, v10
	v_lshl_or_b32 v2, v11, 21, v2
                                        ; implicit-def: $vgpr11
	s_delay_alu instid0(VALU_DEP_1)
	v_add_nc_u32_e32 v2, 0x38000000, v2
.LBB4_10727:                            ;   in Loop: Header=BB4_9783 Depth=2
	s_and_not1_saveexec_b32 s29, s29
; %bb.10728:                            ;   in Loop: Header=BB4_9783 Depth=2
	v_cmp_lt_i64_e32 vcc_lo, -1, v[12:13]
	v_cndmask_b32_e32 v2, 0xff800000, v100, vcc_lo
	v_cmp_eq_u32_e32 vcc_lo, 0, v11
	s_delay_alu instid0(VALU_DEP_2)
	v_cndmask_b32_e32 v2, 0x7f800001, v2, vcc_lo
; %bb.10729:                            ;   in Loop: Header=BB4_9783 Depth=2
	s_or_b32 exec_lo, exec_lo, s29
.LBB4_10730:                            ;   in Loop: Header=BB4_9783 Depth=2
	s_delay_alu instid0(SALU_CYCLE_1)
	s_or_b32 exec_lo, exec_lo, s28
.LBB4_10731:                            ;   in Loop: Header=BB4_9783 Depth=2
	s_delay_alu instid0(SALU_CYCLE_1) | instskip(NEXT) | instid1(VALU_DEP_1)
	s_or_b32 exec_lo, exec_lo, s10
	v_dual_mul_f32 v10, s27, v2 :: v_dual_mov_b32 v13, v15
                                        ; implicit-def: $vgpr75
	s_mov_b32 s10, exec_lo
	s_delay_alu instid0(VALU_DEP_1) | instskip(SKIP_2) | instid1(VALU_DEP_3)
	v_and_b32_e32 v12, 0x7f800000, v10
	v_and_b32_e32 v14, 0x7fffff, v10
	v_lshrrev_b32_e32 v2, 24, v10
	v_cmpx_ne_u64_e32 0x7f800000, v[12:13]
	s_xor_b32 s28, exec_lo, s10
	s_cbranch_execz .LBB4_10745
; %bb.10732:                            ;   in Loop: Header=BB4_9783 Depth=2
	v_and_b32_e32 v12, 0x7fffffff, v10
	v_mov_b32_e32 v13, v15
	v_and_b32_e32 v2, 0x80, v2
                                        ; implicit-def: $vgpr75
	s_mov_b32 s10, exec_lo
	s_delay_alu instid0(VALU_DEP_2)
	v_cmpx_gt_u64_e32 0x47600001, v[12:13]
	s_xor_b32 s29, exec_lo, s10
	s_cbranch_execz .LBB4_10742
; %bb.10733:                            ;   in Loop: Header=BB4_9783 Depth=2
	v_mov_b32_e32 v75, 0
	s_mov_b32 s40, exec_lo
	v_cmpx_ne_u32_e32 0, v10
	s_cbranch_execz .LBB4_10741
; %bb.10734:                            ;   in Loop: Header=BB4_9783 Depth=2
	v_bfe_u32 v20, v10, 23, 8
	v_or_b32_e32 v12, 0x800000, v14
	s_mov_b32 s41, exec_lo
	s_delay_alu instid0(VALU_DEP_2) | instskip(SKIP_1) | instid1(VALU_DEP_2)
	v_dual_mov_b32 v13, v15 :: v_dual_sub_nc_u32 v10, 0x71, v20
	v_cmp_gt_u32_e32 vcc_lo, 0x72, v20
	v_cndmask_b32_e32 v10, 0, v10, vcc_lo
	v_cmp_eq_u32_e32 vcc_lo, 0, v20
	s_delay_alu instid0(VALU_DEP_2) | instskip(NEXT) | instid1(VALU_DEP_1)
	v_cndmask_b32_e64 v21, v10, 0x70, vcc_lo
	v_dual_cndmask_b32 v12, v12, v14, vcc_lo :: v_dual_add_nc_u32 v10, 21, v21
	v_add_nc_u32_e32 v24, 20, v21
	s_delay_alu instid0(VALU_DEP_2) | instskip(NEXT) | instid1(VALU_DEP_2)
	v_lshlrev_b64_e64 v[10:11], v10, -1
	v_lshlrev_b64_e64 v[86:87], v24, 1
	s_delay_alu instid0(VALU_DEP_2) | instskip(NEXT) | instid1(VALU_DEP_3)
	v_bfi_b32 v97, v11, 0, 0
	v_bfi_b32 v96, v10, 0, v12
	v_lshrrev_b64 v[10:11], v21, v[12:13]
	s_delay_alu instid0(VALU_DEP_1) | instskip(NEXT) | instid1(VALU_DEP_3)
	v_mov_b64_e32 v[12:13], v[10:11]
	v_cmpx_eq_u64_e64 v[96:97], v[86:87]
; %bb.10735:                            ;   in Loop: Header=BB4_9783 Depth=2
	v_bfe_u32 v12, v10, 21, 1
	v_mov_b32_e32 v13, v15
	s_delay_alu instid0(VALU_DEP_1) | instskip(NEXT) | instid1(VALU_DEP_1)
	v_add_nc_u64_e32 v[12:13], v[10:11], v[12:13]
	v_add_nc_u64_e32 v[12:13], -1, v[12:13]
; %bb.10736:                            ;   in Loop: Header=BB4_9783 Depth=2
	s_or_b32 exec_lo, exec_lo, s41
	v_add_nc_u32_e32 v11, 0xffffff81, v20
	v_lshrrev_b32_e32 v13, 23, v10
	s_mov_b32 s10, exec_lo
	s_delay_alu instid0(VALU_DEP_2) | instskip(NEXT) | instid1(VALU_DEP_1)
	v_cndmask_b32_e64 v11, v11, 0xffffff82, vcc_lo
	v_add3_u32 v13, v21, v11, v13
	v_and_b32_e32 v11, 0x1fffff, v12
                                        ; implicit-def: $vgpr12
	s_delay_alu instid0(VALU_DEP_1) | instskip(NEXT) | instid1(VALU_DEP_1)
	v_dual_add_nc_u32 v20, 14, v13 :: v_dual_add_nc_u32 v14, v11, v10
                                        ; implicit-def: $vgpr10_vgpr11
	v_cmpx_ne_u32_e32 0, v20
	s_xor_b32 s10, exec_lo, s10
; %bb.10737:                            ;   in Loop: Header=BB4_9783 Depth=2
	s_delay_alu instid0(VALU_DEP_2) | instskip(SKIP_1) | instid1(VALU_DEP_1)
	v_cmp_lt_u64_e32 vcc_lo, 0xffffff, v[14:15]
	v_add_nc_u32_e32 v10, 15, v13
	v_cndmask_b32_e32 v12, v20, v10, vcc_lo
	v_cndmask_b32_e64 v10, 0, 1, vcc_lo
	s_delay_alu instid0(VALU_DEP_1)
	v_lshrrev_b64 v[10:11], v10, v[14:15]
; %bb.10738:                            ;   in Loop: Header=BB4_9783 Depth=2
	s_and_not1_saveexec_b32 s10, s10
; %bb.10739:                            ;   in Loop: Header=BB4_9783 Depth=2
	v_mov_b64_e32 v[10:11], v[14:15]
	v_bfe_u32 v12, v14, 23, 1
; %bb.10740:                            ;   in Loop: Header=BB4_9783 Depth=2
	s_or_b32 exec_lo, exec_lo, s10
	s_delay_alu instid0(VALU_DEP_2) | instskip(NEXT) | instid1(VALU_DEP_2)
	v_lshrrev_b64 v[10:11], 21, v[10:11]
	v_cmp_gt_i32_e32 vcc_lo, 32, v12
	v_min_i32_e32 v13, 31, v12
	v_cmp_eq_u32_e64 s10, 0, v12
	s_delay_alu instid0(VALU_DEP_2) | instskip(SKIP_1) | instid1(VALU_DEP_2)
	v_dual_cndmask_b32 v11, 0, v11, vcc_lo :: v_dual_lshlrev_b32 v13, 2, v13
	v_cndmask_b32_e32 v10, 3, v10, vcc_lo
	v_and_b32_e32 v13, 0xfc, v13
	s_delay_alu instid0(VALU_DEP_2) | instskip(NEXT) | instid1(VALU_DEP_2)
	v_cmp_eq_u64_e32 vcc_lo, 0, v[10:11]
	v_and_or_b32 v10, v10, 3, v13
	s_and_b32 s10, s10, vcc_lo
	s_delay_alu instid0(VALU_DEP_1) | instid1(SALU_CYCLE_1)
	v_cndmask_b32_e64 v10, v10, 0, s10
	s_delay_alu instid0(VALU_DEP_1)
	v_or_b32_e32 v75, v10, v2
.LBB4_10741:                            ;   in Loop: Header=BB4_9783 Depth=2
	s_or_b32 exec_lo, exec_lo, s40
                                        ; implicit-def: $vgpr2
.LBB4_10742:                            ;   in Loop: Header=BB4_9783 Depth=2
	s_and_not1_saveexec_b32 s10, s29
; %bb.10743:                            ;   in Loop: Header=BB4_9783 Depth=2
	v_or_b32_e32 v75, 0x7b, v2
; %bb.10744:                            ;   in Loop: Header=BB4_9783 Depth=2
	s_or_b32 exec_lo, exec_lo, s10
                                        ; implicit-def: $vgpr10
                                        ; implicit-def: $vgpr2
.LBB4_10745:                            ;   in Loop: Header=BB4_9783 Depth=2
	s_and_not1_saveexec_b32 s10, s28
	s_cbranch_execz .LBB4_10751
; %bb.10746:                            ;   in Loop: Header=BB4_9783 Depth=2
	s_mov_b32 s28, exec_lo
                                        ; implicit-def: $vgpr75
	v_cmpx_ne_u64_e32 0, v[14:15]
	s_xor_b32 s28, exec_lo, s28
; %bb.10747:                            ;   in Loop: Header=BB4_9783 Depth=2
	v_or_b32_e32 v75, 0x7f, v2
                                        ; implicit-def: $vgpr10
; %bb.10748:                            ;   in Loop: Header=BB4_9783 Depth=2
	s_and_not1_saveexec_b32 s28, s28
; %bb.10749:                            ;   in Loop: Header=BB4_9783 Depth=2
	v_cmp_lt_i32_e32 vcc_lo, -1, v10
	v_cndmask_b32_e32 v75, 0xfc, v101, vcc_lo
; %bb.10750:                            ;   in Loop: Header=BB4_9783 Depth=2
	s_or_b32 exec_lo, exec_lo, s28
.LBB4_10751:                            ;   in Loop: Header=BB4_9783 Depth=2
	s_delay_alu instid0(SALU_CYCLE_1) | instskip(SKIP_3) | instid1(VALU_DEP_1)
	s_or_b32 exec_lo, exec_lo, s10
	global_load_b128 v[10:13], v[84:85], off offset:1024 th:TH_LOAD_NT
	s_wait_loadcnt 0x0
	v_and_b32_e32 v2, 0xff, v10
	v_cmp_ne_u16_e32 vcc_lo, 0, v2
	v_mov_b32_e32 v2, 0
	s_wait_xcnt 0x0
	s_and_saveexec_b32 s10, vcc_lo
	s_cbranch_execz .LBB4_10761
; %bb.10752:                            ;   in Loop: Header=BB4_9783 Depth=2
	v_bfe_i32 v20, v10, 0, 8
	v_bfrev_b32_e32 v2, 1
	s_mov_b32 s28, exec_lo
	s_delay_alu instid0(VALU_DEP_2)
	v_cmpx_ne_u16_e32 0xff80, v20
	s_cbranch_execz .LBB4_10760
; %bb.10753:                            ;   in Loop: Header=BB4_9783 Depth=2
	v_and_b32_e32 v2, 0x7c, v10
	v_and_b32_e32 v14, 3, v10
	s_delay_alu instid0(VALU_DEP_2) | instskip(SKIP_1) | instid1(SALU_CYCLE_1)
	v_cmp_ne_u32_e32 vcc_lo, 0x7c, v2
                                        ; implicit-def: $vgpr2
	s_and_saveexec_b32 s29, vcc_lo
	s_xor_b32 s29, exec_lo, s29
	s_cbranch_execz .LBB4_10757
; %bb.10754:                            ;   in Loop: Header=BB4_9783 Depth=2
	v_bfe_u32 v2, v10, 2, 5
	s_mov_b32 s40, exec_lo
	s_delay_alu instid0(VALU_DEP_1)
	v_cmpx_eq_u32_e32 0, v2
; %bb.10755:                            ;   in Loop: Header=BB4_9783 Depth=2
	v_clz_i32_u32_e32 v2, v14
	s_delay_alu instid0(VALU_DEP_1) | instskip(NEXT) | instid1(VALU_DEP_1)
	v_min_u32_e32 v2, 32, v2
	v_subrev_nc_u32_e32 v14, 29, v2
	s_delay_alu instid0(VALU_DEP_1) | instskip(NEXT) | instid1(VALU_DEP_1)
	v_lshlrev_b64_e32 v[20:21], v14, v[10:11]
	v_dual_sub_nc_u32 v2, 30, v2 :: v_dual_bitop2_b32 v14, 3, v20 bitop3:0x40
; %bb.10756:                            ;   in Loop: Header=BB4_9783 Depth=2
	s_or_b32 exec_lo, exec_lo, s40
	v_lshlrev_b32_e32 v20, 24, v10
	s_delay_alu instid0(VALU_DEP_1) | instskip(NEXT) | instid1(VALU_DEP_1)
	v_and_b32_e32 v20, 0x80000000, v20
	v_lshl_add_u32 v2, v2, 23, v20
                                        ; implicit-def: $vgpr20
	s_delay_alu instid0(VALU_DEP_1) | instskip(NEXT) | instid1(VALU_DEP_1)
	v_lshl_or_b32 v2, v14, 21, v2
                                        ; implicit-def: $vgpr14
	v_add_nc_u32_e32 v2, 0x38000000, v2
.LBB4_10757:                            ;   in Loop: Header=BB4_9783 Depth=2
	s_and_not1_saveexec_b32 s29, s29
; %bb.10758:                            ;   in Loop: Header=BB4_9783 Depth=2
	v_cmp_lt_i16_e32 vcc_lo, -1, v20
	v_cndmask_b32_e32 v2, 0xff800000, v100, vcc_lo
	v_cmp_eq_u32_e32 vcc_lo, 0, v14
	s_delay_alu instid0(VALU_DEP_2)
	v_cndmask_b32_e32 v2, 0x7f800001, v2, vcc_lo
; %bb.10759:                            ;   in Loop: Header=BB4_9783 Depth=2
	s_or_b32 exec_lo, exec_lo, s29
.LBB4_10760:                            ;   in Loop: Header=BB4_9783 Depth=2
	s_delay_alu instid0(SALU_CYCLE_1)
	s_or_b32 exec_lo, exec_lo, s28
.LBB4_10761:                            ;   in Loop: Header=BB4_9783 Depth=2
	s_delay_alu instid0(SALU_CYCLE_1) | instskip(NEXT) | instid1(VALU_DEP_1)
	s_or_b32 exec_lo, exec_lo, s10
	v_dual_mul_f32 v30, s27, v2 :: v_dual_mov_b32 v21, v15
                                        ; implicit-def: $vgpr76
	s_mov_b32 s10, exec_lo
	s_delay_alu instid0(VALU_DEP_1) | instskip(SKIP_2) | instid1(VALU_DEP_3)
	v_and_b32_e32 v20, 0x7f800000, v30
	v_and_b32_e32 v14, 0x7fffff, v30
	v_lshrrev_b32_e32 v2, 24, v30
	v_cmpx_ne_u64_e32 0x7f800000, v[20:21]
	s_xor_b32 s28, exec_lo, s10
	s_cbranch_execz .LBB4_10775
; %bb.10762:                            ;   in Loop: Header=BB4_9783 Depth=2
	v_and_b32_e32 v20, 0x7fffffff, v30
	v_mov_b32_e32 v21, v15
	v_and_b32_e32 v2, 0x80, v2
                                        ; implicit-def: $vgpr76
	s_mov_b32 s10, exec_lo
	s_delay_alu instid0(VALU_DEP_2)
	v_cmpx_gt_u64_e32 0x47600001, v[20:21]
	s_xor_b32 s29, exec_lo, s10
	s_cbranch_execz .LBB4_10772
; %bb.10763:                            ;   in Loop: Header=BB4_9783 Depth=2
	v_mov_b32_e32 v76, 0
	s_mov_b32 s40, exec_lo
	v_cmpx_ne_u32_e32 0, v30
	s_cbranch_execz .LBB4_10771
; %bb.10764:                            ;   in Loop: Header=BB4_9783 Depth=2
	v_bfe_u32 v20, v30, 23, 8
	v_or_b32_e32 v25, 0x800000, v14
	s_mov_b32 s41, exec_lo
	v_mov_b32_e32 v97, v15
	s_delay_alu instid0(VALU_DEP_3) | instskip(SKIP_1) | instid1(VALU_DEP_2)
	v_sub_nc_u32_e32 v21, 0x71, v20
	v_cmp_gt_u32_e32 vcc_lo, 0x72, v20
	v_cndmask_b32_e32 v21, 0, v21, vcc_lo
	v_cmp_eq_u32_e32 vcc_lo, 0, v20
	s_delay_alu instid0(VALU_DEP_2) | instskip(NEXT) | instid1(VALU_DEP_1)
	v_cndmask_b32_e64 v21, v21, 0x70, vcc_lo
	v_dual_cndmask_b32 v96, v25, v14, vcc_lo :: v_dual_add_nc_u32 v24, 21, v21
	s_delay_alu instid0(VALU_DEP_1) | instskip(SKIP_1) | instid1(VALU_DEP_1)
	v_lshlrev_b64_e64 v[86:87], v24, -1
	v_add_nc_u32_e32 v24, 20, v21
	v_lshlrev_b64_e64 v[76:77], v24, 1
	s_delay_alu instid0(VALU_DEP_3) | instskip(NEXT) | instid1(VALU_DEP_4)
	v_bfi_b32 v79, v87, 0, 0
	v_bfi_b32 v78, v86, 0, v96
	v_lshrrev_b64 v[86:87], v21, v[96:97]
	s_delay_alu instid0(VALU_DEP_1) | instskip(NEXT) | instid1(VALU_DEP_3)
	v_mov_b64_e32 v[96:97], v[86:87]
	v_cmpx_eq_u64_e64 v[78:79], v[76:77]
; %bb.10765:                            ;   in Loop: Header=BB4_9783 Depth=2
	v_bfe_u32 v96, v86, 21, 1
	v_mov_b32_e32 v97, v15
	s_delay_alu instid0(VALU_DEP_1) | instskip(NEXT) | instid1(VALU_DEP_1)
	v_add_nc_u64_e32 v[96:97], v[86:87], v[96:97]
	v_add_nc_u64_e32 v[96:97], -1, v[96:97]
; %bb.10766:                            ;   in Loop: Header=BB4_9783 Depth=2
	s_or_b32 exec_lo, exec_lo, s41
	v_add_nc_u32_e32 v14, 0xffffff81, v20
	v_lshrrev_b32_e32 v20, 23, v86
	s_mov_b32 s10, exec_lo
	s_delay_alu instid0(VALU_DEP_2) | instskip(NEXT) | instid1(VALU_DEP_1)
	v_cndmask_b32_e64 v14, v14, 0xffffff82, vcc_lo
	v_add3_u32 v21, v21, v14, v20
	v_and_b32_e32 v14, 0x1fffff, v96
                                        ; implicit-def: $vgpr20
	s_delay_alu instid0(VALU_DEP_1) | instskip(NEXT) | instid1(VALU_DEP_1)
	v_dual_add_nc_u32 v30, 14, v21 :: v_dual_add_nc_u32 v14, v14, v86
                                        ; implicit-def: $vgpr86_vgpr87
	v_cmpx_ne_u32_e32 0, v30
	s_xor_b32 s10, exec_lo, s10
; %bb.10767:                            ;   in Loop: Header=BB4_9783 Depth=2
	s_delay_alu instid0(VALU_DEP_2) | instskip(SKIP_2) | instid1(VALU_DEP_2)
	v_cmp_lt_u64_e32 vcc_lo, 0xffffff, v[14:15]
	v_add_nc_u32_e32 v20, 15, v21
	v_cndmask_b32_e64 v21, 0, 1, vcc_lo
	v_cndmask_b32_e32 v20, v30, v20, vcc_lo
	s_delay_alu instid0(VALU_DEP_2)
	v_lshrrev_b64 v[86:87], v21, v[14:15]
; %bb.10768:                            ;   in Loop: Header=BB4_9783 Depth=2
	s_and_not1_saveexec_b32 s10, s10
; %bb.10769:                            ;   in Loop: Header=BB4_9783 Depth=2
	v_mov_b64_e32 v[86:87], v[14:15]
	v_bfe_u32 v20, v14, 23, 1
; %bb.10770:                            ;   in Loop: Header=BB4_9783 Depth=2
	s_or_b32 exec_lo, exec_lo, s10
	s_delay_alu instid0(VALU_DEP_2) | instskip(NEXT) | instid1(VALU_DEP_2)
	v_lshrrev_b64 v[86:87], 21, v[86:87]
	v_cmp_gt_i32_e32 vcc_lo, 32, v20
	v_min_i32_e32 v14, 31, v20
	v_cmp_eq_u32_e64 s10, 0, v20
	s_delay_alu instid0(VALU_DEP_2) | instskip(SKIP_1) | instid1(VALU_DEP_2)
	v_dual_cndmask_b32 v87, 0, v87 :: v_dual_lshlrev_b32 v14, 2, v14
	v_cndmask_b32_e32 v86, 3, v86, vcc_lo
	v_and_b32_e32 v14, 0xfc, v14
	s_delay_alu instid0(VALU_DEP_2) | instskip(NEXT) | instid1(VALU_DEP_2)
	v_cmp_eq_u64_e32 vcc_lo, 0, v[86:87]
	v_and_or_b32 v14, v86, 3, v14
	s_and_b32 s10, s10, vcc_lo
	s_delay_alu instid0(VALU_DEP_1) | instid1(SALU_CYCLE_1)
	v_cndmask_b32_e64 v14, v14, 0, s10
	s_delay_alu instid0(VALU_DEP_1)
	v_or_b32_e32 v76, v14, v2
.LBB4_10771:                            ;   in Loop: Header=BB4_9783 Depth=2
	s_or_b32 exec_lo, exec_lo, s40
                                        ; implicit-def: $vgpr2
.LBB4_10772:                            ;   in Loop: Header=BB4_9783 Depth=2
	s_and_not1_saveexec_b32 s10, s29
; %bb.10773:                            ;   in Loop: Header=BB4_9783 Depth=2
	v_or_b32_e32 v76, 0x7b, v2
; %bb.10774:                            ;   in Loop: Header=BB4_9783 Depth=2
	s_or_b32 exec_lo, exec_lo, s10
                                        ; implicit-def: $vgpr30
                                        ; implicit-def: $vgpr2
.LBB4_10775:                            ;   in Loop: Header=BB4_9783 Depth=2
	s_and_not1_saveexec_b32 s10, s28
	s_cbranch_execz .LBB4_10781
; %bb.10776:                            ;   in Loop: Header=BB4_9783 Depth=2
	s_mov_b32 s28, exec_lo
                                        ; implicit-def: $vgpr76
	v_cmpx_ne_u64_e32 0, v[14:15]
	s_xor_b32 s28, exec_lo, s28
; %bb.10777:                            ;   in Loop: Header=BB4_9783 Depth=2
	v_or_b32_e32 v76, 0x7f, v2
                                        ; implicit-def: $vgpr30
; %bb.10778:                            ;   in Loop: Header=BB4_9783 Depth=2
	s_and_not1_saveexec_b32 s28, s28
; %bb.10779:                            ;   in Loop: Header=BB4_9783 Depth=2
	v_cmp_lt_i32_e32 vcc_lo, -1, v30
	v_cndmask_b32_e32 v76, 0xfc, v101, vcc_lo
; %bb.10780:                            ;   in Loop: Header=BB4_9783 Depth=2
	s_or_b32 exec_lo, exec_lo, s28
.LBB4_10781:                            ;   in Loop: Header=BB4_9783 Depth=2
	s_delay_alu instid0(SALU_CYCLE_1) | instskip(SKIP_3) | instid1(VALU_DEP_2)
	s_or_b32 exec_lo, exec_lo, s10
	v_lshrrev_b16 v86, 8, v10
	v_mov_b32_e32 v14, 0
	s_mov_b32 s10, exec_lo
	v_cmpx_ne_u16_e32 0, v86
	s_cbranch_execz .LBB4_10791
; %bb.10782:                            ;   in Loop: Header=BB4_9783 Depth=2
	v_bfrev_b32_e32 v14, 1
	s_mov_b32 s28, exec_lo
	v_cmpx_ne_u16_e32 0x80, v86
	s_cbranch_execz .LBB4_10790
; %bb.10783:                            ;   in Loop: Header=BB4_9783 Depth=2
	v_and_b32_e32 v20, 0xffff, v86
	s_delay_alu instid0(VALU_DEP_1) | instskip(SKIP_1) | instid1(VALU_DEP_2)
	v_and_b32_e32 v14, 0x7c, v20
	v_and_b32_e32 v2, 3, v20
	v_cmp_ne_u32_e32 vcc_lo, 0x7c, v14
                                        ; implicit-def: $vgpr14
	s_and_saveexec_b32 s29, vcc_lo
	s_delay_alu instid0(SALU_CYCLE_1)
	s_xor_b32 s29, exec_lo, s29
	s_cbranch_execz .LBB4_10787
; %bb.10784:                            ;   in Loop: Header=BB4_9783 Depth=2
	v_bfe_u32 v14, v20, 2, 5
	s_mov_b32 s40, exec_lo
	s_delay_alu instid0(VALU_DEP_1)
	v_cmpx_eq_u32_e32 0, v14
; %bb.10785:                            ;   in Loop: Header=BB4_9783 Depth=2
	v_clz_i32_u32_e32 v2, v2
	s_delay_alu instid0(VALU_DEP_1) | instskip(SKIP_1) | instid1(VALU_DEP_2)
	v_min_u32_e32 v2, 32, v2
	v_mov_b32_e32 v87, v15
	v_subrev_nc_u32_e32 v14, 29, v2
	s_delay_alu instid0(VALU_DEP_1) | instskip(NEXT) | instid1(VALU_DEP_1)
	v_lshlrev_b64_e32 v[20:21], v14, v[86:87]
	v_dual_sub_nc_u32 v14, 30, v2 :: v_dual_bitop2_b32 v2, 3, v20 bitop3:0x40
; %bb.10786:                            ;   in Loop: Header=BB4_9783 Depth=2
	s_or_b32 exec_lo, exec_lo, s40
	v_lshlrev_b32_e32 v20, 16, v10
	s_delay_alu instid0(VALU_DEP_1) | instskip(NEXT) | instid1(VALU_DEP_1)
	v_and_b32_e32 v20, 0x80000000, v20
	v_lshl_add_u32 v14, v14, 23, v20
	s_delay_alu instid0(VALU_DEP_1) | instskip(NEXT) | instid1(VALU_DEP_1)
	v_lshl_or_b32 v2, v2, 21, v14
	v_add_nc_u32_e32 v14, 0x38000000, v2
                                        ; implicit-def: $vgpr2
.LBB4_10787:                            ;   in Loop: Header=BB4_9783 Depth=2
	s_and_not1_saveexec_b32 s29, s29
; %bb.10788:                            ;   in Loop: Header=BB4_9783 Depth=2
	v_cmp_lt_i16_e32 vcc_lo, -1, v10
	v_cndmask_b32_e32 v14, 0xff800000, v100, vcc_lo
	v_cmp_eq_u32_e32 vcc_lo, 0, v2
	s_delay_alu instid0(VALU_DEP_2)
	v_cndmask_b32_e32 v14, 0x7f800001, v14, vcc_lo
; %bb.10789:                            ;   in Loop: Header=BB4_9783 Depth=2
	s_or_b32 exec_lo, exec_lo, s29
.LBB4_10790:                            ;   in Loop: Header=BB4_9783 Depth=2
	s_delay_alu instid0(SALU_CYCLE_1)
	s_or_b32 exec_lo, exec_lo, s28
.LBB4_10791:                            ;   in Loop: Header=BB4_9783 Depth=2
	s_delay_alu instid0(SALU_CYCLE_1) | instskip(NEXT) | instid1(VALU_DEP_1)
	s_or_b32 exec_lo, exec_lo, s10
	v_dual_mul_f32 v30, s27, v14 :: v_dual_mov_b32 v21, v15
                                        ; implicit-def: $vgpr77
	s_mov_b32 s10, exec_lo
	s_delay_alu instid0(VALU_DEP_1) | instskip(SKIP_2) | instid1(VALU_DEP_3)
	v_and_b32_e32 v20, 0x7f800000, v30
	v_and_b32_e32 v14, 0x7fffff, v30
	v_lshrrev_b32_e32 v2, 24, v30
	v_cmpx_ne_u64_e32 0x7f800000, v[20:21]
	s_xor_b32 s28, exec_lo, s10
	s_cbranch_execz .LBB4_10805
; %bb.10792:                            ;   in Loop: Header=BB4_9783 Depth=2
	v_and_b32_e32 v20, 0x7fffffff, v30
	v_mov_b32_e32 v21, v15
	v_and_b32_e32 v2, 0x80, v2
                                        ; implicit-def: $vgpr77
	s_mov_b32 s10, exec_lo
	s_delay_alu instid0(VALU_DEP_2)
	v_cmpx_gt_u64_e32 0x47600001, v[20:21]
	s_xor_b32 s29, exec_lo, s10
	s_cbranch_execz .LBB4_10802
; %bb.10793:                            ;   in Loop: Header=BB4_9783 Depth=2
	v_mov_b32_e32 v77, 0
	s_mov_b32 s40, exec_lo
	v_cmpx_ne_u32_e32 0, v30
	s_cbranch_execz .LBB4_10801
; %bb.10794:                            ;   in Loop: Header=BB4_9783 Depth=2
	v_bfe_u32 v20, v30, 23, 8
	v_or_b32_e32 v25, 0x800000, v14
	s_mov_b32 s41, exec_lo
	v_mov_b32_e32 v97, v15
	s_delay_alu instid0(VALU_DEP_3) | instskip(SKIP_1) | instid1(VALU_DEP_2)
	v_sub_nc_u32_e32 v21, 0x71, v20
	v_cmp_gt_u32_e32 vcc_lo, 0x72, v20
	v_cndmask_b32_e32 v21, 0, v21, vcc_lo
	v_cmp_eq_u32_e32 vcc_lo, 0, v20
	s_delay_alu instid0(VALU_DEP_2) | instskip(NEXT) | instid1(VALU_DEP_1)
	v_cndmask_b32_e64 v21, v21, 0x70, vcc_lo
	v_dual_cndmask_b32 v96, v25, v14, vcc_lo :: v_dual_add_nc_u32 v24, 21, v21
	s_delay_alu instid0(VALU_DEP_1) | instskip(SKIP_1) | instid1(VALU_DEP_1)
	v_lshlrev_b64_e64 v[86:87], v24, -1
	v_add_nc_u32_e32 v24, 20, v21
	v_lshlrev_b64_e64 v[78:79], v24, 1
	s_delay_alu instid0(VALU_DEP_3) | instskip(NEXT) | instid1(VALU_DEP_4)
	v_bfi_b32 v89, v87, 0, 0
	v_bfi_b32 v88, v86, 0, v96
	v_lshrrev_b64 v[86:87], v21, v[96:97]
	s_delay_alu instid0(VALU_DEP_1) | instskip(NEXT) | instid1(VALU_DEP_3)
	v_mov_b64_e32 v[96:97], v[86:87]
	v_cmpx_eq_u64_e64 v[88:89], v[78:79]
; %bb.10795:                            ;   in Loop: Header=BB4_9783 Depth=2
	v_bfe_u32 v96, v86, 21, 1
	v_mov_b32_e32 v97, v15
	s_delay_alu instid0(VALU_DEP_1) | instskip(NEXT) | instid1(VALU_DEP_1)
	v_add_nc_u64_e32 v[96:97], v[86:87], v[96:97]
	v_add_nc_u64_e32 v[96:97], -1, v[96:97]
; %bb.10796:                            ;   in Loop: Header=BB4_9783 Depth=2
	s_or_b32 exec_lo, exec_lo, s41
	v_add_nc_u32_e32 v14, 0xffffff81, v20
	v_lshrrev_b32_e32 v20, 23, v86
	s_mov_b32 s10, exec_lo
	s_delay_alu instid0(VALU_DEP_2) | instskip(NEXT) | instid1(VALU_DEP_1)
	v_cndmask_b32_e64 v14, v14, 0xffffff82, vcc_lo
	v_add3_u32 v21, v21, v14, v20
	v_and_b32_e32 v14, 0x1fffff, v96
                                        ; implicit-def: $vgpr20
	s_delay_alu instid0(VALU_DEP_1) | instskip(NEXT) | instid1(VALU_DEP_1)
	v_dual_add_nc_u32 v30, 14, v21 :: v_dual_add_nc_u32 v14, v14, v86
                                        ; implicit-def: $vgpr86_vgpr87
	v_cmpx_ne_u32_e32 0, v30
	s_xor_b32 s10, exec_lo, s10
; %bb.10797:                            ;   in Loop: Header=BB4_9783 Depth=2
	s_delay_alu instid0(VALU_DEP_2) | instskip(SKIP_2) | instid1(VALU_DEP_2)
	v_cmp_lt_u64_e32 vcc_lo, 0xffffff, v[14:15]
	v_add_nc_u32_e32 v20, 15, v21
	v_cndmask_b32_e64 v21, 0, 1, vcc_lo
	v_cndmask_b32_e32 v20, v30, v20, vcc_lo
	s_delay_alu instid0(VALU_DEP_2)
	v_lshrrev_b64 v[86:87], v21, v[14:15]
; %bb.10798:                            ;   in Loop: Header=BB4_9783 Depth=2
	s_and_not1_saveexec_b32 s10, s10
; %bb.10799:                            ;   in Loop: Header=BB4_9783 Depth=2
	v_mov_b64_e32 v[86:87], v[14:15]
	v_bfe_u32 v20, v14, 23, 1
; %bb.10800:                            ;   in Loop: Header=BB4_9783 Depth=2
	s_or_b32 exec_lo, exec_lo, s10
	s_delay_alu instid0(VALU_DEP_2) | instskip(NEXT) | instid1(VALU_DEP_2)
	v_lshrrev_b64 v[86:87], 21, v[86:87]
	v_cmp_gt_i32_e32 vcc_lo, 32, v20
	v_min_i32_e32 v14, 31, v20
	v_cmp_eq_u32_e64 s10, 0, v20
	s_delay_alu instid0(VALU_DEP_2) | instskip(SKIP_1) | instid1(VALU_DEP_2)
	v_dual_cndmask_b32 v87, 0, v87 :: v_dual_lshlrev_b32 v14, 2, v14
	v_cndmask_b32_e32 v86, 3, v86, vcc_lo
	v_and_b32_e32 v14, 0xfc, v14
	s_delay_alu instid0(VALU_DEP_2) | instskip(NEXT) | instid1(VALU_DEP_2)
	v_cmp_eq_u64_e32 vcc_lo, 0, v[86:87]
	v_and_or_b32 v14, v86, 3, v14
	s_and_b32 s10, s10, vcc_lo
	s_delay_alu instid0(VALU_DEP_1) | instid1(SALU_CYCLE_1)
	v_cndmask_b32_e64 v14, v14, 0, s10
	s_delay_alu instid0(VALU_DEP_1)
	v_or_b32_e32 v77, v14, v2
.LBB4_10801:                            ;   in Loop: Header=BB4_9783 Depth=2
	s_or_b32 exec_lo, exec_lo, s40
                                        ; implicit-def: $vgpr2
.LBB4_10802:                            ;   in Loop: Header=BB4_9783 Depth=2
	s_and_not1_saveexec_b32 s10, s29
; %bb.10803:                            ;   in Loop: Header=BB4_9783 Depth=2
	v_or_b32_e32 v77, 0x7b, v2
; %bb.10804:                            ;   in Loop: Header=BB4_9783 Depth=2
	s_or_b32 exec_lo, exec_lo, s10
                                        ; implicit-def: $vgpr30
                                        ; implicit-def: $vgpr2
.LBB4_10805:                            ;   in Loop: Header=BB4_9783 Depth=2
	s_and_not1_saveexec_b32 s10, s28
	s_cbranch_execz .LBB4_10811
; %bb.10806:                            ;   in Loop: Header=BB4_9783 Depth=2
	s_mov_b32 s28, exec_lo
                                        ; implicit-def: $vgpr77
	v_cmpx_ne_u64_e32 0, v[14:15]
	s_xor_b32 s28, exec_lo, s28
; %bb.10807:                            ;   in Loop: Header=BB4_9783 Depth=2
	v_or_b32_e32 v77, 0x7f, v2
                                        ; implicit-def: $vgpr30
; %bb.10808:                            ;   in Loop: Header=BB4_9783 Depth=2
	s_and_not1_saveexec_b32 s28, s28
; %bb.10809:                            ;   in Loop: Header=BB4_9783 Depth=2
	v_cmp_lt_i32_e32 vcc_lo, -1, v30
	v_cndmask_b32_e32 v77, 0xfc, v101, vcc_lo
; %bb.10810:                            ;   in Loop: Header=BB4_9783 Depth=2
	s_or_b32 exec_lo, exec_lo, s28
.LBB4_10811:                            ;   in Loop: Header=BB4_9783 Depth=2
	s_delay_alu instid0(SALU_CYCLE_1) | instskip(SKIP_2) | instid1(VALU_DEP_1)
	s_or_b32 exec_lo, exec_lo, s10
	v_dual_lshrrev_b32 v14, 16, v10 :: v_dual_mov_b32 v20, 0
	s_mov_b32 s10, exec_lo
	v_and_b32_e32 v2, 0xff, v14
	s_delay_alu instid0(VALU_DEP_1)
	v_cmpx_ne_u16_e32 0, v2
	s_cbranch_execz .LBB4_10821
; %bb.10812:                            ;   in Loop: Header=BB4_9783 Depth=2
	v_bfrev_b32_e32 v20, 1
	s_mov_b32 s28, exec_lo
	v_cmpx_ne_u16_e32 0x80, v2
	s_cbranch_execz .LBB4_10820
; %bb.10813:                            ;   in Loop: Header=BB4_9783 Depth=2
	v_and_b32_e32 v20, 0x7c0000, v10
	v_bfe_u32 v2, v10, 16, 2
	s_delay_alu instid0(VALU_DEP_2) | instskip(SKIP_1) | instid1(SALU_CYCLE_1)
	v_cmp_ne_u32_e32 vcc_lo, 0x7c0000, v20
                                        ; implicit-def: $vgpr20
	s_and_saveexec_b32 s29, vcc_lo
	s_xor_b32 s29, exec_lo, s29
	s_cbranch_execz .LBB4_10817
; %bb.10814:                            ;   in Loop: Header=BB4_9783 Depth=2
	v_bfe_u32 v20, v10, 18, 5
	s_mov_b32 s40, exec_lo
	s_delay_alu instid0(VALU_DEP_1)
	v_cmpx_eq_u32_e32 0, v20
; %bb.10815:                            ;   in Loop: Header=BB4_9783 Depth=2
	v_clz_i32_u32_e32 v2, v2
	s_delay_alu instid0(VALU_DEP_1) | instskip(NEXT) | instid1(VALU_DEP_1)
	v_min_u32_e32 v2, 32, v2
	v_subrev_nc_u32_e32 v20, 29, v2
	s_delay_alu instid0(VALU_DEP_1) | instskip(SKIP_1) | instid1(VALU_DEP_2)
	v_lshlrev_b64_e32 v[86:87], v20, v[14:15]
	v_sub_nc_u32_e32 v20, 30, v2
	v_and_b32_e32 v2, 3, v86
; %bb.10816:                            ;   in Loop: Header=BB4_9783 Depth=2
	s_or_b32 exec_lo, exec_lo, s40
	v_lshlrev_b32_e32 v14, 24, v14
	s_delay_alu instid0(VALU_DEP_1) | instskip(NEXT) | instid1(VALU_DEP_1)
	v_and_b32_e32 v14, 0x80000000, v14
	v_lshl_add_u32 v14, v20, 23, v14
	s_delay_alu instid0(VALU_DEP_1) | instskip(NEXT) | instid1(VALU_DEP_1)
	v_lshl_or_b32 v2, v2, 21, v14
                                        ; implicit-def: $vgpr14
	v_add_nc_u32_e32 v20, 0x38000000, v2
                                        ; implicit-def: $vgpr2
.LBB4_10817:                            ;   in Loop: Header=BB4_9783 Depth=2
	s_and_not1_saveexec_b32 s29, s29
; %bb.10818:                            ;   in Loop: Header=BB4_9783 Depth=2
	v_bfe_i32 v14, v14, 0, 8
	s_delay_alu instid0(VALU_DEP_1) | instskip(SKIP_2) | instid1(VALU_DEP_2)
	v_cmp_lt_i16_e32 vcc_lo, -1, v14
	v_cndmask_b32_e32 v14, 0xff800000, v100, vcc_lo
	v_cmp_eq_u32_e32 vcc_lo, 0, v2
	v_cndmask_b32_e32 v20, 0x7f800001, v14, vcc_lo
; %bb.10819:                            ;   in Loop: Header=BB4_9783 Depth=2
	s_or_b32 exec_lo, exec_lo, s29
.LBB4_10820:                            ;   in Loop: Header=BB4_9783 Depth=2
	s_delay_alu instid0(SALU_CYCLE_1)
	s_or_b32 exec_lo, exec_lo, s28
.LBB4_10821:                            ;   in Loop: Header=BB4_9783 Depth=2
	s_delay_alu instid0(SALU_CYCLE_1) | instskip(NEXT) | instid1(VALU_DEP_1)
	s_or_b32 exec_lo, exec_lo, s10
	v_dual_mul_f32 v30, s27, v20 :: v_dual_mov_b32 v21, v15
                                        ; implicit-def: $vgpr78
	s_mov_b32 s10, exec_lo
	s_delay_alu instid0(VALU_DEP_1) | instskip(SKIP_2) | instid1(VALU_DEP_3)
	v_and_b32_e32 v20, 0x7f800000, v30
	v_and_b32_e32 v14, 0x7fffff, v30
	v_lshrrev_b32_e32 v2, 24, v30
	v_cmpx_ne_u64_e32 0x7f800000, v[20:21]
	s_xor_b32 s28, exec_lo, s10
	s_cbranch_execz .LBB4_10835
; %bb.10822:                            ;   in Loop: Header=BB4_9783 Depth=2
	v_and_b32_e32 v20, 0x7fffffff, v30
	v_mov_b32_e32 v21, v15
	v_and_b32_e32 v2, 0x80, v2
                                        ; implicit-def: $vgpr78
	s_mov_b32 s10, exec_lo
	s_delay_alu instid0(VALU_DEP_2)
	v_cmpx_gt_u64_e32 0x47600001, v[20:21]
	s_xor_b32 s29, exec_lo, s10
	s_cbranch_execz .LBB4_10832
; %bb.10823:                            ;   in Loop: Header=BB4_9783 Depth=2
	v_mov_b32_e32 v78, 0
	s_mov_b32 s40, exec_lo
	v_cmpx_ne_u32_e32 0, v30
	s_cbranch_execz .LBB4_10831
; %bb.10824:                            ;   in Loop: Header=BB4_9783 Depth=2
	v_bfe_u32 v20, v30, 23, 8
	v_or_b32_e32 v25, 0x800000, v14
	s_mov_b32 s41, exec_lo
	v_mov_b32_e32 v97, v15
	s_delay_alu instid0(VALU_DEP_3) | instskip(SKIP_1) | instid1(VALU_DEP_2)
	v_sub_nc_u32_e32 v21, 0x71, v20
	v_cmp_gt_u32_e32 vcc_lo, 0x72, v20
	v_cndmask_b32_e32 v21, 0, v21, vcc_lo
	v_cmp_eq_u32_e32 vcc_lo, 0, v20
	s_delay_alu instid0(VALU_DEP_2) | instskip(NEXT) | instid1(VALU_DEP_1)
	v_cndmask_b32_e64 v21, v21, 0x70, vcc_lo
	v_dual_cndmask_b32 v96, v25, v14, vcc_lo :: v_dual_add_nc_u32 v24, 21, v21
	s_delay_alu instid0(VALU_DEP_1) | instskip(SKIP_1) | instid1(VALU_DEP_1)
	v_lshlrev_b64_e64 v[86:87], v24, -1
	v_add_nc_u32_e32 v24, 20, v21
	v_lshlrev_b64_e64 v[78:79], v24, 1
	s_delay_alu instid0(VALU_DEP_3) | instskip(NEXT) | instid1(VALU_DEP_4)
	v_bfi_b32 v89, v87, 0, 0
	v_bfi_b32 v88, v86, 0, v96
	v_lshrrev_b64 v[86:87], v21, v[96:97]
	s_delay_alu instid0(VALU_DEP_1) | instskip(NEXT) | instid1(VALU_DEP_3)
	v_mov_b64_e32 v[96:97], v[86:87]
	v_cmpx_eq_u64_e64 v[88:89], v[78:79]
; %bb.10825:                            ;   in Loop: Header=BB4_9783 Depth=2
	v_bfe_u32 v96, v86, 21, 1
	v_mov_b32_e32 v97, v15
	s_delay_alu instid0(VALU_DEP_1) | instskip(NEXT) | instid1(VALU_DEP_1)
	v_add_nc_u64_e32 v[96:97], v[86:87], v[96:97]
	v_add_nc_u64_e32 v[96:97], -1, v[96:97]
; %bb.10826:                            ;   in Loop: Header=BB4_9783 Depth=2
	s_or_b32 exec_lo, exec_lo, s41
	v_add_nc_u32_e32 v14, 0xffffff81, v20
	v_lshrrev_b32_e32 v20, 23, v86
	s_mov_b32 s10, exec_lo
	s_delay_alu instid0(VALU_DEP_2) | instskip(NEXT) | instid1(VALU_DEP_1)
	v_cndmask_b32_e64 v14, v14, 0xffffff82, vcc_lo
	v_add3_u32 v21, v21, v14, v20
	v_and_b32_e32 v14, 0x1fffff, v96
                                        ; implicit-def: $vgpr20
	s_delay_alu instid0(VALU_DEP_1) | instskip(NEXT) | instid1(VALU_DEP_1)
	v_dual_add_nc_u32 v30, 14, v21 :: v_dual_add_nc_u32 v14, v14, v86
                                        ; implicit-def: $vgpr86_vgpr87
	v_cmpx_ne_u32_e32 0, v30
	s_xor_b32 s10, exec_lo, s10
; %bb.10827:                            ;   in Loop: Header=BB4_9783 Depth=2
	s_delay_alu instid0(VALU_DEP_2) | instskip(SKIP_2) | instid1(VALU_DEP_2)
	v_cmp_lt_u64_e32 vcc_lo, 0xffffff, v[14:15]
	v_add_nc_u32_e32 v20, 15, v21
	v_cndmask_b32_e64 v21, 0, 1, vcc_lo
	v_cndmask_b32_e32 v20, v30, v20, vcc_lo
	s_delay_alu instid0(VALU_DEP_2)
	v_lshrrev_b64 v[86:87], v21, v[14:15]
; %bb.10828:                            ;   in Loop: Header=BB4_9783 Depth=2
	s_and_not1_saveexec_b32 s10, s10
; %bb.10829:                            ;   in Loop: Header=BB4_9783 Depth=2
	v_mov_b64_e32 v[86:87], v[14:15]
	v_bfe_u32 v20, v14, 23, 1
; %bb.10830:                            ;   in Loop: Header=BB4_9783 Depth=2
	s_or_b32 exec_lo, exec_lo, s10
	s_delay_alu instid0(VALU_DEP_2) | instskip(NEXT) | instid1(VALU_DEP_2)
	v_lshrrev_b64 v[86:87], 21, v[86:87]
	v_cmp_gt_i32_e32 vcc_lo, 32, v20
	v_min_i32_e32 v14, 31, v20
	v_cmp_eq_u32_e64 s10, 0, v20
	s_delay_alu instid0(VALU_DEP_2) | instskip(SKIP_1) | instid1(VALU_DEP_2)
	v_dual_cndmask_b32 v87, 0, v87 :: v_dual_lshlrev_b32 v14, 2, v14
	v_cndmask_b32_e32 v86, 3, v86, vcc_lo
	v_and_b32_e32 v14, 0xfc, v14
	s_delay_alu instid0(VALU_DEP_2) | instskip(NEXT) | instid1(VALU_DEP_2)
	v_cmp_eq_u64_e32 vcc_lo, 0, v[86:87]
	v_and_or_b32 v14, v86, 3, v14
	s_and_b32 s10, s10, vcc_lo
	s_delay_alu instid0(VALU_DEP_1) | instid1(SALU_CYCLE_1)
	v_cndmask_b32_e64 v14, v14, 0, s10
	s_delay_alu instid0(VALU_DEP_1)
	v_or_b32_e32 v78, v14, v2
.LBB4_10831:                            ;   in Loop: Header=BB4_9783 Depth=2
	s_or_b32 exec_lo, exec_lo, s40
                                        ; implicit-def: $vgpr2
.LBB4_10832:                            ;   in Loop: Header=BB4_9783 Depth=2
	s_and_not1_saveexec_b32 s10, s29
; %bb.10833:                            ;   in Loop: Header=BB4_9783 Depth=2
	v_or_b32_e32 v78, 0x7b, v2
; %bb.10834:                            ;   in Loop: Header=BB4_9783 Depth=2
	s_or_b32 exec_lo, exec_lo, s10
                                        ; implicit-def: $vgpr30
                                        ; implicit-def: $vgpr2
.LBB4_10835:                            ;   in Loop: Header=BB4_9783 Depth=2
	s_and_not1_saveexec_b32 s10, s28
	s_cbranch_execz .LBB4_10841
; %bb.10836:                            ;   in Loop: Header=BB4_9783 Depth=2
	s_mov_b32 s28, exec_lo
                                        ; implicit-def: $vgpr78
	v_cmpx_ne_u64_e32 0, v[14:15]
	s_xor_b32 s28, exec_lo, s28
; %bb.10837:                            ;   in Loop: Header=BB4_9783 Depth=2
	v_or_b32_e32 v78, 0x7f, v2
                                        ; implicit-def: $vgpr30
; %bb.10838:                            ;   in Loop: Header=BB4_9783 Depth=2
	s_and_not1_saveexec_b32 s28, s28
; %bb.10839:                            ;   in Loop: Header=BB4_9783 Depth=2
	v_cmp_lt_i32_e32 vcc_lo, -1, v30
	v_cndmask_b32_e32 v78, 0xfc, v101, vcc_lo
; %bb.10840:                            ;   in Loop: Header=BB4_9783 Depth=2
	s_or_b32 exec_lo, exec_lo, s28
.LBB4_10841:                            ;   in Loop: Header=BB4_9783 Depth=2
	s_delay_alu instid0(SALU_CYCLE_1)
	s_or_b32 exec_lo, exec_lo, s10
	v_mov_b32_e32 v2, 0
	s_mov_b32 s10, exec_lo
	v_cmpx_lt_u32_e32 0xffffff, v10
	s_cbranch_execz .LBB4_10851
; %bb.10842:                            ;   in Loop: Header=BB4_9783 Depth=2
	v_lshrrev_b32_e32 v14, 24, v10
	v_bfrev_b32_e32 v2, 1
	s_mov_b32 s28, exec_lo
	s_delay_alu instid0(VALU_DEP_2)
	v_cmpx_ne_u32_e32 0x80, v14
	s_cbranch_execz .LBB4_10850
; %bb.10843:                            ;   in Loop: Header=BB4_9783 Depth=2
	v_and_b32_e32 v2, 0x7c000000, v10
	v_bfe_u32 v20, v10, 24, 2
	s_delay_alu instid0(VALU_DEP_2) | instskip(SKIP_1) | instid1(SALU_CYCLE_1)
	v_cmp_ne_u32_e32 vcc_lo, 0x7c000000, v2
                                        ; implicit-def: $vgpr2
	s_and_saveexec_b32 s29, vcc_lo
	s_xor_b32 s29, exec_lo, s29
	s_cbranch_execz .LBB4_10847
; %bb.10844:                            ;   in Loop: Header=BB4_9783 Depth=2
	v_bfe_u32 v2, v10, 26, 5
	s_mov_b32 s40, exec_lo
	s_delay_alu instid0(VALU_DEP_1)
	v_cmpx_eq_u32_e32 0, v2
; %bb.10845:                            ;   in Loop: Header=BB4_9783 Depth=2
	v_clz_i32_u32_e32 v2, v20
	s_delay_alu instid0(VALU_DEP_1) | instskip(NEXT) | instid1(VALU_DEP_1)
	v_min_u32_e32 v2, 32, v2
	v_subrev_nc_u32_e32 v20, 29, v2
	s_delay_alu instid0(VALU_DEP_1) | instskip(NEXT) | instid1(VALU_DEP_1)
	v_lshlrev_b64_e32 v[20:21], v20, v[14:15]
	v_dual_sub_nc_u32 v2, 30, v2 :: v_dual_bitop2_b32 v20, 3, v20 bitop3:0x40
; %bb.10846:                            ;   in Loop: Header=BB4_9783 Depth=2
	s_or_b32 exec_lo, exec_lo, s40
	v_and_b32_e32 v14, 0x80000000, v10
	s_delay_alu instid0(VALU_DEP_1) | instskip(NEXT) | instid1(VALU_DEP_1)
	v_lshl_add_u32 v2, v2, 23, v14
	v_lshl_or_b32 v2, v20, 21, v2
                                        ; implicit-def: $vgpr20
	s_delay_alu instid0(VALU_DEP_1)
	v_add_nc_u32_e32 v2, 0x38000000, v2
.LBB4_10847:                            ;   in Loop: Header=BB4_9783 Depth=2
	s_and_not1_saveexec_b32 s29, s29
; %bb.10848:                            ;   in Loop: Header=BB4_9783 Depth=2
	v_cmp_lt_i32_e32 vcc_lo, -1, v10
	v_cndmask_b32_e32 v2, 0xff800000, v100, vcc_lo
	v_cmp_eq_u32_e32 vcc_lo, 0, v20
	s_delay_alu instid0(VALU_DEP_2)
	v_cndmask_b32_e32 v2, 0x7f800001, v2, vcc_lo
; %bb.10849:                            ;   in Loop: Header=BB4_9783 Depth=2
	s_or_b32 exec_lo, exec_lo, s29
.LBB4_10850:                            ;   in Loop: Header=BB4_9783 Depth=2
	s_delay_alu instid0(SALU_CYCLE_1)
	s_or_b32 exec_lo, exec_lo, s28
.LBB4_10851:                            ;   in Loop: Header=BB4_9783 Depth=2
	s_delay_alu instid0(SALU_CYCLE_1) | instskip(NEXT) | instid1(VALU_DEP_1)
	s_or_b32 exec_lo, exec_lo, s10
	v_dual_mul_f32 v30, s27, v2 :: v_dual_mov_b32 v21, v15
                                        ; implicit-def: $vgpr79
	s_mov_b32 s10, exec_lo
	s_delay_alu instid0(VALU_DEP_1) | instskip(SKIP_2) | instid1(VALU_DEP_3)
	v_and_b32_e32 v20, 0x7f800000, v30
	v_and_b32_e32 v14, 0x7fffff, v30
	v_lshrrev_b32_e32 v2, 24, v30
	v_cmpx_ne_u64_e32 0x7f800000, v[20:21]
	s_xor_b32 s28, exec_lo, s10
	s_cbranch_execz .LBB4_10865
; %bb.10852:                            ;   in Loop: Header=BB4_9783 Depth=2
	v_and_b32_e32 v20, 0x7fffffff, v30
	v_mov_b32_e32 v21, v15
	v_and_b32_e32 v2, 0x80, v2
                                        ; implicit-def: $vgpr79
	s_mov_b32 s10, exec_lo
	s_delay_alu instid0(VALU_DEP_2)
	v_cmpx_gt_u64_e32 0x47600001, v[20:21]
	s_xor_b32 s29, exec_lo, s10
	s_cbranch_execz .LBB4_10862
; %bb.10853:                            ;   in Loop: Header=BB4_9783 Depth=2
	v_mov_b32_e32 v79, 0
	s_mov_b32 s40, exec_lo
	v_cmpx_ne_u32_e32 0, v30
	s_cbranch_execz .LBB4_10861
; %bb.10854:                            ;   in Loop: Header=BB4_9783 Depth=2
	v_bfe_u32 v20, v30, 23, 8
	v_or_b32_e32 v25, 0x800000, v14
	s_mov_b32 s41, exec_lo
	v_mov_b32_e32 v97, v15
	s_delay_alu instid0(VALU_DEP_3) | instskip(SKIP_1) | instid1(VALU_DEP_2)
	v_sub_nc_u32_e32 v21, 0x71, v20
	v_cmp_gt_u32_e32 vcc_lo, 0x72, v20
	v_cndmask_b32_e32 v21, 0, v21, vcc_lo
	v_cmp_eq_u32_e32 vcc_lo, 0, v20
	s_delay_alu instid0(VALU_DEP_2) | instskip(NEXT) | instid1(VALU_DEP_1)
	v_cndmask_b32_e64 v21, v21, 0x70, vcc_lo
	v_dual_cndmask_b32 v96, v25, v14, vcc_lo :: v_dual_add_nc_u32 v24, 21, v21
	s_delay_alu instid0(VALU_DEP_1) | instskip(SKIP_1) | instid1(VALU_DEP_1)
	v_lshlrev_b64_e64 v[86:87], v24, -1
	v_add_nc_u32_e32 v24, 20, v21
	v_lshlrev_b64_e64 v[88:89], v24, 1
	s_delay_alu instid0(VALU_DEP_3) | instskip(NEXT) | instid1(VALU_DEP_4)
	v_bfi_b32 v91, v87, 0, 0
	v_bfi_b32 v90, v86, 0, v96
	v_lshrrev_b64 v[86:87], v21, v[96:97]
	s_delay_alu instid0(VALU_DEP_1) | instskip(NEXT) | instid1(VALU_DEP_3)
	v_mov_b64_e32 v[96:97], v[86:87]
	v_cmpx_eq_u64_e64 v[90:91], v[88:89]
; %bb.10855:                            ;   in Loop: Header=BB4_9783 Depth=2
	v_bfe_u32 v96, v86, 21, 1
	v_mov_b32_e32 v97, v15
	s_delay_alu instid0(VALU_DEP_1) | instskip(NEXT) | instid1(VALU_DEP_1)
	v_add_nc_u64_e32 v[96:97], v[86:87], v[96:97]
	v_add_nc_u64_e32 v[96:97], -1, v[96:97]
; %bb.10856:                            ;   in Loop: Header=BB4_9783 Depth=2
	s_or_b32 exec_lo, exec_lo, s41
	v_add_nc_u32_e32 v14, 0xffffff81, v20
	v_lshrrev_b32_e32 v20, 23, v86
	s_mov_b32 s10, exec_lo
	s_delay_alu instid0(VALU_DEP_2) | instskip(NEXT) | instid1(VALU_DEP_1)
	v_cndmask_b32_e64 v14, v14, 0xffffff82, vcc_lo
	v_add3_u32 v21, v21, v14, v20
	v_and_b32_e32 v14, 0x1fffff, v96
                                        ; implicit-def: $vgpr20
	s_delay_alu instid0(VALU_DEP_1) | instskip(NEXT) | instid1(VALU_DEP_1)
	v_dual_add_nc_u32 v30, 14, v21 :: v_dual_add_nc_u32 v14, v14, v86
                                        ; implicit-def: $vgpr86_vgpr87
	v_cmpx_ne_u32_e32 0, v30
	s_xor_b32 s10, exec_lo, s10
; %bb.10857:                            ;   in Loop: Header=BB4_9783 Depth=2
	s_delay_alu instid0(VALU_DEP_2) | instskip(SKIP_2) | instid1(VALU_DEP_2)
	v_cmp_lt_u64_e32 vcc_lo, 0xffffff, v[14:15]
	v_add_nc_u32_e32 v20, 15, v21
	v_cndmask_b32_e64 v21, 0, 1, vcc_lo
	v_cndmask_b32_e32 v20, v30, v20, vcc_lo
	s_delay_alu instid0(VALU_DEP_2)
	v_lshrrev_b64 v[86:87], v21, v[14:15]
; %bb.10858:                            ;   in Loop: Header=BB4_9783 Depth=2
	s_and_not1_saveexec_b32 s10, s10
; %bb.10859:                            ;   in Loop: Header=BB4_9783 Depth=2
	v_mov_b64_e32 v[86:87], v[14:15]
	v_bfe_u32 v20, v14, 23, 1
; %bb.10860:                            ;   in Loop: Header=BB4_9783 Depth=2
	s_or_b32 exec_lo, exec_lo, s10
	s_delay_alu instid0(VALU_DEP_2) | instskip(NEXT) | instid1(VALU_DEP_2)
	v_lshrrev_b64 v[86:87], 21, v[86:87]
	v_cmp_gt_i32_e32 vcc_lo, 32, v20
	v_min_i32_e32 v14, 31, v20
	v_cmp_eq_u32_e64 s10, 0, v20
	s_delay_alu instid0(VALU_DEP_2) | instskip(SKIP_1) | instid1(VALU_DEP_2)
	v_dual_cndmask_b32 v87, 0, v87 :: v_dual_lshlrev_b32 v14, 2, v14
	v_cndmask_b32_e32 v86, 3, v86, vcc_lo
	v_and_b32_e32 v14, 0xfc, v14
	s_delay_alu instid0(VALU_DEP_2) | instskip(NEXT) | instid1(VALU_DEP_2)
	v_cmp_eq_u64_e32 vcc_lo, 0, v[86:87]
	v_and_or_b32 v14, v86, 3, v14
	s_and_b32 s10, s10, vcc_lo
	s_delay_alu instid0(VALU_DEP_1) | instid1(SALU_CYCLE_1)
	v_cndmask_b32_e64 v14, v14, 0, s10
	s_delay_alu instid0(VALU_DEP_1)
	v_or_b32_e32 v79, v14, v2
.LBB4_10861:                            ;   in Loop: Header=BB4_9783 Depth=2
	s_or_b32 exec_lo, exec_lo, s40
                                        ; implicit-def: $vgpr2
.LBB4_10862:                            ;   in Loop: Header=BB4_9783 Depth=2
	s_and_not1_saveexec_b32 s10, s29
; %bb.10863:                            ;   in Loop: Header=BB4_9783 Depth=2
	v_or_b32_e32 v79, 0x7b, v2
; %bb.10864:                            ;   in Loop: Header=BB4_9783 Depth=2
	s_or_b32 exec_lo, exec_lo, s10
                                        ; implicit-def: $vgpr30
                                        ; implicit-def: $vgpr2
.LBB4_10865:                            ;   in Loop: Header=BB4_9783 Depth=2
	s_and_not1_saveexec_b32 s10, s28
	s_cbranch_execz .LBB4_10871
; %bb.10866:                            ;   in Loop: Header=BB4_9783 Depth=2
	s_mov_b32 s28, exec_lo
                                        ; implicit-def: $vgpr79
	v_cmpx_ne_u64_e32 0, v[14:15]
	s_xor_b32 s28, exec_lo, s28
; %bb.10867:                            ;   in Loop: Header=BB4_9783 Depth=2
	v_or_b32_e32 v79, 0x7f, v2
                                        ; implicit-def: $vgpr30
; %bb.10868:                            ;   in Loop: Header=BB4_9783 Depth=2
	s_and_not1_saveexec_b32 s28, s28
; %bb.10869:                            ;   in Loop: Header=BB4_9783 Depth=2
	v_cmp_lt_i32_e32 vcc_lo, -1, v30
	v_cndmask_b32_e32 v79, 0xfc, v101, vcc_lo
; %bb.10870:                            ;   in Loop: Header=BB4_9783 Depth=2
	s_or_b32 exec_lo, exec_lo, s28
.LBB4_10871:                            ;   in Loop: Header=BB4_9783 Depth=2
	s_delay_alu instid0(SALU_CYCLE_1) | instskip(SKIP_3) | instid1(VALU_DEP_2)
	s_or_b32 exec_lo, exec_lo, s10
	v_and_b32_e32 v2, 0xff, v11
	v_dual_mov_b32 v14, v11 :: v_dual_mov_b32 v20, 0
	s_mov_b32 s10, exec_lo
	v_cmpx_ne_u16_e32 0, v2
	s_cbranch_execz .LBB4_10881
; %bb.10872:                            ;   in Loop: Header=BB4_9783 Depth=2
	v_bfrev_b32_e32 v20, 1
	s_mov_b32 s28, exec_lo
	v_cmpx_ne_u16_e32 0x80, v2
	s_cbranch_execz .LBB4_10880
; %bb.10873:                            ;   in Loop: Header=BB4_9783 Depth=2
	v_and_b32_e32 v20, 0x7c, v11
	v_and_b32_e32 v2, 3, v11
	s_delay_alu instid0(VALU_DEP_2) | instskip(SKIP_1) | instid1(SALU_CYCLE_1)
	v_cmp_ne_u32_e32 vcc_lo, 0x7c, v20
                                        ; implicit-def: $vgpr20
	s_and_saveexec_b32 s29, vcc_lo
	s_xor_b32 s29, exec_lo, s29
	s_cbranch_execz .LBB4_10877
; %bb.10874:                            ;   in Loop: Header=BB4_9783 Depth=2
	v_bfe_u32 v20, v11, 2, 5
	s_mov_b32 s40, exec_lo
	s_delay_alu instid0(VALU_DEP_1)
	v_cmpx_eq_u32_e32 0, v20
; %bb.10875:                            ;   in Loop: Header=BB4_9783 Depth=2
	v_clz_i32_u32_e32 v2, v2
	s_delay_alu instid0(VALU_DEP_1) | instskip(NEXT) | instid1(VALU_DEP_1)
	v_min_u32_e32 v2, 32, v2
	v_subrev_nc_u32_e32 v20, 29, v2
	s_delay_alu instid0(VALU_DEP_1) | instskip(SKIP_1) | instid1(VALU_DEP_2)
	v_lshlrev_b64_e32 v[86:87], v20, v[14:15]
	v_sub_nc_u32_e32 v20, 30, v2
	v_and_b32_e32 v2, 3, v86
; %bb.10876:                            ;   in Loop: Header=BB4_9783 Depth=2
	s_or_b32 exec_lo, exec_lo, s40
	v_lshlrev_b32_e32 v21, 24, v11
	s_delay_alu instid0(VALU_DEP_1) | instskip(NEXT) | instid1(VALU_DEP_1)
	v_and_b32_e32 v21, 0x80000000, v21
	v_lshl_add_u32 v20, v20, 23, v21
	s_delay_alu instid0(VALU_DEP_1) | instskip(NEXT) | instid1(VALU_DEP_1)
	v_lshl_or_b32 v2, v2, 21, v20
	v_add_nc_u32_e32 v20, 0x38000000, v2
                                        ; implicit-def: $vgpr2
.LBB4_10877:                            ;   in Loop: Header=BB4_9783 Depth=2
	s_and_not1_saveexec_b32 s29, s29
; %bb.10878:                            ;   in Loop: Header=BB4_9783 Depth=2
	v_bfe_i32 v20, v11, 0, 8
	s_delay_alu instid0(VALU_DEP_1) | instskip(SKIP_2) | instid1(VALU_DEP_2)
	v_cmp_lt_i16_e32 vcc_lo, -1, v20
	v_cndmask_b32_e32 v20, 0xff800000, v100, vcc_lo
	v_cmp_eq_u32_e32 vcc_lo, 0, v2
	v_cndmask_b32_e32 v20, 0x7f800001, v20, vcc_lo
; %bb.10879:                            ;   in Loop: Header=BB4_9783 Depth=2
	s_or_b32 exec_lo, exec_lo, s29
.LBB4_10880:                            ;   in Loop: Header=BB4_9783 Depth=2
	s_delay_alu instid0(SALU_CYCLE_1)
	s_or_b32 exec_lo, exec_lo, s28
.LBB4_10881:                            ;   in Loop: Header=BB4_9783 Depth=2
	s_delay_alu instid0(SALU_CYCLE_1) | instskip(NEXT) | instid1(VALU_DEP_1)
	s_or_b32 exec_lo, exec_lo, s10
	v_dual_mul_f32 v30, s27, v20 :: v_dual_mov_b32 v21, v15
	v_mov_b32_e32 v87, v15
                                        ; implicit-def: $vgpr88
	s_mov_b32 s10, exec_lo
	s_delay_alu instid0(VALU_DEP_2) | instskip(SKIP_2) | instid1(VALU_DEP_3)
	v_and_b32_e32 v20, 0x7f800000, v30
	v_and_b32_e32 v86, 0x7fffff, v30
	v_lshrrev_b32_e32 v2, 24, v30
	v_cmpx_ne_u64_e32 0x7f800000, v[20:21]
	s_xor_b32 s28, exec_lo, s10
	s_cbranch_execz .LBB4_10895
; %bb.10882:                            ;   in Loop: Header=BB4_9783 Depth=2
	v_and_b32_e32 v20, 0x7fffffff, v30
	v_mov_b32_e32 v21, v15
	v_and_b32_e32 v2, 0x80, v2
                                        ; implicit-def: $vgpr88
	s_mov_b32 s10, exec_lo
	s_delay_alu instid0(VALU_DEP_2)
	v_cmpx_gt_u64_e32 0x47600001, v[20:21]
	s_xor_b32 s29, exec_lo, s10
	s_cbranch_execz .LBB4_10892
; %bb.10883:                            ;   in Loop: Header=BB4_9783 Depth=2
	v_mov_b32_e32 v88, 0
	s_mov_b32 s40, exec_lo
	v_cmpx_ne_u32_e32 0, v30
	s_cbranch_execz .LBB4_10891
; %bb.10884:                            ;   in Loop: Header=BB4_9783 Depth=2
	v_bfe_u32 v20, v30, 23, 8
	v_or_b32_e32 v25, 0x800000, v86
	s_delay_alu instid0(VALU_DEP_2) | instskip(SKIP_1) | instid1(VALU_DEP_2)
	v_sub_nc_u32_e32 v21, 0x71, v20
	v_cmp_gt_u32_e32 vcc_lo, 0x72, v20
	v_cndmask_b32_e32 v21, 0, v21, vcc_lo
	v_cmp_eq_u32_e32 vcc_lo, 0, v20
	s_delay_alu instid0(VALU_DEP_2) | instskip(NEXT) | instid1(VALU_DEP_1)
	v_cndmask_b32_e64 v21, v21, 0x70, vcc_lo
	v_dual_cndmask_b32 v86, v25, v86, vcc_lo :: v_dual_add_nc_u32 v24, 21, v21
	s_delay_alu instid0(VALU_DEP_1) | instskip(SKIP_1) | instid1(VALU_DEP_1)
	v_lshlrev_b64_e64 v[96:97], v24, -1
	v_add_nc_u32_e32 v24, 20, v21
	v_lshlrev_b64_e64 v[88:89], v24, 1
	s_delay_alu instid0(VALU_DEP_3) | instskip(SKIP_2) | instid1(VALU_DEP_1)
	v_bfi_b32 v96, v96, 0, v86
	v_lshrrev_b64 v[86:87], v21, v[86:87]
	v_bfi_b32 v97, v97, 0, 0
	v_cmp_eq_u64_e64 s10, v[96:97], v[88:89]
	s_delay_alu instid0(VALU_DEP_3)
	v_mov_b64_e32 v[96:97], v[86:87]
	s_and_saveexec_b32 s41, s10
; %bb.10885:                            ;   in Loop: Header=BB4_9783 Depth=2
	v_bfe_u32 v96, v86, 21, 1
	v_mov_b32_e32 v97, v15
	s_delay_alu instid0(VALU_DEP_1) | instskip(NEXT) | instid1(VALU_DEP_1)
	v_add_nc_u64_e32 v[96:97], v[86:87], v[96:97]
	v_add_nc_u64_e32 v[96:97], -1, v[96:97]
; %bb.10886:                            ;   in Loop: Header=BB4_9783 Depth=2
	s_or_b32 exec_lo, exec_lo, s41
	v_dual_mov_b32 v87, v15 :: v_dual_add_nc_u32 v20, 0xffffff81, v20
	v_lshrrev_b32_e32 v24, 23, v86
	s_mov_b32 s10, exec_lo
	s_delay_alu instid0(VALU_DEP_2) | instskip(NEXT) | instid1(VALU_DEP_1)
	v_cndmask_b32_e64 v20, v20, 0xffffff82, vcc_lo
	v_add3_u32 v21, v21, v20, v24
	v_and_b32_e32 v20, 0x1fffff, v96
	s_delay_alu instid0(VALU_DEP_1) | instskip(NEXT) | instid1(VALU_DEP_1)
	v_dual_add_nc_u32 v30, 14, v21 :: v_dual_add_nc_u32 v86, v20, v86
                                        ; implicit-def: $vgpr20
	v_cmpx_ne_u32_e32 0, v30
	s_xor_b32 s10, exec_lo, s10
; %bb.10887:                            ;   in Loop: Header=BB4_9783 Depth=2
	s_delay_alu instid0(VALU_DEP_2) | instskip(SKIP_2) | instid1(VALU_DEP_2)
	v_cmp_lt_u64_e32 vcc_lo, 0xffffff, v[86:87]
	v_add_nc_u32_e32 v20, 15, v21
	v_cndmask_b32_e64 v21, 0, 1, vcc_lo
	v_cndmask_b32_e32 v20, v30, v20, vcc_lo
	s_delay_alu instid0(VALU_DEP_2)
	v_lshrrev_b64 v[86:87], v21, v[86:87]
; %bb.10888:                            ;   in Loop: Header=BB4_9783 Depth=2
	s_and_not1_saveexec_b32 s10, s10
; %bb.10889:                            ;   in Loop: Header=BB4_9783 Depth=2
	s_delay_alu instid0(VALU_DEP_1)
	v_bfe_u32 v20, v86, 23, 1
; %bb.10890:                            ;   in Loop: Header=BB4_9783 Depth=2
	s_or_b32 exec_lo, exec_lo, s10
	s_delay_alu instid0(VALU_DEP_2) | instskip(NEXT) | instid1(VALU_DEP_2)
	v_lshrrev_b64 v[86:87], 21, v[86:87]
	v_cmp_gt_i32_e32 vcc_lo, 32, v20
	v_min_i32_e32 v21, 31, v20
	v_cmp_eq_u32_e64 s10, 0, v20
	s_delay_alu instid0(VALU_DEP_2) | instskip(SKIP_1) | instid1(VALU_DEP_2)
	v_dual_cndmask_b32 v87, 0, v87, vcc_lo :: v_dual_lshlrev_b32 v21, 2, v21
	v_cndmask_b32_e32 v86, 3, v86, vcc_lo
	v_and_b32_e32 v21, 0xfc, v21
	s_delay_alu instid0(VALU_DEP_2) | instskip(NEXT) | instid1(VALU_DEP_2)
	v_cmp_eq_u64_e32 vcc_lo, 0, v[86:87]
	v_and_or_b32 v20, v86, 3, v21
	s_and_b32 s10, s10, vcc_lo
	s_delay_alu instid0(VALU_DEP_1) | instid1(SALU_CYCLE_1)
	v_cndmask_b32_e64 v20, v20, 0, s10
	s_delay_alu instid0(VALU_DEP_1)
	v_or_b32_e32 v88, v20, v2
.LBB4_10891:                            ;   in Loop: Header=BB4_9783 Depth=2
	s_or_b32 exec_lo, exec_lo, s40
                                        ; implicit-def: $vgpr2
.LBB4_10892:                            ;   in Loop: Header=BB4_9783 Depth=2
	s_and_not1_saveexec_b32 s10, s29
; %bb.10893:                            ;   in Loop: Header=BB4_9783 Depth=2
	v_or_b32_e32 v88, 0x7b, v2
; %bb.10894:                            ;   in Loop: Header=BB4_9783 Depth=2
	s_or_b32 exec_lo, exec_lo, s10
                                        ; implicit-def: $vgpr30
                                        ; implicit-def: $vgpr86_vgpr87
                                        ; implicit-def: $vgpr2
.LBB4_10895:                            ;   in Loop: Header=BB4_9783 Depth=2
	s_and_not1_saveexec_b32 s10, s28
	s_cbranch_execz .LBB4_10901
; %bb.10896:                            ;   in Loop: Header=BB4_9783 Depth=2
	s_mov_b32 s28, exec_lo
                                        ; implicit-def: $vgpr88
	v_cmpx_ne_u64_e32 0, v[86:87]
	s_xor_b32 s28, exec_lo, s28
; %bb.10897:                            ;   in Loop: Header=BB4_9783 Depth=2
	v_or_b32_e32 v88, 0x7f, v2
                                        ; implicit-def: $vgpr30
; %bb.10898:                            ;   in Loop: Header=BB4_9783 Depth=2
	s_and_not1_saveexec_b32 s28, s28
; %bb.10899:                            ;   in Loop: Header=BB4_9783 Depth=2
	v_cmp_lt_i32_e32 vcc_lo, -1, v30
	v_cndmask_b32_e32 v88, 0xfc, v101, vcc_lo
; %bb.10900:                            ;   in Loop: Header=BB4_9783 Depth=2
	s_or_b32 exec_lo, exec_lo, s28
.LBB4_10901:                            ;   in Loop: Header=BB4_9783 Depth=2
	s_delay_alu instid0(SALU_CYCLE_1) | instskip(SKIP_3) | instid1(VALU_DEP_2)
	s_or_b32 exec_lo, exec_lo, s10
	v_lshrrev_b16 v86, 8, v14
	v_mov_b32_e32 v20, 0
	s_mov_b32 s10, exec_lo
	v_cmpx_ne_u16_e32 0, v86
	s_cbranch_execz .LBB4_10911
; %bb.10902:                            ;   in Loop: Header=BB4_9783 Depth=2
	v_bfrev_b32_e32 v20, 1
	s_mov_b32 s28, exec_lo
	v_cmpx_ne_u16_e32 0x80, v86
	s_cbranch_execz .LBB4_10910
; %bb.10903:                            ;   in Loop: Header=BB4_9783 Depth=2
	v_and_b32_e32 v21, 0xffff, v86
	s_delay_alu instid0(VALU_DEP_1) | instskip(SKIP_1) | instid1(VALU_DEP_2)
	v_and_b32_e32 v20, 0x7c, v21
	v_and_b32_e32 v2, 3, v21
	v_cmp_ne_u32_e32 vcc_lo, 0x7c, v20
                                        ; implicit-def: $vgpr20
	s_and_saveexec_b32 s29, vcc_lo
	s_delay_alu instid0(SALU_CYCLE_1)
	s_xor_b32 s29, exec_lo, s29
	s_cbranch_execz .LBB4_10907
; %bb.10904:                            ;   in Loop: Header=BB4_9783 Depth=2
	v_bfe_u32 v20, v21, 2, 5
	s_mov_b32 s40, exec_lo
	s_delay_alu instid0(VALU_DEP_1)
	v_cmpx_eq_u32_e32 0, v20
	s_cbranch_execz .LBB4_10906
; %bb.10905:                            ;   in Loop: Header=BB4_9783 Depth=2
	v_clz_i32_u32_e32 v2, v2
	s_delay_alu instid0(VALU_DEP_1) | instskip(SKIP_1) | instid1(VALU_DEP_2)
	v_min_u32_e32 v2, 32, v2
	v_mov_b32_e32 v87, v15
	v_subrev_nc_u32_e32 v20, 29, v2
	s_delay_alu instid0(VALU_DEP_1) | instskip(SKIP_1) | instid1(VALU_DEP_2)
	v_lshlrev_b64_e32 v[86:87], v20, v[86:87]
	v_sub_nc_u32_e32 v20, 30, v2
	v_and_b32_e32 v2, 3, v86
.LBB4_10906:                            ;   in Loop: Header=BB4_9783 Depth=2
	s_or_b32 exec_lo, exec_lo, s40
	v_lshlrev_b32_e32 v14, 16, v14
	s_delay_alu instid0(VALU_DEP_1) | instskip(NEXT) | instid1(VALU_DEP_1)
	v_and_b32_e32 v14, 0x80000000, v14
	v_lshl_add_u32 v14, v20, 23, v14
	s_delay_alu instid0(VALU_DEP_1) | instskip(NEXT) | instid1(VALU_DEP_1)
	v_lshl_or_b32 v2, v2, 21, v14
	v_add_nc_u32_e32 v20, 0x38000000, v2
                                        ; implicit-def: $vgpr2
.LBB4_10907:                            ;   in Loop: Header=BB4_9783 Depth=2
	s_and_not1_saveexec_b32 s29, s29
; %bb.10908:                            ;   in Loop: Header=BB4_9783 Depth=2
	v_cmp_lt_i16_e32 vcc_lo, -1, v14
	v_cndmask_b32_e32 v14, 0xff800000, v100, vcc_lo
	v_cmp_eq_u32_e32 vcc_lo, 0, v2
	s_delay_alu instid0(VALU_DEP_2)
	v_cndmask_b32_e32 v20, 0x7f800001, v14, vcc_lo
; %bb.10909:                            ;   in Loop: Header=BB4_9783 Depth=2
	s_or_b32 exec_lo, exec_lo, s29
.LBB4_10910:                            ;   in Loop: Header=BB4_9783 Depth=2
	s_delay_alu instid0(SALU_CYCLE_1)
	s_or_b32 exec_lo, exec_lo, s28
.LBB4_10911:                            ;   in Loop: Header=BB4_9783 Depth=2
	s_delay_alu instid0(SALU_CYCLE_1) | instskip(NEXT) | instid1(VALU_DEP_1)
	s_or_b32 exec_lo, exec_lo, s10
	v_dual_mul_f32 v30, s27, v20 :: v_dual_mov_b32 v21, v15
                                        ; implicit-def: $vgpr89
	s_mov_b32 s10, exec_lo
	s_delay_alu instid0(VALU_DEP_1) | instskip(SKIP_2) | instid1(VALU_DEP_3)
	v_and_b32_e32 v20, 0x7f800000, v30
	v_and_b32_e32 v14, 0x7fffff, v30
	v_lshrrev_b32_e32 v2, 24, v30
	v_cmpx_ne_u64_e32 0x7f800000, v[20:21]
	s_xor_b32 s28, exec_lo, s10
	s_cbranch_execz .LBB4_10925
; %bb.10912:                            ;   in Loop: Header=BB4_9783 Depth=2
	v_and_b32_e32 v20, 0x7fffffff, v30
	v_mov_b32_e32 v21, v15
	v_and_b32_e32 v2, 0x80, v2
                                        ; implicit-def: $vgpr89
	s_mov_b32 s10, exec_lo
	s_delay_alu instid0(VALU_DEP_2)
	v_cmpx_gt_u64_e32 0x47600001, v[20:21]
	s_xor_b32 s29, exec_lo, s10
	s_cbranch_execz .LBB4_10922
; %bb.10913:                            ;   in Loop: Header=BB4_9783 Depth=2
	v_mov_b32_e32 v89, 0
	s_mov_b32 s40, exec_lo
	v_cmpx_ne_u32_e32 0, v30
	s_cbranch_execz .LBB4_10921
; %bb.10914:                            ;   in Loop: Header=BB4_9783 Depth=2
	v_bfe_u32 v20, v30, 23, 8
	v_or_b32_e32 v25, 0x800000, v14
	s_mov_b32 s41, exec_lo
	v_mov_b32_e32 v97, v15
	s_delay_alu instid0(VALU_DEP_3) | instskip(SKIP_1) | instid1(VALU_DEP_2)
	v_sub_nc_u32_e32 v21, 0x71, v20
	v_cmp_gt_u32_e32 vcc_lo, 0x72, v20
	v_cndmask_b32_e32 v21, 0, v21, vcc_lo
	v_cmp_eq_u32_e32 vcc_lo, 0, v20
	s_delay_alu instid0(VALU_DEP_2) | instskip(NEXT) | instid1(VALU_DEP_1)
	v_cndmask_b32_e64 v21, v21, 0x70, vcc_lo
	v_dual_cndmask_b32 v96, v25, v14, vcc_lo :: v_dual_add_nc_u32 v24, 21, v21
	s_delay_alu instid0(VALU_DEP_1) | instskip(SKIP_1) | instid1(VALU_DEP_1)
	v_lshlrev_b64_e64 v[86:87], v24, -1
	v_add_nc_u32_e32 v24, 20, v21
	v_lshlrev_b64_e64 v[90:91], v24, 1
	s_delay_alu instid0(VALU_DEP_3) | instskip(NEXT) | instid1(VALU_DEP_4)
	v_bfi_b32 v93, v87, 0, 0
	v_bfi_b32 v92, v86, 0, v96
	v_lshrrev_b64 v[86:87], v21, v[96:97]
	s_delay_alu instid0(VALU_DEP_1) | instskip(NEXT) | instid1(VALU_DEP_3)
	v_mov_b64_e32 v[96:97], v[86:87]
	v_cmpx_eq_u64_e64 v[92:93], v[90:91]
; %bb.10915:                            ;   in Loop: Header=BB4_9783 Depth=2
	v_bfe_u32 v96, v86, 21, 1
	v_mov_b32_e32 v97, v15
	s_delay_alu instid0(VALU_DEP_1) | instskip(NEXT) | instid1(VALU_DEP_1)
	v_add_nc_u64_e32 v[96:97], v[86:87], v[96:97]
	v_add_nc_u64_e32 v[96:97], -1, v[96:97]
; %bb.10916:                            ;   in Loop: Header=BB4_9783 Depth=2
	s_or_b32 exec_lo, exec_lo, s41
	v_add_nc_u32_e32 v14, 0xffffff81, v20
	v_lshrrev_b32_e32 v20, 23, v86
	s_mov_b32 s10, exec_lo
	s_delay_alu instid0(VALU_DEP_2) | instskip(NEXT) | instid1(VALU_DEP_1)
	v_cndmask_b32_e64 v14, v14, 0xffffff82, vcc_lo
	v_add3_u32 v21, v21, v14, v20
	v_and_b32_e32 v14, 0x1fffff, v96
                                        ; implicit-def: $vgpr20
	s_delay_alu instid0(VALU_DEP_1) | instskip(NEXT) | instid1(VALU_DEP_1)
	v_dual_add_nc_u32 v30, 14, v21 :: v_dual_add_nc_u32 v14, v14, v86
                                        ; implicit-def: $vgpr86_vgpr87
	v_cmpx_ne_u32_e32 0, v30
	s_xor_b32 s10, exec_lo, s10
; %bb.10917:                            ;   in Loop: Header=BB4_9783 Depth=2
	s_delay_alu instid0(VALU_DEP_2) | instskip(SKIP_2) | instid1(VALU_DEP_2)
	v_cmp_lt_u64_e32 vcc_lo, 0xffffff, v[14:15]
	v_add_nc_u32_e32 v20, 15, v21
	v_cndmask_b32_e64 v21, 0, 1, vcc_lo
	v_cndmask_b32_e32 v20, v30, v20, vcc_lo
	s_delay_alu instid0(VALU_DEP_2)
	v_lshrrev_b64 v[86:87], v21, v[14:15]
; %bb.10918:                            ;   in Loop: Header=BB4_9783 Depth=2
	s_and_not1_saveexec_b32 s10, s10
; %bb.10919:                            ;   in Loop: Header=BB4_9783 Depth=2
	v_mov_b64_e32 v[86:87], v[14:15]
	v_bfe_u32 v20, v14, 23, 1
; %bb.10920:                            ;   in Loop: Header=BB4_9783 Depth=2
	s_or_b32 exec_lo, exec_lo, s10
	s_delay_alu instid0(VALU_DEP_2) | instskip(NEXT) | instid1(VALU_DEP_2)
	v_lshrrev_b64 v[86:87], 21, v[86:87]
	v_cmp_gt_i32_e32 vcc_lo, 32, v20
	v_min_i32_e32 v14, 31, v20
	v_cmp_eq_u32_e64 s10, 0, v20
	s_delay_alu instid0(VALU_DEP_2) | instskip(SKIP_1) | instid1(VALU_DEP_2)
	v_dual_cndmask_b32 v87, 0, v87 :: v_dual_lshlrev_b32 v14, 2, v14
	v_cndmask_b32_e32 v86, 3, v86, vcc_lo
	v_and_b32_e32 v14, 0xfc, v14
	s_delay_alu instid0(VALU_DEP_2) | instskip(NEXT) | instid1(VALU_DEP_2)
	v_cmp_eq_u64_e32 vcc_lo, 0, v[86:87]
	v_and_or_b32 v14, v86, 3, v14
	s_and_b32 s10, s10, vcc_lo
	s_delay_alu instid0(VALU_DEP_1) | instid1(SALU_CYCLE_1)
	v_cndmask_b32_e64 v14, v14, 0, s10
	s_delay_alu instid0(VALU_DEP_1)
	v_or_b32_e32 v89, v14, v2
.LBB4_10921:                            ;   in Loop: Header=BB4_9783 Depth=2
	s_or_b32 exec_lo, exec_lo, s40
                                        ; implicit-def: $vgpr2
.LBB4_10922:                            ;   in Loop: Header=BB4_9783 Depth=2
	s_and_not1_saveexec_b32 s10, s29
; %bb.10923:                            ;   in Loop: Header=BB4_9783 Depth=2
	v_or_b32_e32 v89, 0x7b, v2
; %bb.10924:                            ;   in Loop: Header=BB4_9783 Depth=2
	s_or_b32 exec_lo, exec_lo, s10
                                        ; implicit-def: $vgpr30
                                        ; implicit-def: $vgpr2
.LBB4_10925:                            ;   in Loop: Header=BB4_9783 Depth=2
	s_and_not1_saveexec_b32 s10, s28
	s_cbranch_execz .LBB4_10931
; %bb.10926:                            ;   in Loop: Header=BB4_9783 Depth=2
	s_mov_b32 s28, exec_lo
                                        ; implicit-def: $vgpr89
	v_cmpx_ne_u64_e32 0, v[14:15]
	s_xor_b32 s28, exec_lo, s28
; %bb.10927:                            ;   in Loop: Header=BB4_9783 Depth=2
	v_or_b32_e32 v89, 0x7f, v2
                                        ; implicit-def: $vgpr30
; %bb.10928:                            ;   in Loop: Header=BB4_9783 Depth=2
	s_and_not1_saveexec_b32 s28, s28
; %bb.10929:                            ;   in Loop: Header=BB4_9783 Depth=2
	v_cmp_lt_i32_e32 vcc_lo, -1, v30
	v_cndmask_b32_e32 v89, 0xfc, v101, vcc_lo
; %bb.10930:                            ;   in Loop: Header=BB4_9783 Depth=2
	s_or_b32 exec_lo, exec_lo, s28
.LBB4_10931:                            ;   in Loop: Header=BB4_9783 Depth=2
	s_delay_alu instid0(SALU_CYCLE_1) | instskip(SKIP_2) | instid1(VALU_DEP_1)
	s_or_b32 exec_lo, exec_lo, s10
	v_dual_lshrrev_b32 v14, 16, v11 :: v_dual_mov_b32 v20, 0
	s_mov_b32 s10, exec_lo
	v_and_b32_e32 v2, 0xff, v14
	s_delay_alu instid0(VALU_DEP_1)
	v_cmpx_ne_u16_e32 0, v2
	s_cbranch_execz .LBB4_10941
; %bb.10932:                            ;   in Loop: Header=BB4_9783 Depth=2
	v_bfrev_b32_e32 v20, 1
	s_mov_b32 s28, exec_lo
	v_cmpx_ne_u16_e32 0x80, v2
	s_cbranch_execz .LBB4_10940
; %bb.10933:                            ;   in Loop: Header=BB4_9783 Depth=2
	v_and_b32_e32 v20, 0x7c0000, v11
	v_bfe_u32 v2, v11, 16, 2
	s_delay_alu instid0(VALU_DEP_2) | instskip(SKIP_1) | instid1(SALU_CYCLE_1)
	v_cmp_ne_u32_e32 vcc_lo, 0x7c0000, v20
                                        ; implicit-def: $vgpr20
	s_and_saveexec_b32 s29, vcc_lo
	s_xor_b32 s29, exec_lo, s29
	s_cbranch_execz .LBB4_10937
; %bb.10934:                            ;   in Loop: Header=BB4_9783 Depth=2
	v_bfe_u32 v20, v11, 18, 5
	s_mov_b32 s40, exec_lo
	s_delay_alu instid0(VALU_DEP_1)
	v_cmpx_eq_u32_e32 0, v20
; %bb.10935:                            ;   in Loop: Header=BB4_9783 Depth=2
	v_clz_i32_u32_e32 v2, v2
	s_delay_alu instid0(VALU_DEP_1) | instskip(NEXT) | instid1(VALU_DEP_1)
	v_min_u32_e32 v2, 32, v2
	v_subrev_nc_u32_e32 v20, 29, v2
	s_delay_alu instid0(VALU_DEP_1) | instskip(SKIP_1) | instid1(VALU_DEP_2)
	v_lshlrev_b64_e32 v[86:87], v20, v[14:15]
	v_sub_nc_u32_e32 v20, 30, v2
	v_and_b32_e32 v2, 3, v86
; %bb.10936:                            ;   in Loop: Header=BB4_9783 Depth=2
	s_or_b32 exec_lo, exec_lo, s40
	v_lshlrev_b32_e32 v14, 24, v14
	s_delay_alu instid0(VALU_DEP_1) | instskip(NEXT) | instid1(VALU_DEP_1)
	v_and_b32_e32 v14, 0x80000000, v14
	v_lshl_add_u32 v14, v20, 23, v14
	s_delay_alu instid0(VALU_DEP_1) | instskip(NEXT) | instid1(VALU_DEP_1)
	v_lshl_or_b32 v2, v2, 21, v14
                                        ; implicit-def: $vgpr14
	v_add_nc_u32_e32 v20, 0x38000000, v2
                                        ; implicit-def: $vgpr2
.LBB4_10937:                            ;   in Loop: Header=BB4_9783 Depth=2
	s_and_not1_saveexec_b32 s29, s29
; %bb.10938:                            ;   in Loop: Header=BB4_9783 Depth=2
	v_bfe_i32 v14, v14, 0, 8
	s_delay_alu instid0(VALU_DEP_1) | instskip(SKIP_2) | instid1(VALU_DEP_2)
	v_cmp_lt_i16_e32 vcc_lo, -1, v14
	v_cndmask_b32_e32 v14, 0xff800000, v100, vcc_lo
	v_cmp_eq_u32_e32 vcc_lo, 0, v2
	v_cndmask_b32_e32 v20, 0x7f800001, v14, vcc_lo
; %bb.10939:                            ;   in Loop: Header=BB4_9783 Depth=2
	s_or_b32 exec_lo, exec_lo, s29
.LBB4_10940:                            ;   in Loop: Header=BB4_9783 Depth=2
	s_delay_alu instid0(SALU_CYCLE_1)
	s_or_b32 exec_lo, exec_lo, s28
.LBB4_10941:                            ;   in Loop: Header=BB4_9783 Depth=2
	s_delay_alu instid0(SALU_CYCLE_1) | instskip(NEXT) | instid1(VALU_DEP_1)
	s_or_b32 exec_lo, exec_lo, s10
	v_dual_mul_f32 v30, s27, v20 :: v_dual_mov_b32 v21, v15
                                        ; implicit-def: $vgpr96
	s_mov_b32 s10, exec_lo
	s_delay_alu instid0(VALU_DEP_1) | instskip(SKIP_2) | instid1(VALU_DEP_3)
	v_and_b32_e32 v20, 0x7f800000, v30
	v_and_b32_e32 v14, 0x7fffff, v30
	v_lshrrev_b32_e32 v2, 24, v30
	v_cmpx_ne_u64_e32 0x7f800000, v[20:21]
	s_xor_b32 s28, exec_lo, s10
	s_cbranch_execz .LBB4_10955
; %bb.10942:                            ;   in Loop: Header=BB4_9783 Depth=2
	v_and_b32_e32 v20, 0x7fffffff, v30
	v_mov_b32_e32 v21, v15
	v_and_b32_e32 v2, 0x80, v2
                                        ; implicit-def: $vgpr96
	s_mov_b32 s10, exec_lo
	s_delay_alu instid0(VALU_DEP_2)
	v_cmpx_gt_u64_e32 0x47600001, v[20:21]
	s_xor_b32 s29, exec_lo, s10
	s_cbranch_execz .LBB4_10952
; %bb.10943:                            ;   in Loop: Header=BB4_9783 Depth=2
	v_mov_b32_e32 v96, 0
	s_mov_b32 s40, exec_lo
	v_cmpx_ne_u32_e32 0, v30
	s_cbranch_execz .LBB4_10951
; %bb.10944:                            ;   in Loop: Header=BB4_9783 Depth=2
	v_bfe_u32 v20, v30, 23, 8
	v_or_b32_e32 v25, 0x800000, v14
	s_mov_b32 s41, exec_lo
	v_mov_b32_e32 v97, v15
	s_delay_alu instid0(VALU_DEP_3) | instskip(SKIP_1) | instid1(VALU_DEP_2)
	v_sub_nc_u32_e32 v21, 0x71, v20
	v_cmp_gt_u32_e32 vcc_lo, 0x72, v20
	v_cndmask_b32_e32 v21, 0, v21, vcc_lo
	v_cmp_eq_u32_e32 vcc_lo, 0, v20
	s_delay_alu instid0(VALU_DEP_2) | instskip(NEXT) | instid1(VALU_DEP_1)
	v_cndmask_b32_e64 v21, v21, 0x70, vcc_lo
	v_dual_cndmask_b32 v96, v25, v14, vcc_lo :: v_dual_add_nc_u32 v24, 21, v21
	s_delay_alu instid0(VALU_DEP_1) | instskip(SKIP_1) | instid1(VALU_DEP_1)
	v_lshlrev_b64_e64 v[86:87], v24, -1
	v_add_nc_u32_e32 v24, 20, v21
	v_lshlrev_b64_e64 v[90:91], v24, 1
	s_delay_alu instid0(VALU_DEP_3) | instskip(NEXT) | instid1(VALU_DEP_4)
	v_bfi_b32 v93, v87, 0, 0
	v_bfi_b32 v92, v86, 0, v96
	v_lshrrev_b64 v[86:87], v21, v[96:97]
	s_delay_alu instid0(VALU_DEP_1) | instskip(NEXT) | instid1(VALU_DEP_3)
	v_mov_b64_e32 v[96:97], v[86:87]
	v_cmpx_eq_u64_e64 v[92:93], v[90:91]
; %bb.10945:                            ;   in Loop: Header=BB4_9783 Depth=2
	v_bfe_u32 v96, v86, 21, 1
	v_mov_b32_e32 v97, v15
	s_delay_alu instid0(VALU_DEP_1) | instskip(NEXT) | instid1(VALU_DEP_1)
	v_add_nc_u64_e32 v[96:97], v[86:87], v[96:97]
	v_add_nc_u64_e32 v[96:97], -1, v[96:97]
; %bb.10946:                            ;   in Loop: Header=BB4_9783 Depth=2
	s_or_b32 exec_lo, exec_lo, s41
	v_add_nc_u32_e32 v14, 0xffffff81, v20
	v_lshrrev_b32_e32 v20, 23, v86
	s_mov_b32 s10, exec_lo
	s_delay_alu instid0(VALU_DEP_2) | instskip(NEXT) | instid1(VALU_DEP_1)
	v_cndmask_b32_e64 v14, v14, 0xffffff82, vcc_lo
	v_add3_u32 v21, v21, v14, v20
	v_and_b32_e32 v14, 0x1fffff, v96
                                        ; implicit-def: $vgpr20
	s_delay_alu instid0(VALU_DEP_1) | instskip(NEXT) | instid1(VALU_DEP_1)
	v_dual_add_nc_u32 v30, 14, v21 :: v_dual_add_nc_u32 v14, v14, v86
                                        ; implicit-def: $vgpr86_vgpr87
	v_cmpx_ne_u32_e32 0, v30
	s_xor_b32 s10, exec_lo, s10
; %bb.10947:                            ;   in Loop: Header=BB4_9783 Depth=2
	s_delay_alu instid0(VALU_DEP_2) | instskip(SKIP_2) | instid1(VALU_DEP_2)
	v_cmp_lt_u64_e32 vcc_lo, 0xffffff, v[14:15]
	v_add_nc_u32_e32 v20, 15, v21
	v_cndmask_b32_e64 v21, 0, 1, vcc_lo
	v_cndmask_b32_e32 v20, v30, v20, vcc_lo
	s_delay_alu instid0(VALU_DEP_2)
	v_lshrrev_b64 v[86:87], v21, v[14:15]
; %bb.10948:                            ;   in Loop: Header=BB4_9783 Depth=2
	s_and_not1_saveexec_b32 s10, s10
; %bb.10949:                            ;   in Loop: Header=BB4_9783 Depth=2
	v_mov_b64_e32 v[86:87], v[14:15]
	v_bfe_u32 v20, v14, 23, 1
; %bb.10950:                            ;   in Loop: Header=BB4_9783 Depth=2
	s_or_b32 exec_lo, exec_lo, s10
	s_delay_alu instid0(VALU_DEP_2) | instskip(NEXT) | instid1(VALU_DEP_2)
	v_lshrrev_b64 v[86:87], 21, v[86:87]
	v_cmp_gt_i32_e32 vcc_lo, 32, v20
	v_min_i32_e32 v14, 31, v20
	v_cmp_eq_u32_e64 s10, 0, v20
	s_delay_alu instid0(VALU_DEP_2) | instskip(SKIP_1) | instid1(VALU_DEP_2)
	v_dual_cndmask_b32 v87, 0, v87 :: v_dual_lshlrev_b32 v14, 2, v14
	v_cndmask_b32_e32 v86, 3, v86, vcc_lo
	v_and_b32_e32 v14, 0xfc, v14
	s_delay_alu instid0(VALU_DEP_2) | instskip(NEXT) | instid1(VALU_DEP_2)
	v_cmp_eq_u64_e32 vcc_lo, 0, v[86:87]
	v_and_or_b32 v14, v86, 3, v14
	s_and_b32 s10, s10, vcc_lo
	s_delay_alu instid0(VALU_DEP_1) | instid1(SALU_CYCLE_1)
	v_cndmask_b32_e64 v14, v14, 0, s10
	s_delay_alu instid0(VALU_DEP_1)
	v_or_b32_e32 v96, v14, v2
.LBB4_10951:                            ;   in Loop: Header=BB4_9783 Depth=2
	s_or_b32 exec_lo, exec_lo, s40
                                        ; implicit-def: $vgpr2
.LBB4_10952:                            ;   in Loop: Header=BB4_9783 Depth=2
	s_and_not1_saveexec_b32 s10, s29
; %bb.10953:                            ;   in Loop: Header=BB4_9783 Depth=2
	v_or_b32_e32 v96, 0x7b, v2
; %bb.10954:                            ;   in Loop: Header=BB4_9783 Depth=2
	s_or_b32 exec_lo, exec_lo, s10
                                        ; implicit-def: $vgpr30
                                        ; implicit-def: $vgpr2
.LBB4_10955:                            ;   in Loop: Header=BB4_9783 Depth=2
	s_and_not1_saveexec_b32 s10, s28
	s_cbranch_execz .LBB4_10961
; %bb.10956:                            ;   in Loop: Header=BB4_9783 Depth=2
	s_mov_b32 s28, exec_lo
                                        ; implicit-def: $vgpr96
	v_cmpx_ne_u64_e32 0, v[14:15]
	s_xor_b32 s28, exec_lo, s28
; %bb.10957:                            ;   in Loop: Header=BB4_9783 Depth=2
	v_or_b32_e32 v96, 0x7f, v2
                                        ; implicit-def: $vgpr30
; %bb.10958:                            ;   in Loop: Header=BB4_9783 Depth=2
	s_and_not1_saveexec_b32 s28, s28
; %bb.10959:                            ;   in Loop: Header=BB4_9783 Depth=2
	v_cmp_lt_i32_e32 vcc_lo, -1, v30
	v_cndmask_b32_e32 v96, 0xfc, v101, vcc_lo
; %bb.10960:                            ;   in Loop: Header=BB4_9783 Depth=2
	s_or_b32 exec_lo, exec_lo, s28
.LBB4_10961:                            ;   in Loop: Header=BB4_9783 Depth=2
	s_delay_alu instid0(SALU_CYCLE_1)
	s_or_b32 exec_lo, exec_lo, s10
	v_mov_b32_e32 v2, 0
	s_mov_b32 s10, exec_lo
	v_cmpx_lt_u64_e64 s[12:13], v[10:11]
	s_cbranch_execz .LBB4_10971
; %bb.10962:                            ;   in Loop: Header=BB4_9783 Depth=2
	v_lshrrev_b32_e32 v14, 24, v11
	v_bfrev_b32_e32 v2, 1
	s_mov_b32 s28, exec_lo
	s_delay_alu instid0(VALU_DEP_2)
	v_cmpx_ne_u32_e32 0x80, v14
	s_cbranch_execz .LBB4_10970
; %bb.10963:                            ;   in Loop: Header=BB4_9783 Depth=2
	v_and_b32_e32 v2, 0x7c000000, v11
	v_bfe_u32 v20, v11, 24, 2
	s_delay_alu instid0(VALU_DEP_2) | instskip(SKIP_1) | instid1(SALU_CYCLE_1)
	v_cmp_ne_u32_e32 vcc_lo, 0x7c000000, v2
                                        ; implicit-def: $vgpr2
	s_and_saveexec_b32 s29, vcc_lo
	s_xor_b32 s29, exec_lo, s29
	s_cbranch_execz .LBB4_10967
; %bb.10964:                            ;   in Loop: Header=BB4_9783 Depth=2
	v_bfe_u32 v2, v11, 26, 5
	s_mov_b32 s40, exec_lo
	s_delay_alu instid0(VALU_DEP_1)
	v_cmpx_eq_u32_e32 0, v2
; %bb.10965:                            ;   in Loop: Header=BB4_9783 Depth=2
	v_clz_i32_u32_e32 v2, v20
	s_delay_alu instid0(VALU_DEP_1) | instskip(NEXT) | instid1(VALU_DEP_1)
	v_min_u32_e32 v2, 32, v2
	v_subrev_nc_u32_e32 v20, 29, v2
	s_delay_alu instid0(VALU_DEP_1) | instskip(NEXT) | instid1(VALU_DEP_1)
	v_lshlrev_b64_e32 v[20:21], v20, v[14:15]
	v_dual_sub_nc_u32 v2, 30, v2 :: v_dual_bitop2_b32 v20, 3, v20 bitop3:0x40
; %bb.10966:                            ;   in Loop: Header=BB4_9783 Depth=2
	s_or_b32 exec_lo, exec_lo, s40
	v_and_b32_e32 v14, 0x80000000, v11
	s_delay_alu instid0(VALU_DEP_1) | instskip(NEXT) | instid1(VALU_DEP_1)
	v_lshl_add_u32 v2, v2, 23, v14
	v_lshl_or_b32 v2, v20, 21, v2
                                        ; implicit-def: $vgpr20
	s_delay_alu instid0(VALU_DEP_1)
	v_add_nc_u32_e32 v2, 0x38000000, v2
.LBB4_10967:                            ;   in Loop: Header=BB4_9783 Depth=2
	s_and_not1_saveexec_b32 s29, s29
; %bb.10968:                            ;   in Loop: Header=BB4_9783 Depth=2
	v_cmp_lt_i64_e32 vcc_lo, -1, v[10:11]
	v_cndmask_b32_e32 v2, 0xff800000, v100, vcc_lo
	v_cmp_eq_u32_e32 vcc_lo, 0, v20
	s_delay_alu instid0(VALU_DEP_2)
	v_cndmask_b32_e32 v2, 0x7f800001, v2, vcc_lo
; %bb.10969:                            ;   in Loop: Header=BB4_9783 Depth=2
	s_or_b32 exec_lo, exec_lo, s29
.LBB4_10970:                            ;   in Loop: Header=BB4_9783 Depth=2
	s_delay_alu instid0(SALU_CYCLE_1)
	s_or_b32 exec_lo, exec_lo, s28
.LBB4_10971:                            ;   in Loop: Header=BB4_9783 Depth=2
	s_delay_alu instid0(SALU_CYCLE_1) | instskip(NEXT) | instid1(VALU_DEP_1)
	s_or_b32 exec_lo, exec_lo, s10
	v_dual_mul_f32 v10, s27, v2 :: v_dual_mov_b32 v21, v15
                                        ; implicit-def: $vgpr97
	s_mov_b32 s10, exec_lo
	s_delay_alu instid0(VALU_DEP_1) | instskip(SKIP_2) | instid1(VALU_DEP_3)
	v_and_b32_e32 v20, 0x7f800000, v10
	v_and_b32_e32 v14, 0x7fffff, v10
	v_lshrrev_b32_e32 v2, 24, v10
	v_cmpx_ne_u64_e32 0x7f800000, v[20:21]
	s_xor_b32 s28, exec_lo, s10
	s_cbranch_execz .LBB4_10985
; %bb.10972:                            ;   in Loop: Header=BB4_9783 Depth=2
	v_and_b32_e32 v20, 0x7fffffff, v10
	v_mov_b32_e32 v21, v15
	v_and_b32_e32 v2, 0x80, v2
                                        ; implicit-def: $vgpr97
	s_mov_b32 s10, exec_lo
	s_delay_alu instid0(VALU_DEP_2)
	v_cmpx_gt_u64_e32 0x47600001, v[20:21]
	s_xor_b32 s29, exec_lo, s10
	s_cbranch_execz .LBB4_10982
; %bb.10973:                            ;   in Loop: Header=BB4_9783 Depth=2
	v_mov_b32_e32 v97, 0
	s_mov_b32 s40, exec_lo
	v_cmpx_ne_u32_e32 0, v10
	s_cbranch_execz .LBB4_10981
; %bb.10974:                            ;   in Loop: Header=BB4_9783 Depth=2
	v_bfe_u32 v20, v10, 23, 8
	v_or_b32_e32 v24, 0x800000, v14
	s_mov_b32 s41, exec_lo
	s_delay_alu instid0(VALU_DEP_2) | instskip(SKIP_1) | instid1(VALU_DEP_2)
	v_dual_mov_b32 v87, v15 :: v_dual_sub_nc_u32 v10, 0x71, v20
	v_cmp_gt_u32_e32 vcc_lo, 0x72, v20
	v_cndmask_b32_e32 v10, 0, v10, vcc_lo
	v_cmp_eq_u32_e32 vcc_lo, 0, v20
	s_delay_alu instid0(VALU_DEP_2) | instskip(NEXT) | instid1(VALU_DEP_1)
	v_cndmask_b32_e64 v21, v10, 0x70, vcc_lo
	v_dual_cndmask_b32 v86, v24, v14, vcc_lo :: v_dual_add_nc_u32 v10, 21, v21
	v_add_nc_u32_e32 v25, 20, v21
	s_delay_alu instid0(VALU_DEP_2) | instskip(NEXT) | instid1(VALU_DEP_2)
	v_lshlrev_b64_e64 v[10:11], v10, -1
	v_lshlrev_b64_e64 v[90:91], v25, 1
	s_delay_alu instid0(VALU_DEP_2) | instskip(NEXT) | instid1(VALU_DEP_3)
	v_bfi_b32 v93, v11, 0, 0
	v_bfi_b32 v92, v10, 0, v86
	v_lshrrev_b64 v[10:11], v21, v[86:87]
	s_delay_alu instid0(VALU_DEP_1) | instskip(NEXT) | instid1(VALU_DEP_3)
	v_mov_b64_e32 v[86:87], v[10:11]
	v_cmpx_eq_u64_e64 v[92:93], v[90:91]
; %bb.10975:                            ;   in Loop: Header=BB4_9783 Depth=2
	v_bfe_u32 v86, v10, 21, 1
	v_mov_b32_e32 v87, v15
	s_delay_alu instid0(VALU_DEP_1) | instskip(NEXT) | instid1(VALU_DEP_1)
	v_add_nc_u64_e32 v[86:87], v[10:11], v[86:87]
	v_add_nc_u64_e32 v[86:87], -1, v[86:87]
; %bb.10976:                            ;   in Loop: Header=BB4_9783 Depth=2
	s_or_b32 exec_lo, exec_lo, s41
	v_add_nc_u32_e32 v11, 0xffffff81, v20
	v_lshrrev_b32_e32 v14, 23, v10
	s_mov_b32 s10, exec_lo
                                        ; implicit-def: $vgpr20
	s_delay_alu instid0(VALU_DEP_2) | instskip(NEXT) | instid1(VALU_DEP_1)
	v_cndmask_b32_e64 v11, v11, 0xffffff82, vcc_lo
	v_add3_u32 v21, v21, v11, v14
	v_and_b32_e32 v11, 0x1fffff, v86
	s_delay_alu instid0(VALU_DEP_1) | instskip(NEXT) | instid1(VALU_DEP_1)
	v_dual_add_nc_u32 v30, 14, v21 :: v_dual_add_nc_u32 v14, v11, v10
                                        ; implicit-def: $vgpr10_vgpr11
	v_cmpx_ne_u32_e32 0, v30
	s_xor_b32 s10, exec_lo, s10
; %bb.10977:                            ;   in Loop: Header=BB4_9783 Depth=2
	s_delay_alu instid0(VALU_DEP_2) | instskip(SKIP_1) | instid1(VALU_DEP_1)
	v_cmp_lt_u64_e32 vcc_lo, 0xffffff, v[14:15]
	v_add_nc_u32_e32 v10, 15, v21
	v_cndmask_b32_e32 v20, v30, v10, vcc_lo
	v_cndmask_b32_e64 v10, 0, 1, vcc_lo
	s_delay_alu instid0(VALU_DEP_1)
	v_lshrrev_b64 v[10:11], v10, v[14:15]
; %bb.10978:                            ;   in Loop: Header=BB4_9783 Depth=2
	s_and_not1_saveexec_b32 s10, s10
; %bb.10979:                            ;   in Loop: Header=BB4_9783 Depth=2
	v_mov_b64_e32 v[10:11], v[14:15]
	v_bfe_u32 v20, v14, 23, 1
; %bb.10980:                            ;   in Loop: Header=BB4_9783 Depth=2
	s_or_b32 exec_lo, exec_lo, s10
	s_delay_alu instid0(VALU_DEP_2) | instskip(NEXT) | instid1(VALU_DEP_2)
	v_lshrrev_b64 v[10:11], 21, v[10:11]
	v_cmp_gt_i32_e32 vcc_lo, 32, v20
	v_min_i32_e32 v14, 31, v20
	v_cmp_eq_u32_e64 s10, 0, v20
	s_delay_alu instid0(VALU_DEP_2) | instskip(SKIP_1) | instid1(VALU_DEP_2)
	v_dual_cndmask_b32 v11, 0, v11 :: v_dual_lshlrev_b32 v14, 2, v14
	v_cndmask_b32_e32 v10, 3, v10, vcc_lo
	v_and_b32_e32 v14, 0xfc, v14
	s_delay_alu instid0(VALU_DEP_2) | instskip(NEXT) | instid1(VALU_DEP_2)
	v_cmp_eq_u64_e32 vcc_lo, 0, v[10:11]
	v_and_or_b32 v10, v10, 3, v14
	s_and_b32 s10, s10, vcc_lo
	s_delay_alu instid0(VALU_DEP_1) | instid1(SALU_CYCLE_1)
	v_cndmask_b32_e64 v10, v10, 0, s10
	s_delay_alu instid0(VALU_DEP_1)
	v_or_b32_e32 v97, v10, v2
.LBB4_10981:                            ;   in Loop: Header=BB4_9783 Depth=2
	s_or_b32 exec_lo, exec_lo, s40
                                        ; implicit-def: $vgpr2
.LBB4_10982:                            ;   in Loop: Header=BB4_9783 Depth=2
	s_and_not1_saveexec_b32 s10, s29
; %bb.10983:                            ;   in Loop: Header=BB4_9783 Depth=2
	v_or_b32_e32 v97, 0x7b, v2
; %bb.10984:                            ;   in Loop: Header=BB4_9783 Depth=2
	s_or_b32 exec_lo, exec_lo, s10
                                        ; implicit-def: $vgpr10
                                        ; implicit-def: $vgpr2
.LBB4_10985:                            ;   in Loop: Header=BB4_9783 Depth=2
	s_and_not1_saveexec_b32 s10, s28
	s_cbranch_execz .LBB4_10991
; %bb.10986:                            ;   in Loop: Header=BB4_9783 Depth=2
	s_mov_b32 s28, exec_lo
                                        ; implicit-def: $vgpr97
	v_cmpx_ne_u64_e32 0, v[14:15]
	s_xor_b32 s28, exec_lo, s28
; %bb.10987:                            ;   in Loop: Header=BB4_9783 Depth=2
	v_or_b32_e32 v97, 0x7f, v2
                                        ; implicit-def: $vgpr10
; %bb.10988:                            ;   in Loop: Header=BB4_9783 Depth=2
	s_and_not1_saveexec_b32 s28, s28
; %bb.10989:                            ;   in Loop: Header=BB4_9783 Depth=2
	v_cmp_lt_i32_e32 vcc_lo, -1, v10
	v_cndmask_b32_e32 v97, 0xfc, v101, vcc_lo
; %bb.10990:                            ;   in Loop: Header=BB4_9783 Depth=2
	s_or_b32 exec_lo, exec_lo, s28
.LBB4_10991:                            ;   in Loop: Header=BB4_9783 Depth=2
	s_delay_alu instid0(SALU_CYCLE_1) | instskip(SKIP_1) | instid1(VALU_DEP_1)
	s_or_b32 exec_lo, exec_lo, s10
	v_and_b32_e32 v2, 0xff, v12
	v_cmp_ne_u16_e32 vcc_lo, 0, v2
	v_mov_b32_e32 v2, 0
	s_and_saveexec_b32 s10, vcc_lo
	s_cbranch_execz .LBB4_11001
; %bb.10992:                            ;   in Loop: Header=BB4_9783 Depth=2
	v_bfe_i32 v11, v12, 0, 8
	v_bfrev_b32_e32 v2, 1
	s_mov_b32 s28, exec_lo
	s_delay_alu instid0(VALU_DEP_2)
	v_cmpx_ne_u16_e32 0xff80, v11
	s_cbranch_execz .LBB4_11000
; %bb.10993:                            ;   in Loop: Header=BB4_9783 Depth=2
	v_and_b32_e32 v2, 0x7c, v12
	v_and_b32_e32 v10, 3, v12
	s_delay_alu instid0(VALU_DEP_2) | instskip(SKIP_1) | instid1(SALU_CYCLE_1)
	v_cmp_ne_u32_e32 vcc_lo, 0x7c, v2
                                        ; implicit-def: $vgpr2
	s_and_saveexec_b32 s29, vcc_lo
	s_xor_b32 s29, exec_lo, s29
	s_cbranch_execz .LBB4_10997
; %bb.10994:                            ;   in Loop: Header=BB4_9783 Depth=2
	v_bfe_u32 v2, v12, 2, 5
	s_mov_b32 s40, exec_lo
	s_delay_alu instid0(VALU_DEP_1)
	v_cmpx_eq_u32_e32 0, v2
; %bb.10995:                            ;   in Loop: Header=BB4_9783 Depth=2
	v_clz_i32_u32_e32 v2, v10
	s_delay_alu instid0(VALU_DEP_1) | instskip(NEXT) | instid1(VALU_DEP_1)
	v_min_u32_e32 v2, 32, v2
	v_subrev_nc_u32_e32 v10, 29, v2
	v_sub_nc_u32_e32 v2, 30, v2
	s_delay_alu instid0(VALU_DEP_2) | instskip(NEXT) | instid1(VALU_DEP_1)
	v_lshlrev_b64_e32 v[10:11], v10, v[12:13]
	v_and_b32_e32 v10, 3, v10
; %bb.10996:                            ;   in Loop: Header=BB4_9783 Depth=2
	s_or_b32 exec_lo, exec_lo, s40
	v_lshlrev_b32_e32 v11, 24, v12
	s_delay_alu instid0(VALU_DEP_1) | instskip(NEXT) | instid1(VALU_DEP_1)
	v_and_b32_e32 v11, 0x80000000, v11
	v_lshl_add_u32 v2, v2, 23, v11
                                        ; implicit-def: $vgpr11
	s_delay_alu instid0(VALU_DEP_1) | instskip(NEXT) | instid1(VALU_DEP_1)
	v_lshl_or_b32 v2, v10, 21, v2
                                        ; implicit-def: $vgpr10
	v_add_nc_u32_e32 v2, 0x38000000, v2
.LBB4_10997:                            ;   in Loop: Header=BB4_9783 Depth=2
	s_and_not1_saveexec_b32 s29, s29
; %bb.10998:                            ;   in Loop: Header=BB4_9783 Depth=2
	v_cmp_lt_i16_e32 vcc_lo, -1, v11
	v_cndmask_b32_e32 v2, 0xff800000, v100, vcc_lo
	v_cmp_eq_u32_e32 vcc_lo, 0, v10
	s_delay_alu instid0(VALU_DEP_2)
	v_cndmask_b32_e32 v2, 0x7f800001, v2, vcc_lo
; %bb.10999:                            ;   in Loop: Header=BB4_9783 Depth=2
	s_or_b32 exec_lo, exec_lo, s29
.LBB4_11000:                            ;   in Loop: Header=BB4_9783 Depth=2
	s_delay_alu instid0(SALU_CYCLE_1)
	s_or_b32 exec_lo, exec_lo, s28
.LBB4_11001:                            ;   in Loop: Header=BB4_9783 Depth=2
	s_delay_alu instid0(SALU_CYCLE_1) | instskip(NEXT) | instid1(VALU_DEP_1)
	s_or_b32 exec_lo, exec_lo, s10
	v_dual_mul_f32 v10, s27, v2 :: v_dual_mov_b32 v21, v15
                                        ; implicit-def: $vgpr90
	s_mov_b32 s10, exec_lo
	s_delay_alu instid0(VALU_DEP_1) | instskip(SKIP_2) | instid1(VALU_DEP_3)
	v_and_b32_e32 v20, 0x7f800000, v10
	v_and_b32_e32 v14, 0x7fffff, v10
	v_lshrrev_b32_e32 v2, 24, v10
	v_cmpx_ne_u64_e32 0x7f800000, v[20:21]
	s_xor_b32 s28, exec_lo, s10
	s_cbranch_execz .LBB4_11015
; %bb.11002:                            ;   in Loop: Header=BB4_9783 Depth=2
	v_and_b32_e32 v20, 0x7fffffff, v10
	v_mov_b32_e32 v21, v15
	v_and_b32_e32 v2, 0x80, v2
                                        ; implicit-def: $vgpr90
	s_mov_b32 s10, exec_lo
	s_delay_alu instid0(VALU_DEP_2)
	v_cmpx_gt_u64_e32 0x47600001, v[20:21]
	s_xor_b32 s29, exec_lo, s10
	s_cbranch_execz .LBB4_11012
; %bb.11003:                            ;   in Loop: Header=BB4_9783 Depth=2
	v_mov_b32_e32 v90, 0
	s_mov_b32 s40, exec_lo
	v_cmpx_ne_u32_e32 0, v10
	s_cbranch_execz .LBB4_11011
; %bb.11004:                            ;   in Loop: Header=BB4_9783 Depth=2
	v_bfe_u32 v20, v10, 23, 8
	v_or_b32_e32 v24, 0x800000, v14
	s_mov_b32 s41, exec_lo
	s_delay_alu instid0(VALU_DEP_2) | instskip(SKIP_1) | instid1(VALU_DEP_2)
	v_dual_mov_b32 v87, v15 :: v_dual_sub_nc_u32 v10, 0x71, v20
	v_cmp_gt_u32_e32 vcc_lo, 0x72, v20
	v_cndmask_b32_e32 v10, 0, v10, vcc_lo
	v_cmp_eq_u32_e32 vcc_lo, 0, v20
	s_delay_alu instid0(VALU_DEP_2) | instskip(NEXT) | instid1(VALU_DEP_1)
	v_cndmask_b32_e64 v21, v10, 0x70, vcc_lo
	v_dual_cndmask_b32 v86, v24, v14, vcc_lo :: v_dual_add_nc_u32 v10, 21, v21
	v_add_nc_u32_e32 v25, 20, v21
	s_delay_alu instid0(VALU_DEP_2) | instskip(NEXT) | instid1(VALU_DEP_2)
	v_lshlrev_b64_e64 v[10:11], v10, -1
	v_lshlrev_b64_e64 v[90:91], v25, 1
	s_delay_alu instid0(VALU_DEP_2) | instskip(NEXT) | instid1(VALU_DEP_3)
	v_bfi_b32 v93, v11, 0, 0
	v_bfi_b32 v92, v10, 0, v86
	v_lshrrev_b64 v[10:11], v21, v[86:87]
	s_delay_alu instid0(VALU_DEP_1) | instskip(NEXT) | instid1(VALU_DEP_3)
	v_mov_b64_e32 v[86:87], v[10:11]
	v_cmpx_eq_u64_e64 v[92:93], v[90:91]
; %bb.11005:                            ;   in Loop: Header=BB4_9783 Depth=2
	v_bfe_u32 v86, v10, 21, 1
	v_mov_b32_e32 v87, v15
	s_delay_alu instid0(VALU_DEP_1) | instskip(NEXT) | instid1(VALU_DEP_1)
	v_add_nc_u64_e32 v[86:87], v[10:11], v[86:87]
	v_add_nc_u64_e32 v[86:87], -1, v[86:87]
; %bb.11006:                            ;   in Loop: Header=BB4_9783 Depth=2
	s_or_b32 exec_lo, exec_lo, s41
	v_add_nc_u32_e32 v11, 0xffffff81, v20
	v_lshrrev_b32_e32 v14, 23, v10
	s_mov_b32 s10, exec_lo
                                        ; implicit-def: $vgpr20
	s_delay_alu instid0(VALU_DEP_2) | instskip(NEXT) | instid1(VALU_DEP_1)
	v_cndmask_b32_e64 v11, v11, 0xffffff82, vcc_lo
	v_add3_u32 v21, v21, v11, v14
	v_and_b32_e32 v11, 0x1fffff, v86
	s_delay_alu instid0(VALU_DEP_1) | instskip(NEXT) | instid1(VALU_DEP_1)
	v_dual_add_nc_u32 v30, 14, v21 :: v_dual_add_nc_u32 v14, v11, v10
                                        ; implicit-def: $vgpr10_vgpr11
	v_cmpx_ne_u32_e32 0, v30
	s_xor_b32 s10, exec_lo, s10
; %bb.11007:                            ;   in Loop: Header=BB4_9783 Depth=2
	s_delay_alu instid0(VALU_DEP_2) | instskip(SKIP_1) | instid1(VALU_DEP_1)
	v_cmp_lt_u64_e32 vcc_lo, 0xffffff, v[14:15]
	v_add_nc_u32_e32 v10, 15, v21
	v_cndmask_b32_e32 v20, v30, v10, vcc_lo
	v_cndmask_b32_e64 v10, 0, 1, vcc_lo
	s_delay_alu instid0(VALU_DEP_1)
	v_lshrrev_b64 v[10:11], v10, v[14:15]
; %bb.11008:                            ;   in Loop: Header=BB4_9783 Depth=2
	s_and_not1_saveexec_b32 s10, s10
; %bb.11009:                            ;   in Loop: Header=BB4_9783 Depth=2
	v_mov_b64_e32 v[10:11], v[14:15]
	v_bfe_u32 v20, v14, 23, 1
; %bb.11010:                            ;   in Loop: Header=BB4_9783 Depth=2
	s_or_b32 exec_lo, exec_lo, s10
	s_delay_alu instid0(VALU_DEP_2) | instskip(NEXT) | instid1(VALU_DEP_2)
	v_lshrrev_b64 v[10:11], 21, v[10:11]
	v_cmp_gt_i32_e32 vcc_lo, 32, v20
	v_min_i32_e32 v14, 31, v20
	v_cmp_eq_u32_e64 s10, 0, v20
	s_delay_alu instid0(VALU_DEP_2) | instskip(SKIP_1) | instid1(VALU_DEP_2)
	v_dual_cndmask_b32 v11, 0, v11 :: v_dual_lshlrev_b32 v14, 2, v14
	v_cndmask_b32_e32 v10, 3, v10, vcc_lo
	v_and_b32_e32 v14, 0xfc, v14
	s_delay_alu instid0(VALU_DEP_2) | instskip(NEXT) | instid1(VALU_DEP_2)
	v_cmp_eq_u64_e32 vcc_lo, 0, v[10:11]
	v_and_or_b32 v10, v10, 3, v14
	s_and_b32 s10, s10, vcc_lo
	s_delay_alu instid0(VALU_DEP_1) | instid1(SALU_CYCLE_1)
	v_cndmask_b32_e64 v10, v10, 0, s10
	s_delay_alu instid0(VALU_DEP_1)
	v_or_b32_e32 v90, v10, v2
.LBB4_11011:                            ;   in Loop: Header=BB4_9783 Depth=2
	s_or_b32 exec_lo, exec_lo, s40
                                        ; implicit-def: $vgpr2
.LBB4_11012:                            ;   in Loop: Header=BB4_9783 Depth=2
	s_and_not1_saveexec_b32 s10, s29
; %bb.11013:                            ;   in Loop: Header=BB4_9783 Depth=2
	v_or_b32_e32 v90, 0x7b, v2
; %bb.11014:                            ;   in Loop: Header=BB4_9783 Depth=2
	s_or_b32 exec_lo, exec_lo, s10
                                        ; implicit-def: $vgpr10
                                        ; implicit-def: $vgpr2
.LBB4_11015:                            ;   in Loop: Header=BB4_9783 Depth=2
	s_and_not1_saveexec_b32 s10, s28
	s_cbranch_execz .LBB4_11021
; %bb.11016:                            ;   in Loop: Header=BB4_9783 Depth=2
	s_mov_b32 s28, exec_lo
                                        ; implicit-def: $vgpr90
	v_cmpx_ne_u64_e32 0, v[14:15]
	s_xor_b32 s28, exec_lo, s28
; %bb.11017:                            ;   in Loop: Header=BB4_9783 Depth=2
	v_or_b32_e32 v90, 0x7f, v2
                                        ; implicit-def: $vgpr10
; %bb.11018:                            ;   in Loop: Header=BB4_9783 Depth=2
	s_and_not1_saveexec_b32 s28, s28
; %bb.11019:                            ;   in Loop: Header=BB4_9783 Depth=2
	v_cmp_lt_i32_e32 vcc_lo, -1, v10
	v_cndmask_b32_e32 v90, 0xfc, v101, vcc_lo
; %bb.11020:                            ;   in Loop: Header=BB4_9783 Depth=2
	s_or_b32 exec_lo, exec_lo, s28
.LBB4_11021:                            ;   in Loop: Header=BB4_9783 Depth=2
	s_delay_alu instid0(SALU_CYCLE_1) | instskip(SKIP_3) | instid1(VALU_DEP_2)
	s_or_b32 exec_lo, exec_lo, s10
	v_lshrrev_b16 v10, 8, v12
	v_mov_b32_e32 v11, 0
	s_mov_b32 s10, exec_lo
	v_cmpx_ne_u16_e32 0, v10
	s_cbranch_execz .LBB4_11031
; %bb.11022:                            ;   in Loop: Header=BB4_9783 Depth=2
	v_bfrev_b32_e32 v11, 1
	s_mov_b32 s28, exec_lo
	v_cmpx_ne_u16_e32 0x80, v10
	s_cbranch_execz .LBB4_11030
; %bb.11023:                            ;   in Loop: Header=BB4_9783 Depth=2
	v_and_b32_e32 v14, 0xffff, v10
	s_delay_alu instid0(VALU_DEP_1) | instskip(SKIP_1) | instid1(VALU_DEP_2)
	v_and_b32_e32 v11, 0x7c, v14
	v_and_b32_e32 v2, 3, v14
	v_cmp_ne_u32_e32 vcc_lo, 0x7c, v11
                                        ; implicit-def: $vgpr11
	s_and_saveexec_b32 s29, vcc_lo
	s_delay_alu instid0(SALU_CYCLE_1)
	s_xor_b32 s29, exec_lo, s29
	s_cbranch_execz .LBB4_11027
; %bb.11024:                            ;   in Loop: Header=BB4_9783 Depth=2
	v_bfe_u32 v11, v14, 2, 5
	s_mov_b32 s40, exec_lo
	s_delay_alu instid0(VALU_DEP_1)
	v_cmpx_eq_u32_e32 0, v11
	s_cbranch_execz .LBB4_11026
; %bb.11025:                            ;   in Loop: Header=BB4_9783 Depth=2
	v_clz_i32_u32_e32 v2, v2
	v_mov_b32_e32 v11, v15
	s_delay_alu instid0(VALU_DEP_2) | instskip(NEXT) | instid1(VALU_DEP_1)
	v_min_u32_e32 v2, 32, v2
	v_subrev_nc_u32_e32 v14, 29, v2
	s_delay_alu instid0(VALU_DEP_1) | instskip(SKIP_1) | instid1(VALU_DEP_2)
	v_lshlrev_b64_e32 v[10:11], v14, v[10:11]
	v_sub_nc_u32_e32 v11, 30, v2
	v_and_b32_e32 v2, 3, v10
.LBB4_11026:                            ;   in Loop: Header=BB4_9783 Depth=2
	s_or_b32 exec_lo, exec_lo, s40
	v_lshlrev_b32_e32 v10, 16, v12
	s_delay_alu instid0(VALU_DEP_1) | instskip(NEXT) | instid1(VALU_DEP_1)
	v_and_b32_e32 v10, 0x80000000, v10
	v_lshl_add_u32 v10, v11, 23, v10
	s_delay_alu instid0(VALU_DEP_1) | instskip(NEXT) | instid1(VALU_DEP_1)
	v_lshl_or_b32 v2, v2, 21, v10
	v_add_nc_u32_e32 v11, 0x38000000, v2
                                        ; implicit-def: $vgpr2
.LBB4_11027:                            ;   in Loop: Header=BB4_9783 Depth=2
	s_and_not1_saveexec_b32 s29, s29
; %bb.11028:                            ;   in Loop: Header=BB4_9783 Depth=2
	v_cmp_lt_i16_e32 vcc_lo, -1, v12
	v_cndmask_b32_e32 v10, 0xff800000, v100, vcc_lo
	v_cmp_eq_u32_e32 vcc_lo, 0, v2
	s_delay_alu instid0(VALU_DEP_2)
	v_cndmask_b32_e32 v11, 0x7f800001, v10, vcc_lo
; %bb.11029:                            ;   in Loop: Header=BB4_9783 Depth=2
	s_or_b32 exec_lo, exec_lo, s29
.LBB4_11030:                            ;   in Loop: Header=BB4_9783 Depth=2
	s_delay_alu instid0(SALU_CYCLE_1)
	s_or_b32 exec_lo, exec_lo, s28
.LBB4_11031:                            ;   in Loop: Header=BB4_9783 Depth=2
	s_delay_alu instid0(SALU_CYCLE_1) | instskip(NEXT) | instid1(VALU_DEP_1)
	s_or_b32 exec_lo, exec_lo, s10
	v_dual_mul_f32 v10, s27, v11 :: v_dual_mov_b32 v21, v15
                                        ; implicit-def: $vgpr91
	s_mov_b32 s10, exec_lo
	s_delay_alu instid0(VALU_DEP_1) | instskip(SKIP_2) | instid1(VALU_DEP_3)
	v_and_b32_e32 v20, 0x7f800000, v10
	v_and_b32_e32 v14, 0x7fffff, v10
	v_lshrrev_b32_e32 v2, 24, v10
	v_cmpx_ne_u64_e32 0x7f800000, v[20:21]
	s_xor_b32 s28, exec_lo, s10
	s_cbranch_execz .LBB4_11045
; %bb.11032:                            ;   in Loop: Header=BB4_9783 Depth=2
	v_and_b32_e32 v20, 0x7fffffff, v10
	v_mov_b32_e32 v21, v15
	v_and_b32_e32 v2, 0x80, v2
                                        ; implicit-def: $vgpr91
	s_mov_b32 s10, exec_lo
	s_delay_alu instid0(VALU_DEP_2)
	v_cmpx_gt_u64_e32 0x47600001, v[20:21]
	s_xor_b32 s29, exec_lo, s10
	s_cbranch_execz .LBB4_11042
; %bb.11033:                            ;   in Loop: Header=BB4_9783 Depth=2
	v_mov_b32_e32 v91, 0
	s_mov_b32 s40, exec_lo
	v_cmpx_ne_u32_e32 0, v10
	s_cbranch_execz .LBB4_11041
; %bb.11034:                            ;   in Loop: Header=BB4_9783 Depth=2
	v_bfe_u32 v20, v10, 23, 8
	v_or_b32_e32 v24, 0x800000, v14
	s_mov_b32 s41, exec_lo
	s_delay_alu instid0(VALU_DEP_2) | instskip(SKIP_1) | instid1(VALU_DEP_2)
	v_dual_mov_b32 v87, v15 :: v_dual_sub_nc_u32 v10, 0x71, v20
	v_cmp_gt_u32_e32 vcc_lo, 0x72, v20
	v_cndmask_b32_e32 v10, 0, v10, vcc_lo
	v_cmp_eq_u32_e32 vcc_lo, 0, v20
	s_delay_alu instid0(VALU_DEP_2) | instskip(NEXT) | instid1(VALU_DEP_1)
	v_cndmask_b32_e64 v21, v10, 0x70, vcc_lo
	v_dual_cndmask_b32 v86, v24, v14, vcc_lo :: v_dual_add_nc_u32 v10, 21, v21
	v_add_nc_u32_e32 v25, 20, v21
	s_delay_alu instid0(VALU_DEP_2) | instskip(NEXT) | instid1(VALU_DEP_2)
	v_lshlrev_b64_e64 v[10:11], v10, -1
	v_lshlrev_b64_e64 v[92:93], v25, 1
	s_delay_alu instid0(VALU_DEP_2) | instskip(NEXT) | instid1(VALU_DEP_3)
	v_bfi_b32 v95, v11, 0, 0
	v_bfi_b32 v94, v10, 0, v86
	v_lshrrev_b64 v[10:11], v21, v[86:87]
	s_delay_alu instid0(VALU_DEP_1) | instskip(NEXT) | instid1(VALU_DEP_3)
	v_mov_b64_e32 v[86:87], v[10:11]
	v_cmpx_eq_u64_e64 v[94:95], v[92:93]
; %bb.11035:                            ;   in Loop: Header=BB4_9783 Depth=2
	v_bfe_u32 v86, v10, 21, 1
	v_mov_b32_e32 v87, v15
	s_delay_alu instid0(VALU_DEP_1) | instskip(NEXT) | instid1(VALU_DEP_1)
	v_add_nc_u64_e32 v[86:87], v[10:11], v[86:87]
	v_add_nc_u64_e32 v[86:87], -1, v[86:87]
; %bb.11036:                            ;   in Loop: Header=BB4_9783 Depth=2
	s_or_b32 exec_lo, exec_lo, s41
	v_add_nc_u32_e32 v11, 0xffffff81, v20
	v_lshrrev_b32_e32 v14, 23, v10
	s_mov_b32 s10, exec_lo
                                        ; implicit-def: $vgpr20
	s_delay_alu instid0(VALU_DEP_2) | instskip(NEXT) | instid1(VALU_DEP_1)
	v_cndmask_b32_e64 v11, v11, 0xffffff82, vcc_lo
	v_add3_u32 v21, v21, v11, v14
	v_and_b32_e32 v11, 0x1fffff, v86
	s_delay_alu instid0(VALU_DEP_1) | instskip(NEXT) | instid1(VALU_DEP_1)
	v_dual_add_nc_u32 v30, 14, v21 :: v_dual_add_nc_u32 v14, v11, v10
                                        ; implicit-def: $vgpr10_vgpr11
	v_cmpx_ne_u32_e32 0, v30
	s_xor_b32 s10, exec_lo, s10
; %bb.11037:                            ;   in Loop: Header=BB4_9783 Depth=2
	s_delay_alu instid0(VALU_DEP_2) | instskip(SKIP_1) | instid1(VALU_DEP_1)
	v_cmp_lt_u64_e32 vcc_lo, 0xffffff, v[14:15]
	v_add_nc_u32_e32 v10, 15, v21
	v_cndmask_b32_e32 v20, v30, v10, vcc_lo
	v_cndmask_b32_e64 v10, 0, 1, vcc_lo
	s_delay_alu instid0(VALU_DEP_1)
	v_lshrrev_b64 v[10:11], v10, v[14:15]
; %bb.11038:                            ;   in Loop: Header=BB4_9783 Depth=2
	s_and_not1_saveexec_b32 s10, s10
; %bb.11039:                            ;   in Loop: Header=BB4_9783 Depth=2
	v_mov_b64_e32 v[10:11], v[14:15]
	v_bfe_u32 v20, v14, 23, 1
; %bb.11040:                            ;   in Loop: Header=BB4_9783 Depth=2
	s_or_b32 exec_lo, exec_lo, s10
	s_delay_alu instid0(VALU_DEP_2) | instskip(NEXT) | instid1(VALU_DEP_2)
	v_lshrrev_b64 v[10:11], 21, v[10:11]
	v_cmp_gt_i32_e32 vcc_lo, 32, v20
	v_min_i32_e32 v14, 31, v20
	v_cmp_eq_u32_e64 s10, 0, v20
	s_delay_alu instid0(VALU_DEP_2) | instskip(SKIP_1) | instid1(VALU_DEP_2)
	v_dual_cndmask_b32 v11, 0, v11 :: v_dual_lshlrev_b32 v14, 2, v14
	v_cndmask_b32_e32 v10, 3, v10, vcc_lo
	v_and_b32_e32 v14, 0xfc, v14
	s_delay_alu instid0(VALU_DEP_2) | instskip(NEXT) | instid1(VALU_DEP_2)
	v_cmp_eq_u64_e32 vcc_lo, 0, v[10:11]
	v_and_or_b32 v10, v10, 3, v14
	s_and_b32 s10, s10, vcc_lo
	s_delay_alu instid0(VALU_DEP_1) | instid1(SALU_CYCLE_1)
	v_cndmask_b32_e64 v10, v10, 0, s10
	s_delay_alu instid0(VALU_DEP_1)
	v_or_b32_e32 v91, v10, v2
.LBB4_11041:                            ;   in Loop: Header=BB4_9783 Depth=2
	s_or_b32 exec_lo, exec_lo, s40
                                        ; implicit-def: $vgpr2
.LBB4_11042:                            ;   in Loop: Header=BB4_9783 Depth=2
	s_and_not1_saveexec_b32 s10, s29
; %bb.11043:                            ;   in Loop: Header=BB4_9783 Depth=2
	v_or_b32_e32 v91, 0x7b, v2
; %bb.11044:                            ;   in Loop: Header=BB4_9783 Depth=2
	s_or_b32 exec_lo, exec_lo, s10
                                        ; implicit-def: $vgpr10
                                        ; implicit-def: $vgpr2
.LBB4_11045:                            ;   in Loop: Header=BB4_9783 Depth=2
	s_and_not1_saveexec_b32 s10, s28
	s_cbranch_execz .LBB4_11051
; %bb.11046:                            ;   in Loop: Header=BB4_9783 Depth=2
	s_mov_b32 s28, exec_lo
                                        ; implicit-def: $vgpr91
	v_cmpx_ne_u64_e32 0, v[14:15]
	s_xor_b32 s28, exec_lo, s28
; %bb.11047:                            ;   in Loop: Header=BB4_9783 Depth=2
	v_or_b32_e32 v91, 0x7f, v2
                                        ; implicit-def: $vgpr10
; %bb.11048:                            ;   in Loop: Header=BB4_9783 Depth=2
	s_and_not1_saveexec_b32 s28, s28
; %bb.11049:                            ;   in Loop: Header=BB4_9783 Depth=2
	v_cmp_lt_i32_e32 vcc_lo, -1, v10
	v_cndmask_b32_e32 v91, 0xfc, v101, vcc_lo
; %bb.11050:                            ;   in Loop: Header=BB4_9783 Depth=2
	s_or_b32 exec_lo, exec_lo, s28
.LBB4_11051:                            ;   in Loop: Header=BB4_9783 Depth=2
	s_delay_alu instid0(SALU_CYCLE_1) | instskip(SKIP_2) | instid1(VALU_DEP_1)
	s_or_b32 exec_lo, exec_lo, s10
	v_dual_mov_b32 v11, 0 :: v_dual_lshrrev_b32 v10, 16, v12
	s_mov_b32 s10, exec_lo
	v_and_b32_e32 v2, 0xff, v10
	s_delay_alu instid0(VALU_DEP_1)
	v_cmpx_ne_u16_e32 0, v2
	s_cbranch_execz .LBB4_11061
; %bb.11052:                            ;   in Loop: Header=BB4_9783 Depth=2
	v_bfrev_b32_e32 v11, 1
	s_mov_b32 s28, exec_lo
	v_cmpx_ne_u16_e32 0x80, v2
	s_cbranch_execz .LBB4_11060
; %bb.11053:                            ;   in Loop: Header=BB4_9783 Depth=2
	v_and_b32_e32 v11, 0x7c0000, v12
	v_bfe_u32 v2, v12, 16, 2
	s_delay_alu instid0(VALU_DEP_2) | instskip(SKIP_1) | instid1(SALU_CYCLE_1)
	v_cmp_ne_u32_e32 vcc_lo, 0x7c0000, v11
                                        ; implicit-def: $vgpr11
	s_and_saveexec_b32 s29, vcc_lo
	s_xor_b32 s29, exec_lo, s29
	s_cbranch_execz .LBB4_11057
; %bb.11054:                            ;   in Loop: Header=BB4_9783 Depth=2
	v_bfe_u32 v11, v12, 18, 5
	s_mov_b32 s40, exec_lo
	s_delay_alu instid0(VALU_DEP_1)
	v_cmpx_eq_u32_e32 0, v11
; %bb.11055:                            ;   in Loop: Header=BB4_9783 Depth=2
	v_clz_i32_u32_e32 v2, v2
	s_delay_alu instid0(VALU_DEP_1) | instskip(NEXT) | instid1(VALU_DEP_1)
	v_min_u32_e32 v2, 32, v2
	v_subrev_nc_u32_e32 v11, 29, v2
	s_delay_alu instid0(VALU_DEP_1) | instskip(NEXT) | instid1(VALU_DEP_1)
	v_lshlrev_b64_e32 v[20:21], v11, v[10:11]
	v_dual_sub_nc_u32 v11, 30, v2 :: v_dual_bitop2_b32 v2, 3, v20 bitop3:0x40
; %bb.11056:                            ;   in Loop: Header=BB4_9783 Depth=2
	s_or_b32 exec_lo, exec_lo, s40
	v_lshlrev_b32_e32 v10, 24, v10
	s_delay_alu instid0(VALU_DEP_1) | instskip(NEXT) | instid1(VALU_DEP_1)
	v_and_b32_e32 v10, 0x80000000, v10
	v_lshl_add_u32 v10, v11, 23, v10
	s_delay_alu instid0(VALU_DEP_1) | instskip(NEXT) | instid1(VALU_DEP_1)
	v_lshl_or_b32 v2, v2, 21, v10
                                        ; implicit-def: $vgpr10
	v_add_nc_u32_e32 v11, 0x38000000, v2
                                        ; implicit-def: $vgpr2
.LBB4_11057:                            ;   in Loop: Header=BB4_9783 Depth=2
	s_and_not1_saveexec_b32 s29, s29
; %bb.11058:                            ;   in Loop: Header=BB4_9783 Depth=2
	v_bfe_i32 v10, v10, 0, 8
	s_delay_alu instid0(VALU_DEP_1) | instskip(SKIP_2) | instid1(VALU_DEP_2)
	v_cmp_lt_i16_e32 vcc_lo, -1, v10
	v_cndmask_b32_e32 v10, 0xff800000, v100, vcc_lo
	v_cmp_eq_u32_e32 vcc_lo, 0, v2
	v_cndmask_b32_e32 v11, 0x7f800001, v10, vcc_lo
; %bb.11059:                            ;   in Loop: Header=BB4_9783 Depth=2
	s_or_b32 exec_lo, exec_lo, s29
.LBB4_11060:                            ;   in Loop: Header=BB4_9783 Depth=2
	s_delay_alu instid0(SALU_CYCLE_1)
	s_or_b32 exec_lo, exec_lo, s28
.LBB4_11061:                            ;   in Loop: Header=BB4_9783 Depth=2
	s_delay_alu instid0(SALU_CYCLE_1) | instskip(NEXT) | instid1(VALU_DEP_1)
	s_or_b32 exec_lo, exec_lo, s10
	v_dual_mul_f32 v10, s27, v11 :: v_dual_mov_b32 v21, v15
                                        ; implicit-def: $vgpr92
	s_mov_b32 s10, exec_lo
	s_delay_alu instid0(VALU_DEP_1) | instskip(SKIP_2) | instid1(VALU_DEP_3)
	v_and_b32_e32 v20, 0x7f800000, v10
	v_and_b32_e32 v14, 0x7fffff, v10
	v_lshrrev_b32_e32 v2, 24, v10
	v_cmpx_ne_u64_e32 0x7f800000, v[20:21]
	s_xor_b32 s28, exec_lo, s10
	s_cbranch_execz .LBB4_11075
; %bb.11062:                            ;   in Loop: Header=BB4_9783 Depth=2
	v_and_b32_e32 v20, 0x7fffffff, v10
	v_mov_b32_e32 v21, v15
	v_and_b32_e32 v2, 0x80, v2
                                        ; implicit-def: $vgpr92
	s_mov_b32 s10, exec_lo
	s_delay_alu instid0(VALU_DEP_2)
	v_cmpx_gt_u64_e32 0x47600001, v[20:21]
	s_xor_b32 s29, exec_lo, s10
	s_cbranch_execz .LBB4_11072
; %bb.11063:                            ;   in Loop: Header=BB4_9783 Depth=2
	v_mov_b32_e32 v92, 0
	s_mov_b32 s40, exec_lo
	v_cmpx_ne_u32_e32 0, v10
	s_cbranch_execz .LBB4_11071
; %bb.11064:                            ;   in Loop: Header=BB4_9783 Depth=2
	v_bfe_u32 v20, v10, 23, 8
	v_or_b32_e32 v24, 0x800000, v14
	s_mov_b32 s41, exec_lo
	s_delay_alu instid0(VALU_DEP_2) | instskip(SKIP_1) | instid1(VALU_DEP_2)
	v_dual_mov_b32 v87, v15 :: v_dual_sub_nc_u32 v10, 0x71, v20
	v_cmp_gt_u32_e32 vcc_lo, 0x72, v20
	v_cndmask_b32_e32 v10, 0, v10, vcc_lo
	v_cmp_eq_u32_e32 vcc_lo, 0, v20
	s_delay_alu instid0(VALU_DEP_2) | instskip(NEXT) | instid1(VALU_DEP_1)
	v_cndmask_b32_e64 v21, v10, 0x70, vcc_lo
	v_dual_cndmask_b32 v86, v24, v14, vcc_lo :: v_dual_add_nc_u32 v10, 21, v21
	v_add_nc_u32_e32 v25, 20, v21
	s_delay_alu instid0(VALU_DEP_2) | instskip(NEXT) | instid1(VALU_DEP_2)
	v_lshlrev_b64_e64 v[10:11], v10, -1
	v_lshlrev_b64_e64 v[92:93], v25, 1
	s_delay_alu instid0(VALU_DEP_2) | instskip(NEXT) | instid1(VALU_DEP_3)
	v_bfi_b32 v95, v11, 0, 0
	v_bfi_b32 v94, v10, 0, v86
	v_lshrrev_b64 v[10:11], v21, v[86:87]
	s_delay_alu instid0(VALU_DEP_1) | instskip(NEXT) | instid1(VALU_DEP_3)
	v_mov_b64_e32 v[86:87], v[10:11]
	v_cmpx_eq_u64_e64 v[94:95], v[92:93]
; %bb.11065:                            ;   in Loop: Header=BB4_9783 Depth=2
	v_bfe_u32 v86, v10, 21, 1
	v_mov_b32_e32 v87, v15
	s_delay_alu instid0(VALU_DEP_1) | instskip(NEXT) | instid1(VALU_DEP_1)
	v_add_nc_u64_e32 v[86:87], v[10:11], v[86:87]
	v_add_nc_u64_e32 v[86:87], -1, v[86:87]
; %bb.11066:                            ;   in Loop: Header=BB4_9783 Depth=2
	s_or_b32 exec_lo, exec_lo, s41
	v_add_nc_u32_e32 v11, 0xffffff81, v20
	v_lshrrev_b32_e32 v14, 23, v10
	s_mov_b32 s10, exec_lo
                                        ; implicit-def: $vgpr20
	s_delay_alu instid0(VALU_DEP_2) | instskip(NEXT) | instid1(VALU_DEP_1)
	v_cndmask_b32_e64 v11, v11, 0xffffff82, vcc_lo
	v_add3_u32 v21, v21, v11, v14
	v_and_b32_e32 v11, 0x1fffff, v86
	s_delay_alu instid0(VALU_DEP_1) | instskip(NEXT) | instid1(VALU_DEP_1)
	v_dual_add_nc_u32 v30, 14, v21 :: v_dual_add_nc_u32 v14, v11, v10
                                        ; implicit-def: $vgpr10_vgpr11
	v_cmpx_ne_u32_e32 0, v30
	s_xor_b32 s10, exec_lo, s10
; %bb.11067:                            ;   in Loop: Header=BB4_9783 Depth=2
	s_delay_alu instid0(VALU_DEP_2) | instskip(SKIP_1) | instid1(VALU_DEP_1)
	v_cmp_lt_u64_e32 vcc_lo, 0xffffff, v[14:15]
	v_add_nc_u32_e32 v10, 15, v21
	v_cndmask_b32_e32 v20, v30, v10, vcc_lo
	v_cndmask_b32_e64 v10, 0, 1, vcc_lo
	s_delay_alu instid0(VALU_DEP_1)
	v_lshrrev_b64 v[10:11], v10, v[14:15]
; %bb.11068:                            ;   in Loop: Header=BB4_9783 Depth=2
	s_and_not1_saveexec_b32 s10, s10
; %bb.11069:                            ;   in Loop: Header=BB4_9783 Depth=2
	v_mov_b64_e32 v[10:11], v[14:15]
	v_bfe_u32 v20, v14, 23, 1
; %bb.11070:                            ;   in Loop: Header=BB4_9783 Depth=2
	s_or_b32 exec_lo, exec_lo, s10
	s_delay_alu instid0(VALU_DEP_2) | instskip(NEXT) | instid1(VALU_DEP_2)
	v_lshrrev_b64 v[10:11], 21, v[10:11]
	v_cmp_gt_i32_e32 vcc_lo, 32, v20
	v_min_i32_e32 v14, 31, v20
	v_cmp_eq_u32_e64 s10, 0, v20
	s_delay_alu instid0(VALU_DEP_2) | instskip(SKIP_1) | instid1(VALU_DEP_2)
	v_dual_cndmask_b32 v11, 0, v11 :: v_dual_lshlrev_b32 v14, 2, v14
	v_cndmask_b32_e32 v10, 3, v10, vcc_lo
	v_and_b32_e32 v14, 0xfc, v14
	s_delay_alu instid0(VALU_DEP_2) | instskip(NEXT) | instid1(VALU_DEP_2)
	v_cmp_eq_u64_e32 vcc_lo, 0, v[10:11]
	v_and_or_b32 v10, v10, 3, v14
	s_and_b32 s10, s10, vcc_lo
	s_delay_alu instid0(VALU_DEP_1) | instid1(SALU_CYCLE_1)
	v_cndmask_b32_e64 v10, v10, 0, s10
	s_delay_alu instid0(VALU_DEP_1)
	v_or_b32_e32 v92, v10, v2
.LBB4_11071:                            ;   in Loop: Header=BB4_9783 Depth=2
	s_or_b32 exec_lo, exec_lo, s40
                                        ; implicit-def: $vgpr2
.LBB4_11072:                            ;   in Loop: Header=BB4_9783 Depth=2
	s_and_not1_saveexec_b32 s10, s29
; %bb.11073:                            ;   in Loop: Header=BB4_9783 Depth=2
	v_or_b32_e32 v92, 0x7b, v2
; %bb.11074:                            ;   in Loop: Header=BB4_9783 Depth=2
	s_or_b32 exec_lo, exec_lo, s10
                                        ; implicit-def: $vgpr10
                                        ; implicit-def: $vgpr2
.LBB4_11075:                            ;   in Loop: Header=BB4_9783 Depth=2
	s_and_not1_saveexec_b32 s10, s28
	s_cbranch_execz .LBB4_11081
; %bb.11076:                            ;   in Loop: Header=BB4_9783 Depth=2
	s_mov_b32 s28, exec_lo
                                        ; implicit-def: $vgpr92
	v_cmpx_ne_u64_e32 0, v[14:15]
	s_xor_b32 s28, exec_lo, s28
; %bb.11077:                            ;   in Loop: Header=BB4_9783 Depth=2
	v_or_b32_e32 v92, 0x7f, v2
                                        ; implicit-def: $vgpr10
; %bb.11078:                            ;   in Loop: Header=BB4_9783 Depth=2
	s_and_not1_saveexec_b32 s28, s28
; %bb.11079:                            ;   in Loop: Header=BB4_9783 Depth=2
	v_cmp_lt_i32_e32 vcc_lo, -1, v10
	v_cndmask_b32_e32 v92, 0xfc, v101, vcc_lo
; %bb.11080:                            ;   in Loop: Header=BB4_9783 Depth=2
	s_or_b32 exec_lo, exec_lo, s28
.LBB4_11081:                            ;   in Loop: Header=BB4_9783 Depth=2
	s_delay_alu instid0(SALU_CYCLE_1)
	s_or_b32 exec_lo, exec_lo, s10
	v_mov_b32_e32 v2, 0
	s_mov_b32 s10, exec_lo
	v_cmpx_lt_u32_e32 0xffffff, v12
	s_cbranch_execz .LBB4_11091
; %bb.11082:                            ;   in Loop: Header=BB4_9783 Depth=2
	v_lshrrev_b32_e32 v10, 24, v12
	v_bfrev_b32_e32 v2, 1
	s_mov_b32 s28, exec_lo
	s_delay_alu instid0(VALU_DEP_2)
	v_cmpx_ne_u32_e32 0x80, v10
	s_cbranch_execz .LBB4_11090
; %bb.11083:                            ;   in Loop: Header=BB4_9783 Depth=2
	v_and_b32_e32 v2, 0x7c000000, v12
	v_bfe_u32 v11, v12, 24, 2
	s_delay_alu instid0(VALU_DEP_2) | instskip(SKIP_1) | instid1(SALU_CYCLE_1)
	v_cmp_ne_u32_e32 vcc_lo, 0x7c000000, v2
                                        ; implicit-def: $vgpr2
	s_and_saveexec_b32 s29, vcc_lo
	s_xor_b32 s29, exec_lo, s29
	s_cbranch_execz .LBB4_11087
; %bb.11084:                            ;   in Loop: Header=BB4_9783 Depth=2
	v_bfe_u32 v2, v12, 26, 5
	s_mov_b32 s40, exec_lo
	s_delay_alu instid0(VALU_DEP_1)
	v_cmpx_eq_u32_e32 0, v2
; %bb.11085:                            ;   in Loop: Header=BB4_9783 Depth=2
	v_clz_i32_u32_e32 v2, v11
	s_delay_alu instid0(VALU_DEP_1) | instskip(NEXT) | instid1(VALU_DEP_1)
	v_min_u32_e32 v2, 32, v2
	v_subrev_nc_u32_e32 v11, 29, v2
	v_sub_nc_u32_e32 v2, 30, v2
	s_delay_alu instid0(VALU_DEP_2) | instskip(NEXT) | instid1(VALU_DEP_1)
	v_lshlrev_b64_e32 v[10:11], v11, v[10:11]
	v_and_b32_e32 v11, 3, v10
; %bb.11086:                            ;   in Loop: Header=BB4_9783 Depth=2
	s_or_b32 exec_lo, exec_lo, s40
	v_and_b32_e32 v10, 0x80000000, v12
	s_delay_alu instid0(VALU_DEP_1) | instskip(NEXT) | instid1(VALU_DEP_1)
	v_lshl_add_u32 v2, v2, 23, v10
	v_lshl_or_b32 v2, v11, 21, v2
                                        ; implicit-def: $vgpr11
	s_delay_alu instid0(VALU_DEP_1)
	v_add_nc_u32_e32 v2, 0x38000000, v2
.LBB4_11087:                            ;   in Loop: Header=BB4_9783 Depth=2
	s_and_not1_saveexec_b32 s29, s29
; %bb.11088:                            ;   in Loop: Header=BB4_9783 Depth=2
	v_cmp_lt_i32_e32 vcc_lo, -1, v12
	v_cndmask_b32_e32 v2, 0xff800000, v100, vcc_lo
	v_cmp_eq_u32_e32 vcc_lo, 0, v11
	s_delay_alu instid0(VALU_DEP_2)
	v_cndmask_b32_e32 v2, 0x7f800001, v2, vcc_lo
; %bb.11089:                            ;   in Loop: Header=BB4_9783 Depth=2
	s_or_b32 exec_lo, exec_lo, s29
.LBB4_11090:                            ;   in Loop: Header=BB4_9783 Depth=2
	s_delay_alu instid0(SALU_CYCLE_1)
	s_or_b32 exec_lo, exec_lo, s28
.LBB4_11091:                            ;   in Loop: Header=BB4_9783 Depth=2
	s_delay_alu instid0(SALU_CYCLE_1) | instskip(NEXT) | instid1(VALU_DEP_1)
	s_or_b32 exec_lo, exec_lo, s10
	v_dual_mul_f32 v10, s27, v2 :: v_dual_mov_b32 v21, v15
                                        ; implicit-def: $vgpr93
	s_mov_b32 s10, exec_lo
	s_delay_alu instid0(VALU_DEP_1) | instskip(SKIP_2) | instid1(VALU_DEP_3)
	v_and_b32_e32 v20, 0x7f800000, v10
	v_and_b32_e32 v14, 0x7fffff, v10
	v_lshrrev_b32_e32 v2, 24, v10
	v_cmpx_ne_u64_e32 0x7f800000, v[20:21]
	s_xor_b32 s28, exec_lo, s10
	s_cbranch_execz .LBB4_11105
; %bb.11092:                            ;   in Loop: Header=BB4_9783 Depth=2
	v_and_b32_e32 v20, 0x7fffffff, v10
	v_mov_b32_e32 v21, v15
	v_and_b32_e32 v2, 0x80, v2
                                        ; implicit-def: $vgpr93
	s_mov_b32 s10, exec_lo
	s_delay_alu instid0(VALU_DEP_2)
	v_cmpx_gt_u64_e32 0x47600001, v[20:21]
	s_xor_b32 s29, exec_lo, s10
	s_cbranch_execz .LBB4_11102
; %bb.11093:                            ;   in Loop: Header=BB4_9783 Depth=2
	v_mov_b32_e32 v93, 0
	s_mov_b32 s40, exec_lo
	v_cmpx_ne_u32_e32 0, v10
	s_cbranch_execz .LBB4_11101
; %bb.11094:                            ;   in Loop: Header=BB4_9783 Depth=2
	v_bfe_u32 v20, v10, 23, 8
	v_or_b32_e32 v24, 0x800000, v14
	s_mov_b32 s41, exec_lo
	s_delay_alu instid0(VALU_DEP_2) | instskip(SKIP_1) | instid1(VALU_DEP_2)
	v_dual_mov_b32 v87, v15 :: v_dual_sub_nc_u32 v10, 0x71, v20
	v_cmp_gt_u32_e32 vcc_lo, 0x72, v20
	v_cndmask_b32_e32 v10, 0, v10, vcc_lo
	v_cmp_eq_u32_e32 vcc_lo, 0, v20
	s_delay_alu instid0(VALU_DEP_2) | instskip(NEXT) | instid1(VALU_DEP_1)
	v_cndmask_b32_e64 v21, v10, 0x70, vcc_lo
	v_dual_cndmask_b32 v86, v24, v14, vcc_lo :: v_dual_add_nc_u32 v10, 21, v21
	v_add_nc_u32_e32 v25, 20, v21
	s_delay_alu instid0(VALU_DEP_2) | instskip(NEXT) | instid1(VALU_DEP_2)
	v_lshlrev_b64_e64 v[10:11], v10, -1
	v_lshlrev_b64_e64 v[94:95], v25, 1
	s_delay_alu instid0(VALU_DEP_2) | instskip(NEXT) | instid1(VALU_DEP_3)
	v_bfi_b32 v105, v11, 0, 0
	v_bfi_b32 v104, v10, 0, v86
	v_lshrrev_b64 v[10:11], v21, v[86:87]
	s_delay_alu instid0(VALU_DEP_1) | instskip(NEXT) | instid1(VALU_DEP_3)
	v_mov_b64_e32 v[86:87], v[10:11]
	v_cmpx_eq_u64_e64 v[104:105], v[94:95]
; %bb.11095:                            ;   in Loop: Header=BB4_9783 Depth=2
	v_bfe_u32 v86, v10, 21, 1
	v_mov_b32_e32 v87, v15
	s_delay_alu instid0(VALU_DEP_1) | instskip(NEXT) | instid1(VALU_DEP_1)
	v_add_nc_u64_e32 v[86:87], v[10:11], v[86:87]
	v_add_nc_u64_e32 v[86:87], -1, v[86:87]
; %bb.11096:                            ;   in Loop: Header=BB4_9783 Depth=2
	s_or_b32 exec_lo, exec_lo, s41
	v_add_nc_u32_e32 v11, 0xffffff81, v20
	v_lshrrev_b32_e32 v14, 23, v10
	s_mov_b32 s10, exec_lo
                                        ; implicit-def: $vgpr20
	s_delay_alu instid0(VALU_DEP_2) | instskip(NEXT) | instid1(VALU_DEP_1)
	v_cndmask_b32_e64 v11, v11, 0xffffff82, vcc_lo
	v_add3_u32 v21, v21, v11, v14
	v_and_b32_e32 v11, 0x1fffff, v86
	s_delay_alu instid0(VALU_DEP_1) | instskip(NEXT) | instid1(VALU_DEP_1)
	v_dual_add_nc_u32 v30, 14, v21 :: v_dual_add_nc_u32 v14, v11, v10
                                        ; implicit-def: $vgpr10_vgpr11
	v_cmpx_ne_u32_e32 0, v30
	s_xor_b32 s10, exec_lo, s10
; %bb.11097:                            ;   in Loop: Header=BB4_9783 Depth=2
	s_delay_alu instid0(VALU_DEP_2) | instskip(SKIP_1) | instid1(VALU_DEP_1)
	v_cmp_lt_u64_e32 vcc_lo, 0xffffff, v[14:15]
	v_add_nc_u32_e32 v10, 15, v21
	v_cndmask_b32_e32 v20, v30, v10, vcc_lo
	v_cndmask_b32_e64 v10, 0, 1, vcc_lo
	s_delay_alu instid0(VALU_DEP_1)
	v_lshrrev_b64 v[10:11], v10, v[14:15]
; %bb.11098:                            ;   in Loop: Header=BB4_9783 Depth=2
	s_and_not1_saveexec_b32 s10, s10
; %bb.11099:                            ;   in Loop: Header=BB4_9783 Depth=2
	v_mov_b64_e32 v[10:11], v[14:15]
	v_bfe_u32 v20, v14, 23, 1
; %bb.11100:                            ;   in Loop: Header=BB4_9783 Depth=2
	s_or_b32 exec_lo, exec_lo, s10
	s_delay_alu instid0(VALU_DEP_2) | instskip(NEXT) | instid1(VALU_DEP_2)
	v_lshrrev_b64 v[10:11], 21, v[10:11]
	v_cmp_gt_i32_e32 vcc_lo, 32, v20
	v_min_i32_e32 v14, 31, v20
	v_cmp_eq_u32_e64 s10, 0, v20
	s_delay_alu instid0(VALU_DEP_2) | instskip(SKIP_1) | instid1(VALU_DEP_2)
	v_dual_cndmask_b32 v11, 0, v11 :: v_dual_lshlrev_b32 v14, 2, v14
	v_cndmask_b32_e32 v10, 3, v10, vcc_lo
	v_and_b32_e32 v14, 0xfc, v14
	s_delay_alu instid0(VALU_DEP_2) | instskip(NEXT) | instid1(VALU_DEP_2)
	v_cmp_eq_u64_e32 vcc_lo, 0, v[10:11]
	v_and_or_b32 v10, v10, 3, v14
	s_and_b32 s10, s10, vcc_lo
	s_delay_alu instid0(VALU_DEP_1) | instid1(SALU_CYCLE_1)
	v_cndmask_b32_e64 v10, v10, 0, s10
	s_delay_alu instid0(VALU_DEP_1)
	v_or_b32_e32 v93, v10, v2
.LBB4_11101:                            ;   in Loop: Header=BB4_9783 Depth=2
	s_or_b32 exec_lo, exec_lo, s40
                                        ; implicit-def: $vgpr2
.LBB4_11102:                            ;   in Loop: Header=BB4_9783 Depth=2
	s_and_not1_saveexec_b32 s10, s29
; %bb.11103:                            ;   in Loop: Header=BB4_9783 Depth=2
	v_or_b32_e32 v93, 0x7b, v2
; %bb.11104:                            ;   in Loop: Header=BB4_9783 Depth=2
	s_or_b32 exec_lo, exec_lo, s10
                                        ; implicit-def: $vgpr10
                                        ; implicit-def: $vgpr2
.LBB4_11105:                            ;   in Loop: Header=BB4_9783 Depth=2
	s_and_not1_saveexec_b32 s10, s28
	s_cbranch_execz .LBB4_11111
; %bb.11106:                            ;   in Loop: Header=BB4_9783 Depth=2
	s_mov_b32 s28, exec_lo
                                        ; implicit-def: $vgpr93
	v_cmpx_ne_u64_e32 0, v[14:15]
	s_xor_b32 s28, exec_lo, s28
; %bb.11107:                            ;   in Loop: Header=BB4_9783 Depth=2
	v_or_b32_e32 v93, 0x7f, v2
                                        ; implicit-def: $vgpr10
; %bb.11108:                            ;   in Loop: Header=BB4_9783 Depth=2
	s_and_not1_saveexec_b32 s28, s28
; %bb.11109:                            ;   in Loop: Header=BB4_9783 Depth=2
	v_cmp_lt_i32_e32 vcc_lo, -1, v10
	v_cndmask_b32_e32 v93, 0xfc, v101, vcc_lo
; %bb.11110:                            ;   in Loop: Header=BB4_9783 Depth=2
	s_or_b32 exec_lo, exec_lo, s28
.LBB4_11111:                            ;   in Loop: Header=BB4_9783 Depth=2
	s_delay_alu instid0(SALU_CYCLE_1) | instskip(SKIP_3) | instid1(VALU_DEP_2)
	s_or_b32 exec_lo, exec_lo, s10
	v_and_b32_e32 v2, 0xff, v13
	v_dual_mov_b32 v14, v13 :: v_dual_mov_b32 v10, 0
	s_mov_b32 s10, exec_lo
	v_cmpx_ne_u16_e32 0, v2
	s_cbranch_execz .LBB4_11121
; %bb.11112:                            ;   in Loop: Header=BB4_9783 Depth=2
	v_bfrev_b32_e32 v10, 1
	s_mov_b32 s28, exec_lo
	v_cmpx_ne_u16_e32 0x80, v2
	s_cbranch_execz .LBB4_11120
; %bb.11113:                            ;   in Loop: Header=BB4_9783 Depth=2
	v_and_b32_e32 v10, 0x7c, v13
	v_and_b32_e32 v2, 3, v13
	s_delay_alu instid0(VALU_DEP_2) | instskip(SKIP_1) | instid1(SALU_CYCLE_1)
	v_cmp_ne_u32_e32 vcc_lo, 0x7c, v10
                                        ; implicit-def: $vgpr10
	s_and_saveexec_b32 s29, vcc_lo
	s_xor_b32 s29, exec_lo, s29
	s_cbranch_execz .LBB4_11117
; %bb.11114:                            ;   in Loop: Header=BB4_9783 Depth=2
	v_bfe_u32 v10, v13, 2, 5
	s_mov_b32 s40, exec_lo
	s_delay_alu instid0(VALU_DEP_1)
	v_cmpx_eq_u32_e32 0, v10
; %bb.11115:                            ;   in Loop: Header=BB4_9783 Depth=2
	v_clz_i32_u32_e32 v2, v2
	s_delay_alu instid0(VALU_DEP_1) | instskip(NEXT) | instid1(VALU_DEP_1)
	v_min_u32_e32 v2, 32, v2
	v_subrev_nc_u32_e32 v10, 29, v2
	s_delay_alu instid0(VALU_DEP_1) | instskip(NEXT) | instid1(VALU_DEP_1)
	v_lshlrev_b64_e32 v[20:21], v10, v[14:15]
	v_dual_sub_nc_u32 v10, 30, v2 :: v_dual_bitop2_b32 v2, 3, v20 bitop3:0x40
; %bb.11116:                            ;   in Loop: Header=BB4_9783 Depth=2
	s_or_b32 exec_lo, exec_lo, s40
	v_lshlrev_b32_e32 v11, 24, v13
	s_delay_alu instid0(VALU_DEP_1) | instskip(NEXT) | instid1(VALU_DEP_1)
	v_and_b32_e32 v11, 0x80000000, v11
	v_lshl_add_u32 v10, v10, 23, v11
	s_delay_alu instid0(VALU_DEP_1) | instskip(NEXT) | instid1(VALU_DEP_1)
	v_lshl_or_b32 v2, v2, 21, v10
	v_add_nc_u32_e32 v10, 0x38000000, v2
                                        ; implicit-def: $vgpr2
.LBB4_11117:                            ;   in Loop: Header=BB4_9783 Depth=2
	s_and_not1_saveexec_b32 s29, s29
; %bb.11118:                            ;   in Loop: Header=BB4_9783 Depth=2
	v_bfe_i32 v10, v13, 0, 8
	s_delay_alu instid0(VALU_DEP_1) | instskip(SKIP_2) | instid1(VALU_DEP_2)
	v_cmp_lt_i16_e32 vcc_lo, -1, v10
	v_cndmask_b32_e32 v10, 0xff800000, v100, vcc_lo
	v_cmp_eq_u32_e32 vcc_lo, 0, v2
	v_cndmask_b32_e32 v10, 0x7f800001, v10, vcc_lo
; %bb.11119:                            ;   in Loop: Header=BB4_9783 Depth=2
	s_or_b32 exec_lo, exec_lo, s29
.LBB4_11120:                            ;   in Loop: Header=BB4_9783 Depth=2
	s_delay_alu instid0(SALU_CYCLE_1)
	s_or_b32 exec_lo, exec_lo, s28
.LBB4_11121:                            ;   in Loop: Header=BB4_9783 Depth=2
	s_delay_alu instid0(SALU_CYCLE_1) | instskip(NEXT) | instid1(VALU_DEP_1)
	s_or_b32 exec_lo, exec_lo, s10
	v_dual_mul_f32 v30, s27, v10 :: v_dual_mov_b32 v21, v15
	v_mov_b32_e32 v11, v15
                                        ; implicit-def: $vgpr94
	s_mov_b32 s10, exec_lo
	s_delay_alu instid0(VALU_DEP_2) | instskip(SKIP_2) | instid1(VALU_DEP_3)
	v_and_b32_e32 v20, 0x7f800000, v30
	v_and_b32_e32 v10, 0x7fffff, v30
	v_lshrrev_b32_e32 v2, 24, v30
	v_cmpx_ne_u64_e32 0x7f800000, v[20:21]
	s_xor_b32 s28, exec_lo, s10
	s_cbranch_execz .LBB4_11135
; %bb.11122:                            ;   in Loop: Header=BB4_9783 Depth=2
	v_and_b32_e32 v20, 0x7fffffff, v30
	v_mov_b32_e32 v21, v15
	v_and_b32_e32 v2, 0x80, v2
                                        ; implicit-def: $vgpr94
	s_mov_b32 s10, exec_lo
	s_delay_alu instid0(VALU_DEP_2)
	v_cmpx_gt_u64_e32 0x47600001, v[20:21]
	s_xor_b32 s29, exec_lo, s10
	s_cbranch_execz .LBB4_11132
; %bb.11123:                            ;   in Loop: Header=BB4_9783 Depth=2
	v_mov_b32_e32 v94, 0
	s_mov_b32 s40, exec_lo
	v_cmpx_ne_u32_e32 0, v30
	s_cbranch_execz .LBB4_11131
; %bb.11124:                            ;   in Loop: Header=BB4_9783 Depth=2
	v_bfe_u32 v20, v30, 23, 8
	v_or_b32_e32 v25, 0x800000, v10
	s_delay_alu instid0(VALU_DEP_2) | instskip(SKIP_1) | instid1(VALU_DEP_2)
	v_sub_nc_u32_e32 v21, 0x71, v20
	v_cmp_gt_u32_e32 vcc_lo, 0x72, v20
	v_cndmask_b32_e32 v21, 0, v21, vcc_lo
	v_cmp_eq_u32_e32 vcc_lo, 0, v20
	s_delay_alu instid0(VALU_DEP_2) | instskip(NEXT) | instid1(VALU_DEP_1)
	v_cndmask_b32_e64 v21, v21, 0x70, vcc_lo
	v_dual_cndmask_b32 v10, v25, v10, vcc_lo :: v_dual_add_nc_u32 v24, 21, v21
	s_delay_alu instid0(VALU_DEP_1) | instskip(SKIP_1) | instid1(VALU_DEP_1)
	v_lshlrev_b64_e64 v[86:87], v24, -1
	v_add_nc_u32_e32 v24, 20, v21
	v_lshlrev_b64_e64 v[94:95], v24, 1
	s_delay_alu instid0(VALU_DEP_3) | instskip(SKIP_2) | instid1(VALU_DEP_1)
	v_bfi_b32 v86, v86, 0, v10
	v_lshrrev_b64 v[10:11], v21, v[10:11]
	v_bfi_b32 v87, v87, 0, 0
	v_cmp_eq_u64_e64 s10, v[86:87], v[94:95]
	s_delay_alu instid0(VALU_DEP_3)
	v_mov_b64_e32 v[86:87], v[10:11]
	s_and_saveexec_b32 s41, s10
; %bb.11125:                            ;   in Loop: Header=BB4_9783 Depth=2
	v_bfe_u32 v86, v10, 21, 1
	v_mov_b32_e32 v87, v15
	s_delay_alu instid0(VALU_DEP_1) | instskip(NEXT) | instid1(VALU_DEP_1)
	v_add_nc_u64_e32 v[86:87], v[10:11], v[86:87]
	v_add_nc_u64_e32 v[86:87], -1, v[86:87]
; %bb.11126:                            ;   in Loop: Header=BB4_9783 Depth=2
	s_or_b32 exec_lo, exec_lo, s41
	v_add_nc_u32_e32 v11, 0xffffff81, v20
	v_lshrrev_b32_e32 v20, 23, v10
	s_mov_b32 s10, exec_lo
	s_delay_alu instid0(VALU_DEP_2) | instskip(NEXT) | instid1(VALU_DEP_1)
	v_cndmask_b32_e64 v11, v11, 0xffffff82, vcc_lo
	v_add3_u32 v21, v21, v11, v20
	v_and_b32_e32 v11, 0x1fffff, v86
                                        ; implicit-def: $vgpr20
	s_delay_alu instid0(VALU_DEP_1) | instskip(SKIP_1) | instid1(VALU_DEP_2)
	v_dual_add_nc_u32 v30, 14, v21 :: v_dual_add_nc_u32 v10, v11, v10
	v_mov_b32_e32 v11, v15
	v_cmpx_ne_u32_e32 0, v30
	s_xor_b32 s10, exec_lo, s10
; %bb.11127:                            ;   in Loop: Header=BB4_9783 Depth=2
	s_delay_alu instid0(VALU_DEP_2) | instskip(SKIP_2) | instid1(VALU_DEP_2)
	v_cmp_lt_u64_e32 vcc_lo, 0xffffff, v[10:11]
	v_add_nc_u32_e32 v20, 15, v21
	v_cndmask_b32_e64 v21, 0, 1, vcc_lo
	v_cndmask_b32_e32 v20, v30, v20, vcc_lo
	s_delay_alu instid0(VALU_DEP_2)
	v_lshrrev_b64 v[10:11], v21, v[10:11]
; %bb.11128:                            ;   in Loop: Header=BB4_9783 Depth=2
	s_and_not1_saveexec_b32 s10, s10
; %bb.11129:                            ;   in Loop: Header=BB4_9783 Depth=2
	s_delay_alu instid0(VALU_DEP_1)
	v_bfe_u32 v20, v10, 23, 1
; %bb.11130:                            ;   in Loop: Header=BB4_9783 Depth=2
	s_or_b32 exec_lo, exec_lo, s10
	s_delay_alu instid0(VALU_DEP_2) | instskip(NEXT) | instid1(VALU_DEP_2)
	v_lshrrev_b64 v[10:11], 21, v[10:11]
	v_cmp_gt_i32_e32 vcc_lo, 32, v20
	v_min_i32_e32 v21, 31, v20
	v_cmp_eq_u32_e64 s10, 0, v20
	s_delay_alu instid0(VALU_DEP_2) | instskip(SKIP_1) | instid1(VALU_DEP_2)
	v_dual_cndmask_b32 v11, 0, v11, vcc_lo :: v_dual_lshlrev_b32 v21, 2, v21
	v_cndmask_b32_e32 v10, 3, v10, vcc_lo
	v_and_b32_e32 v21, 0xfc, v21
	s_delay_alu instid0(VALU_DEP_2) | instskip(NEXT) | instid1(VALU_DEP_2)
	v_cmp_eq_u64_e32 vcc_lo, 0, v[10:11]
	v_and_or_b32 v10, v10, 3, v21
	s_and_b32 s10, s10, vcc_lo
	s_delay_alu instid0(VALU_DEP_1) | instid1(SALU_CYCLE_1)
	v_cndmask_b32_e64 v10, v10, 0, s10
	s_delay_alu instid0(VALU_DEP_1)
	v_or_b32_e32 v94, v10, v2
.LBB4_11131:                            ;   in Loop: Header=BB4_9783 Depth=2
	s_or_b32 exec_lo, exec_lo, s40
                                        ; implicit-def: $vgpr2
.LBB4_11132:                            ;   in Loop: Header=BB4_9783 Depth=2
	s_and_not1_saveexec_b32 s10, s29
; %bb.11133:                            ;   in Loop: Header=BB4_9783 Depth=2
	v_or_b32_e32 v94, 0x7b, v2
; %bb.11134:                            ;   in Loop: Header=BB4_9783 Depth=2
	s_or_b32 exec_lo, exec_lo, s10
                                        ; implicit-def: $vgpr30
                                        ; implicit-def: $vgpr10_vgpr11
                                        ; implicit-def: $vgpr2
.LBB4_11135:                            ;   in Loop: Header=BB4_9783 Depth=2
	s_and_not1_saveexec_b32 s10, s28
	s_cbranch_execz .LBB4_11141
; %bb.11136:                            ;   in Loop: Header=BB4_9783 Depth=2
	s_mov_b32 s28, exec_lo
                                        ; implicit-def: $vgpr94
	v_cmpx_ne_u64_e32 0, v[10:11]
	s_xor_b32 s28, exec_lo, s28
; %bb.11137:                            ;   in Loop: Header=BB4_9783 Depth=2
	v_or_b32_e32 v94, 0x7f, v2
                                        ; implicit-def: $vgpr30
; %bb.11138:                            ;   in Loop: Header=BB4_9783 Depth=2
	s_and_not1_saveexec_b32 s28, s28
; %bb.11139:                            ;   in Loop: Header=BB4_9783 Depth=2
	v_cmp_lt_i32_e32 vcc_lo, -1, v30
	v_cndmask_b32_e32 v94, 0xfc, v101, vcc_lo
; %bb.11140:                            ;   in Loop: Header=BB4_9783 Depth=2
	s_or_b32 exec_lo, exec_lo, s28
.LBB4_11141:                            ;   in Loop: Header=BB4_9783 Depth=2
	s_delay_alu instid0(SALU_CYCLE_1) | instskip(SKIP_3) | instid1(VALU_DEP_2)
	s_or_b32 exec_lo, exec_lo, s10
	v_lshrrev_b16 v10, 8, v14
	v_mov_b32_e32 v11, 0
	s_mov_b32 s10, exec_lo
	v_cmpx_ne_u16_e32 0, v10
	s_cbranch_execz .LBB4_11151
; %bb.11142:                            ;   in Loop: Header=BB4_9783 Depth=2
	v_bfrev_b32_e32 v11, 1
	s_mov_b32 s28, exec_lo
	v_cmpx_ne_u16_e32 0x80, v10
	s_cbranch_execz .LBB4_11150
; %bb.11143:                            ;   in Loop: Header=BB4_9783 Depth=2
	v_and_b32_e32 v20, 0xffff, v10
	s_delay_alu instid0(VALU_DEP_1) | instskip(SKIP_1) | instid1(VALU_DEP_2)
	v_and_b32_e32 v11, 0x7c, v20
	v_and_b32_e32 v2, 3, v20
	v_cmp_ne_u32_e32 vcc_lo, 0x7c, v11
                                        ; implicit-def: $vgpr11
	s_and_saveexec_b32 s29, vcc_lo
	s_delay_alu instid0(SALU_CYCLE_1)
	s_xor_b32 s29, exec_lo, s29
	s_cbranch_execz .LBB4_11147
; %bb.11144:                            ;   in Loop: Header=BB4_9783 Depth=2
	v_bfe_u32 v11, v20, 2, 5
	s_mov_b32 s40, exec_lo
	s_delay_alu instid0(VALU_DEP_1)
	v_cmpx_eq_u32_e32 0, v11
	s_cbranch_execz .LBB4_11146
; %bb.11145:                            ;   in Loop: Header=BB4_9783 Depth=2
	v_clz_i32_u32_e32 v2, v2
	v_mov_b32_e32 v11, v15
	s_delay_alu instid0(VALU_DEP_2) | instskip(NEXT) | instid1(VALU_DEP_1)
	v_min_u32_e32 v2, 32, v2
	v_subrev_nc_u32_e32 v20, 29, v2
	s_delay_alu instid0(VALU_DEP_1) | instskip(SKIP_1) | instid1(VALU_DEP_2)
	v_lshlrev_b64_e32 v[10:11], v20, v[10:11]
	v_sub_nc_u32_e32 v11, 30, v2
	v_and_b32_e32 v2, 3, v10
.LBB4_11146:                            ;   in Loop: Header=BB4_9783 Depth=2
	s_or_b32 exec_lo, exec_lo, s40
	v_lshlrev_b32_e32 v10, 16, v14
	s_delay_alu instid0(VALU_DEP_1) | instskip(NEXT) | instid1(VALU_DEP_1)
	v_and_b32_e32 v10, 0x80000000, v10
	v_lshl_add_u32 v10, v11, 23, v10
	s_delay_alu instid0(VALU_DEP_1) | instskip(NEXT) | instid1(VALU_DEP_1)
	v_lshl_or_b32 v2, v2, 21, v10
	v_add_nc_u32_e32 v11, 0x38000000, v2
                                        ; implicit-def: $vgpr2
.LBB4_11147:                            ;   in Loop: Header=BB4_9783 Depth=2
	s_and_not1_saveexec_b32 s29, s29
; %bb.11148:                            ;   in Loop: Header=BB4_9783 Depth=2
	v_cmp_lt_i16_e32 vcc_lo, -1, v14
	v_cndmask_b32_e32 v10, 0xff800000, v100, vcc_lo
	v_cmp_eq_u32_e32 vcc_lo, 0, v2
	s_delay_alu instid0(VALU_DEP_2)
	v_cndmask_b32_e32 v11, 0x7f800001, v10, vcc_lo
; %bb.11149:                            ;   in Loop: Header=BB4_9783 Depth=2
	s_or_b32 exec_lo, exec_lo, s29
.LBB4_11150:                            ;   in Loop: Header=BB4_9783 Depth=2
	s_delay_alu instid0(SALU_CYCLE_1)
	s_or_b32 exec_lo, exec_lo, s28
.LBB4_11151:                            ;   in Loop: Header=BB4_9783 Depth=2
	s_delay_alu instid0(SALU_CYCLE_1) | instskip(NEXT) | instid1(VALU_DEP_1)
	s_or_b32 exec_lo, exec_lo, s10
	v_dual_mul_f32 v10, s27, v11 :: v_dual_mov_b32 v21, v15
                                        ; implicit-def: $vgpr95
	s_mov_b32 s10, exec_lo
	s_delay_alu instid0(VALU_DEP_1) | instskip(SKIP_2) | instid1(VALU_DEP_3)
	v_and_b32_e32 v20, 0x7f800000, v10
	v_and_b32_e32 v14, 0x7fffff, v10
	v_lshrrev_b32_e32 v2, 24, v10
	v_cmpx_ne_u64_e32 0x7f800000, v[20:21]
	s_xor_b32 s28, exec_lo, s10
	s_cbranch_execz .LBB4_11165
; %bb.11152:                            ;   in Loop: Header=BB4_9783 Depth=2
	v_and_b32_e32 v20, 0x7fffffff, v10
	v_mov_b32_e32 v21, v15
	v_and_b32_e32 v2, 0x80, v2
                                        ; implicit-def: $vgpr95
	s_mov_b32 s10, exec_lo
	s_delay_alu instid0(VALU_DEP_2)
	v_cmpx_gt_u64_e32 0x47600001, v[20:21]
	s_xor_b32 s29, exec_lo, s10
	s_cbranch_execz .LBB4_11162
; %bb.11153:                            ;   in Loop: Header=BB4_9783 Depth=2
	v_mov_b32_e32 v95, 0
	s_mov_b32 s40, exec_lo
	v_cmpx_ne_u32_e32 0, v10
	s_cbranch_execz .LBB4_11161
; %bb.11154:                            ;   in Loop: Header=BB4_9783 Depth=2
	v_bfe_u32 v20, v10, 23, 8
	v_or_b32_e32 v24, 0x800000, v14
	s_mov_b32 s41, exec_lo
	s_delay_alu instid0(VALU_DEP_2) | instskip(SKIP_1) | instid1(VALU_DEP_2)
	v_dual_mov_b32 v87, v15 :: v_dual_sub_nc_u32 v10, 0x71, v20
	v_cmp_gt_u32_e32 vcc_lo, 0x72, v20
	v_cndmask_b32_e32 v10, 0, v10, vcc_lo
	v_cmp_eq_u32_e32 vcc_lo, 0, v20
	s_delay_alu instid0(VALU_DEP_2) | instskip(NEXT) | instid1(VALU_DEP_1)
	v_cndmask_b32_e64 v21, v10, 0x70, vcc_lo
	v_dual_cndmask_b32 v86, v24, v14, vcc_lo :: v_dual_add_nc_u32 v10, 21, v21
	v_add_nc_u32_e32 v25, 20, v21
	s_delay_alu instid0(VALU_DEP_2) | instskip(NEXT) | instid1(VALU_DEP_2)
	v_lshlrev_b64_e64 v[10:11], v10, -1
	v_lshlrev_b64_e64 v[104:105], v25, 1
	s_delay_alu instid0(VALU_DEP_2) | instskip(NEXT) | instid1(VALU_DEP_3)
	v_bfi_b32 v107, v11, 0, 0
	v_bfi_b32 v106, v10, 0, v86
	v_lshrrev_b64 v[10:11], v21, v[86:87]
	s_delay_alu instid0(VALU_DEP_1) | instskip(NEXT) | instid1(VALU_DEP_3)
	v_mov_b64_e32 v[86:87], v[10:11]
	v_cmpx_eq_u64_e64 v[106:107], v[104:105]
; %bb.11155:                            ;   in Loop: Header=BB4_9783 Depth=2
	v_bfe_u32 v86, v10, 21, 1
	v_mov_b32_e32 v87, v15
	s_delay_alu instid0(VALU_DEP_1) | instskip(NEXT) | instid1(VALU_DEP_1)
	v_add_nc_u64_e32 v[86:87], v[10:11], v[86:87]
	v_add_nc_u64_e32 v[86:87], -1, v[86:87]
; %bb.11156:                            ;   in Loop: Header=BB4_9783 Depth=2
	s_or_b32 exec_lo, exec_lo, s41
	v_add_nc_u32_e32 v11, 0xffffff81, v20
	v_lshrrev_b32_e32 v14, 23, v10
	s_mov_b32 s10, exec_lo
                                        ; implicit-def: $vgpr20
	s_delay_alu instid0(VALU_DEP_2) | instskip(NEXT) | instid1(VALU_DEP_1)
	v_cndmask_b32_e64 v11, v11, 0xffffff82, vcc_lo
	v_add3_u32 v21, v21, v11, v14
	v_and_b32_e32 v11, 0x1fffff, v86
	s_delay_alu instid0(VALU_DEP_1) | instskip(NEXT) | instid1(VALU_DEP_1)
	v_dual_add_nc_u32 v30, 14, v21 :: v_dual_add_nc_u32 v14, v11, v10
                                        ; implicit-def: $vgpr10_vgpr11
	v_cmpx_ne_u32_e32 0, v30
	s_xor_b32 s10, exec_lo, s10
; %bb.11157:                            ;   in Loop: Header=BB4_9783 Depth=2
	s_delay_alu instid0(VALU_DEP_2) | instskip(SKIP_1) | instid1(VALU_DEP_1)
	v_cmp_lt_u64_e32 vcc_lo, 0xffffff, v[14:15]
	v_add_nc_u32_e32 v10, 15, v21
	v_cndmask_b32_e32 v20, v30, v10, vcc_lo
	v_cndmask_b32_e64 v10, 0, 1, vcc_lo
	s_delay_alu instid0(VALU_DEP_1)
	v_lshrrev_b64 v[10:11], v10, v[14:15]
; %bb.11158:                            ;   in Loop: Header=BB4_9783 Depth=2
	s_and_not1_saveexec_b32 s10, s10
; %bb.11159:                            ;   in Loop: Header=BB4_9783 Depth=2
	v_mov_b64_e32 v[10:11], v[14:15]
	v_bfe_u32 v20, v14, 23, 1
; %bb.11160:                            ;   in Loop: Header=BB4_9783 Depth=2
	s_or_b32 exec_lo, exec_lo, s10
	s_delay_alu instid0(VALU_DEP_2) | instskip(NEXT) | instid1(VALU_DEP_2)
	v_lshrrev_b64 v[10:11], 21, v[10:11]
	v_cmp_gt_i32_e32 vcc_lo, 32, v20
	v_min_i32_e32 v14, 31, v20
	v_cmp_eq_u32_e64 s10, 0, v20
	s_delay_alu instid0(VALU_DEP_2) | instskip(SKIP_1) | instid1(VALU_DEP_2)
	v_dual_cndmask_b32 v11, 0, v11 :: v_dual_lshlrev_b32 v14, 2, v14
	v_cndmask_b32_e32 v10, 3, v10, vcc_lo
	v_and_b32_e32 v14, 0xfc, v14
	s_delay_alu instid0(VALU_DEP_2) | instskip(NEXT) | instid1(VALU_DEP_2)
	v_cmp_eq_u64_e32 vcc_lo, 0, v[10:11]
	v_and_or_b32 v10, v10, 3, v14
	s_and_b32 s10, s10, vcc_lo
	s_delay_alu instid0(VALU_DEP_1) | instid1(SALU_CYCLE_1)
	v_cndmask_b32_e64 v10, v10, 0, s10
	s_delay_alu instid0(VALU_DEP_1)
	v_or_b32_e32 v95, v10, v2
.LBB4_11161:                            ;   in Loop: Header=BB4_9783 Depth=2
	s_or_b32 exec_lo, exec_lo, s40
                                        ; implicit-def: $vgpr2
.LBB4_11162:                            ;   in Loop: Header=BB4_9783 Depth=2
	s_and_not1_saveexec_b32 s10, s29
; %bb.11163:                            ;   in Loop: Header=BB4_9783 Depth=2
	v_or_b32_e32 v95, 0x7b, v2
; %bb.11164:                            ;   in Loop: Header=BB4_9783 Depth=2
	s_or_b32 exec_lo, exec_lo, s10
                                        ; implicit-def: $vgpr10
                                        ; implicit-def: $vgpr2
.LBB4_11165:                            ;   in Loop: Header=BB4_9783 Depth=2
	s_and_not1_saveexec_b32 s10, s28
	s_cbranch_execz .LBB4_11171
; %bb.11166:                            ;   in Loop: Header=BB4_9783 Depth=2
	s_mov_b32 s28, exec_lo
                                        ; implicit-def: $vgpr95
	v_cmpx_ne_u64_e32 0, v[14:15]
	s_xor_b32 s28, exec_lo, s28
; %bb.11167:                            ;   in Loop: Header=BB4_9783 Depth=2
	v_or_b32_e32 v95, 0x7f, v2
                                        ; implicit-def: $vgpr10
; %bb.11168:                            ;   in Loop: Header=BB4_9783 Depth=2
	s_and_not1_saveexec_b32 s28, s28
; %bb.11169:                            ;   in Loop: Header=BB4_9783 Depth=2
	v_cmp_lt_i32_e32 vcc_lo, -1, v10
	v_cndmask_b32_e32 v95, 0xfc, v101, vcc_lo
; %bb.11170:                            ;   in Loop: Header=BB4_9783 Depth=2
	s_or_b32 exec_lo, exec_lo, s28
.LBB4_11171:                            ;   in Loop: Header=BB4_9783 Depth=2
	s_delay_alu instid0(SALU_CYCLE_1) | instskip(SKIP_2) | instid1(VALU_DEP_1)
	s_or_b32 exec_lo, exec_lo, s10
	v_dual_mov_b32 v11, 0 :: v_dual_lshrrev_b32 v10, 16, v13
	s_mov_b32 s10, exec_lo
	v_and_b32_e32 v2, 0xff, v10
	s_delay_alu instid0(VALU_DEP_1)
	v_cmpx_ne_u16_e32 0, v2
	s_cbranch_execz .LBB4_11181
; %bb.11172:                            ;   in Loop: Header=BB4_9783 Depth=2
	v_bfrev_b32_e32 v11, 1
	s_mov_b32 s28, exec_lo
	v_cmpx_ne_u16_e32 0x80, v2
	s_cbranch_execz .LBB4_11180
; %bb.11173:                            ;   in Loop: Header=BB4_9783 Depth=2
	v_and_b32_e32 v11, 0x7c0000, v13
	v_bfe_u32 v2, v13, 16, 2
	s_delay_alu instid0(VALU_DEP_2) | instskip(SKIP_1) | instid1(SALU_CYCLE_1)
	v_cmp_ne_u32_e32 vcc_lo, 0x7c0000, v11
                                        ; implicit-def: $vgpr11
	s_and_saveexec_b32 s29, vcc_lo
	s_xor_b32 s29, exec_lo, s29
	s_cbranch_execz .LBB4_11177
; %bb.11174:                            ;   in Loop: Header=BB4_9783 Depth=2
	v_bfe_u32 v11, v13, 18, 5
	s_mov_b32 s40, exec_lo
	s_delay_alu instid0(VALU_DEP_1)
	v_cmpx_eq_u32_e32 0, v11
; %bb.11175:                            ;   in Loop: Header=BB4_9783 Depth=2
	v_clz_i32_u32_e32 v2, v2
	s_delay_alu instid0(VALU_DEP_1) | instskip(NEXT) | instid1(VALU_DEP_1)
	v_min_u32_e32 v2, 32, v2
	v_subrev_nc_u32_e32 v11, 29, v2
	s_delay_alu instid0(VALU_DEP_1) | instskip(NEXT) | instid1(VALU_DEP_1)
	v_lshlrev_b64_e32 v[20:21], v11, v[10:11]
	v_dual_sub_nc_u32 v11, 30, v2 :: v_dual_bitop2_b32 v2, 3, v20 bitop3:0x40
; %bb.11176:                            ;   in Loop: Header=BB4_9783 Depth=2
	s_or_b32 exec_lo, exec_lo, s40
	v_lshlrev_b32_e32 v10, 24, v10
	s_delay_alu instid0(VALU_DEP_1) | instskip(NEXT) | instid1(VALU_DEP_1)
	v_and_b32_e32 v10, 0x80000000, v10
	v_lshl_add_u32 v10, v11, 23, v10
	s_delay_alu instid0(VALU_DEP_1) | instskip(NEXT) | instid1(VALU_DEP_1)
	v_lshl_or_b32 v2, v2, 21, v10
                                        ; implicit-def: $vgpr10
	v_add_nc_u32_e32 v11, 0x38000000, v2
                                        ; implicit-def: $vgpr2
.LBB4_11177:                            ;   in Loop: Header=BB4_9783 Depth=2
	s_and_not1_saveexec_b32 s29, s29
; %bb.11178:                            ;   in Loop: Header=BB4_9783 Depth=2
	v_bfe_i32 v10, v10, 0, 8
	s_delay_alu instid0(VALU_DEP_1) | instskip(SKIP_2) | instid1(VALU_DEP_2)
	v_cmp_lt_i16_e32 vcc_lo, -1, v10
	v_cndmask_b32_e32 v10, 0xff800000, v100, vcc_lo
	v_cmp_eq_u32_e32 vcc_lo, 0, v2
	v_cndmask_b32_e32 v11, 0x7f800001, v10, vcc_lo
; %bb.11179:                            ;   in Loop: Header=BB4_9783 Depth=2
	s_or_b32 exec_lo, exec_lo, s29
.LBB4_11180:                            ;   in Loop: Header=BB4_9783 Depth=2
	s_delay_alu instid0(SALU_CYCLE_1)
	s_or_b32 exec_lo, exec_lo, s28
.LBB4_11181:                            ;   in Loop: Header=BB4_9783 Depth=2
	s_delay_alu instid0(SALU_CYCLE_1) | instskip(NEXT) | instid1(VALU_DEP_1)
	s_or_b32 exec_lo, exec_lo, s10
	v_dual_mul_f32 v10, s27, v11 :: v_dual_mov_b32 v21, v15
                                        ; implicit-def: $vgpr104
	s_mov_b32 s10, exec_lo
	s_delay_alu instid0(VALU_DEP_1) | instskip(SKIP_2) | instid1(VALU_DEP_3)
	v_and_b32_e32 v20, 0x7f800000, v10
	v_and_b32_e32 v14, 0x7fffff, v10
	v_lshrrev_b32_e32 v2, 24, v10
	v_cmpx_ne_u64_e32 0x7f800000, v[20:21]
	s_xor_b32 s28, exec_lo, s10
	s_cbranch_execz .LBB4_11195
; %bb.11182:                            ;   in Loop: Header=BB4_9783 Depth=2
	v_and_b32_e32 v20, 0x7fffffff, v10
	v_mov_b32_e32 v21, v15
	v_and_b32_e32 v2, 0x80, v2
                                        ; implicit-def: $vgpr104
	s_mov_b32 s10, exec_lo
	s_delay_alu instid0(VALU_DEP_2)
	v_cmpx_gt_u64_e32 0x47600001, v[20:21]
	s_xor_b32 s29, exec_lo, s10
	s_cbranch_execz .LBB4_11192
; %bb.11183:                            ;   in Loop: Header=BB4_9783 Depth=2
	v_mov_b32_e32 v104, 0
	s_mov_b32 s40, exec_lo
	v_cmpx_ne_u32_e32 0, v10
	s_cbranch_execz .LBB4_11191
; %bb.11184:                            ;   in Loop: Header=BB4_9783 Depth=2
	v_bfe_u32 v20, v10, 23, 8
	v_or_b32_e32 v24, 0x800000, v14
	s_mov_b32 s41, exec_lo
	s_delay_alu instid0(VALU_DEP_2) | instskip(SKIP_1) | instid1(VALU_DEP_2)
	v_dual_mov_b32 v87, v15 :: v_dual_sub_nc_u32 v10, 0x71, v20
	v_cmp_gt_u32_e32 vcc_lo, 0x72, v20
	v_cndmask_b32_e32 v10, 0, v10, vcc_lo
	v_cmp_eq_u32_e32 vcc_lo, 0, v20
	s_delay_alu instid0(VALU_DEP_2) | instskip(NEXT) | instid1(VALU_DEP_1)
	v_cndmask_b32_e64 v21, v10, 0x70, vcc_lo
	v_dual_cndmask_b32 v86, v24, v14, vcc_lo :: v_dual_add_nc_u32 v10, 21, v21
	v_add_nc_u32_e32 v25, 20, v21
	s_delay_alu instid0(VALU_DEP_2) | instskip(NEXT) | instid1(VALU_DEP_2)
	v_lshlrev_b64_e64 v[10:11], v10, -1
	v_lshlrev_b64_e64 v[104:105], v25, 1
	s_delay_alu instid0(VALU_DEP_2) | instskip(NEXT) | instid1(VALU_DEP_3)
	v_bfi_b32 v107, v11, 0, 0
	v_bfi_b32 v106, v10, 0, v86
	v_lshrrev_b64 v[10:11], v21, v[86:87]
	s_delay_alu instid0(VALU_DEP_1) | instskip(NEXT) | instid1(VALU_DEP_3)
	v_mov_b64_e32 v[86:87], v[10:11]
	v_cmpx_eq_u64_e64 v[106:107], v[104:105]
; %bb.11185:                            ;   in Loop: Header=BB4_9783 Depth=2
	v_bfe_u32 v86, v10, 21, 1
	v_mov_b32_e32 v87, v15
	s_delay_alu instid0(VALU_DEP_1) | instskip(NEXT) | instid1(VALU_DEP_1)
	v_add_nc_u64_e32 v[86:87], v[10:11], v[86:87]
	v_add_nc_u64_e32 v[86:87], -1, v[86:87]
; %bb.11186:                            ;   in Loop: Header=BB4_9783 Depth=2
	s_or_b32 exec_lo, exec_lo, s41
	v_add_nc_u32_e32 v11, 0xffffff81, v20
	v_lshrrev_b32_e32 v14, 23, v10
	s_mov_b32 s10, exec_lo
                                        ; implicit-def: $vgpr20
	s_delay_alu instid0(VALU_DEP_2) | instskip(NEXT) | instid1(VALU_DEP_1)
	v_cndmask_b32_e64 v11, v11, 0xffffff82, vcc_lo
	v_add3_u32 v21, v21, v11, v14
	v_and_b32_e32 v11, 0x1fffff, v86
	s_delay_alu instid0(VALU_DEP_1) | instskip(NEXT) | instid1(VALU_DEP_1)
	v_dual_add_nc_u32 v30, 14, v21 :: v_dual_add_nc_u32 v14, v11, v10
                                        ; implicit-def: $vgpr10_vgpr11
	v_cmpx_ne_u32_e32 0, v30
	s_xor_b32 s10, exec_lo, s10
; %bb.11187:                            ;   in Loop: Header=BB4_9783 Depth=2
	s_delay_alu instid0(VALU_DEP_2) | instskip(SKIP_1) | instid1(VALU_DEP_1)
	v_cmp_lt_u64_e32 vcc_lo, 0xffffff, v[14:15]
	v_add_nc_u32_e32 v10, 15, v21
	v_cndmask_b32_e32 v20, v30, v10, vcc_lo
	v_cndmask_b32_e64 v10, 0, 1, vcc_lo
	s_delay_alu instid0(VALU_DEP_1)
	v_lshrrev_b64 v[10:11], v10, v[14:15]
; %bb.11188:                            ;   in Loop: Header=BB4_9783 Depth=2
	s_and_not1_saveexec_b32 s10, s10
; %bb.11189:                            ;   in Loop: Header=BB4_9783 Depth=2
	v_mov_b64_e32 v[10:11], v[14:15]
	v_bfe_u32 v20, v14, 23, 1
; %bb.11190:                            ;   in Loop: Header=BB4_9783 Depth=2
	s_or_b32 exec_lo, exec_lo, s10
	s_delay_alu instid0(VALU_DEP_2) | instskip(NEXT) | instid1(VALU_DEP_2)
	v_lshrrev_b64 v[10:11], 21, v[10:11]
	v_cmp_gt_i32_e32 vcc_lo, 32, v20
	v_min_i32_e32 v14, 31, v20
	v_cmp_eq_u32_e64 s10, 0, v20
	s_delay_alu instid0(VALU_DEP_2) | instskip(SKIP_1) | instid1(VALU_DEP_2)
	v_dual_cndmask_b32 v11, 0, v11 :: v_dual_lshlrev_b32 v14, 2, v14
	v_cndmask_b32_e32 v10, 3, v10, vcc_lo
	v_and_b32_e32 v14, 0xfc, v14
	s_delay_alu instid0(VALU_DEP_2) | instskip(NEXT) | instid1(VALU_DEP_2)
	v_cmp_eq_u64_e32 vcc_lo, 0, v[10:11]
	v_and_or_b32 v10, v10, 3, v14
	s_and_b32 s10, s10, vcc_lo
	s_delay_alu instid0(VALU_DEP_1) | instid1(SALU_CYCLE_1)
	v_cndmask_b32_e64 v10, v10, 0, s10
	s_delay_alu instid0(VALU_DEP_1)
	v_or_b32_e32 v104, v10, v2
.LBB4_11191:                            ;   in Loop: Header=BB4_9783 Depth=2
	s_or_b32 exec_lo, exec_lo, s40
                                        ; implicit-def: $vgpr2
.LBB4_11192:                            ;   in Loop: Header=BB4_9783 Depth=2
	s_and_not1_saveexec_b32 s10, s29
; %bb.11193:                            ;   in Loop: Header=BB4_9783 Depth=2
	v_or_b32_e32 v104, 0x7b, v2
; %bb.11194:                            ;   in Loop: Header=BB4_9783 Depth=2
	s_or_b32 exec_lo, exec_lo, s10
                                        ; implicit-def: $vgpr10
                                        ; implicit-def: $vgpr2
.LBB4_11195:                            ;   in Loop: Header=BB4_9783 Depth=2
	s_and_not1_saveexec_b32 s10, s28
	s_cbranch_execz .LBB4_11201
; %bb.11196:                            ;   in Loop: Header=BB4_9783 Depth=2
	s_mov_b32 s28, exec_lo
                                        ; implicit-def: $vgpr104
	v_cmpx_ne_u64_e32 0, v[14:15]
	s_xor_b32 s28, exec_lo, s28
; %bb.11197:                            ;   in Loop: Header=BB4_9783 Depth=2
	v_or_b32_e32 v104, 0x7f, v2
                                        ; implicit-def: $vgpr10
; %bb.11198:                            ;   in Loop: Header=BB4_9783 Depth=2
	s_and_not1_saveexec_b32 s28, s28
; %bb.11199:                            ;   in Loop: Header=BB4_9783 Depth=2
	v_cmp_lt_i32_e32 vcc_lo, -1, v10
	v_cndmask_b32_e32 v104, 0xfc, v101, vcc_lo
; %bb.11200:                            ;   in Loop: Header=BB4_9783 Depth=2
	s_or_b32 exec_lo, exec_lo, s28
.LBB4_11201:                            ;   in Loop: Header=BB4_9783 Depth=2
	s_delay_alu instid0(SALU_CYCLE_1)
	s_or_b32 exec_lo, exec_lo, s10
	v_mov_b32_e32 v2, 0
	s_mov_b32 s10, exec_lo
	v_cmpx_lt_u64_e64 s[12:13], v[12:13]
	s_cbranch_execz .LBB4_11211
; %bb.11202:                            ;   in Loop: Header=BB4_9783 Depth=2
	v_lshrrev_b32_e32 v10, 24, v13
	v_bfrev_b32_e32 v2, 1
	s_mov_b32 s28, exec_lo
	s_delay_alu instid0(VALU_DEP_2)
	v_cmpx_ne_u32_e32 0x80, v10
	s_cbranch_execz .LBB4_11210
; %bb.11203:                            ;   in Loop: Header=BB4_9783 Depth=2
	v_and_b32_e32 v2, 0x7c000000, v13
	v_bfe_u32 v11, v13, 24, 2
	s_delay_alu instid0(VALU_DEP_2) | instskip(SKIP_1) | instid1(SALU_CYCLE_1)
	v_cmp_ne_u32_e32 vcc_lo, 0x7c000000, v2
                                        ; implicit-def: $vgpr2
	s_and_saveexec_b32 s29, vcc_lo
	s_xor_b32 s29, exec_lo, s29
	s_cbranch_execz .LBB4_11207
; %bb.11204:                            ;   in Loop: Header=BB4_9783 Depth=2
	v_bfe_u32 v2, v13, 26, 5
	s_mov_b32 s40, exec_lo
	s_delay_alu instid0(VALU_DEP_1)
	v_cmpx_eq_u32_e32 0, v2
; %bb.11205:                            ;   in Loop: Header=BB4_9783 Depth=2
	v_clz_i32_u32_e32 v2, v11
	s_delay_alu instid0(VALU_DEP_1) | instskip(NEXT) | instid1(VALU_DEP_1)
	v_min_u32_e32 v2, 32, v2
	v_subrev_nc_u32_e32 v11, 29, v2
	v_sub_nc_u32_e32 v2, 30, v2
	s_delay_alu instid0(VALU_DEP_2) | instskip(NEXT) | instid1(VALU_DEP_1)
	v_lshlrev_b64_e32 v[10:11], v11, v[10:11]
	v_and_b32_e32 v11, 3, v10
; %bb.11206:                            ;   in Loop: Header=BB4_9783 Depth=2
	s_or_b32 exec_lo, exec_lo, s40
	v_and_b32_e32 v10, 0x80000000, v13
                                        ; implicit-def: $vgpr12_vgpr13
	s_delay_alu instid0(VALU_DEP_1) | instskip(NEXT) | instid1(VALU_DEP_1)
	v_lshl_add_u32 v2, v2, 23, v10
	v_lshl_or_b32 v2, v11, 21, v2
                                        ; implicit-def: $vgpr11
	s_delay_alu instid0(VALU_DEP_1)
	v_add_nc_u32_e32 v2, 0x38000000, v2
.LBB4_11207:                            ;   in Loop: Header=BB4_9783 Depth=2
	s_and_not1_saveexec_b32 s29, s29
; %bb.11208:                            ;   in Loop: Header=BB4_9783 Depth=2
	v_cmp_lt_i64_e32 vcc_lo, -1, v[12:13]
	v_cndmask_b32_e32 v2, 0xff800000, v100, vcc_lo
	v_cmp_eq_u32_e32 vcc_lo, 0, v11
	s_delay_alu instid0(VALU_DEP_2)
	v_cndmask_b32_e32 v2, 0x7f800001, v2, vcc_lo
; %bb.11209:                            ;   in Loop: Header=BB4_9783 Depth=2
	s_or_b32 exec_lo, exec_lo, s29
.LBB4_11210:                            ;   in Loop: Header=BB4_9783 Depth=2
	s_delay_alu instid0(SALU_CYCLE_1)
	s_or_b32 exec_lo, exec_lo, s28
.LBB4_11211:                            ;   in Loop: Header=BB4_9783 Depth=2
	s_delay_alu instid0(SALU_CYCLE_1) | instskip(NEXT) | instid1(VALU_DEP_1)
	s_or_b32 exec_lo, exec_lo, s10
	v_dual_mul_f32 v10, s27, v2 :: v_dual_mov_b32 v13, v15
                                        ; implicit-def: $vgpr105
	s_mov_b32 s10, exec_lo
	s_delay_alu instid0(VALU_DEP_1) | instskip(SKIP_2) | instid1(VALU_DEP_3)
	v_and_b32_e32 v12, 0x7f800000, v10
	v_and_b32_e32 v14, 0x7fffff, v10
	v_lshrrev_b32_e32 v2, 24, v10
	v_cmpx_ne_u64_e32 0x7f800000, v[12:13]
	s_xor_b32 s28, exec_lo, s10
	s_cbranch_execz .LBB4_11225
; %bb.11212:                            ;   in Loop: Header=BB4_9783 Depth=2
	v_and_b32_e32 v12, 0x7fffffff, v10
	v_mov_b32_e32 v13, v15
	v_and_b32_e32 v2, 0x80, v2
                                        ; implicit-def: $vgpr105
	s_mov_b32 s10, exec_lo
	s_delay_alu instid0(VALU_DEP_2)
	v_cmpx_gt_u64_e32 0x47600001, v[12:13]
	s_xor_b32 s29, exec_lo, s10
	s_cbranch_execz .LBB4_11222
; %bb.11213:                            ;   in Loop: Header=BB4_9783 Depth=2
	v_mov_b32_e32 v105, 0
	s_mov_b32 s40, exec_lo
	v_cmpx_ne_u32_e32 0, v10
	s_cbranch_execz .LBB4_11221
; %bb.11214:                            ;   in Loop: Header=BB4_9783 Depth=2
	v_bfe_u32 v20, v10, 23, 8
	v_or_b32_e32 v12, 0x800000, v14
	s_mov_b32 s41, exec_lo
	s_delay_alu instid0(VALU_DEP_2) | instskip(SKIP_1) | instid1(VALU_DEP_2)
	v_dual_mov_b32 v13, v15 :: v_dual_sub_nc_u32 v10, 0x71, v20
	v_cmp_gt_u32_e32 vcc_lo, 0x72, v20
	v_cndmask_b32_e32 v10, 0, v10, vcc_lo
	v_cmp_eq_u32_e32 vcc_lo, 0, v20
	s_delay_alu instid0(VALU_DEP_2) | instskip(NEXT) | instid1(VALU_DEP_1)
	v_cndmask_b32_e64 v21, v10, 0x70, vcc_lo
	v_dual_cndmask_b32 v12, v12, v14, vcc_lo :: v_dual_add_nc_u32 v10, 21, v21
	v_add_nc_u32_e32 v24, 20, v21
	s_delay_alu instid0(VALU_DEP_2) | instskip(NEXT) | instid1(VALU_DEP_2)
	v_lshlrev_b64_e64 v[10:11], v10, -1
	v_lshlrev_b64_e64 v[86:87], v24, 1
	s_delay_alu instid0(VALU_DEP_2) | instskip(NEXT) | instid1(VALU_DEP_3)
	v_bfi_b32 v107, v11, 0, 0
	v_bfi_b32 v106, v10, 0, v12
	v_lshrrev_b64 v[10:11], v21, v[12:13]
	s_delay_alu instid0(VALU_DEP_1) | instskip(NEXT) | instid1(VALU_DEP_3)
	v_mov_b64_e32 v[12:13], v[10:11]
	v_cmpx_eq_u64_e64 v[106:107], v[86:87]
; %bb.11215:                            ;   in Loop: Header=BB4_9783 Depth=2
	v_bfe_u32 v12, v10, 21, 1
	v_mov_b32_e32 v13, v15
	s_delay_alu instid0(VALU_DEP_1) | instskip(NEXT) | instid1(VALU_DEP_1)
	v_add_nc_u64_e32 v[12:13], v[10:11], v[12:13]
	v_add_nc_u64_e32 v[12:13], -1, v[12:13]
; %bb.11216:                            ;   in Loop: Header=BB4_9783 Depth=2
	s_or_b32 exec_lo, exec_lo, s41
	v_add_nc_u32_e32 v11, 0xffffff81, v20
	v_lshrrev_b32_e32 v13, 23, v10
	s_mov_b32 s10, exec_lo
	s_delay_alu instid0(VALU_DEP_2) | instskip(NEXT) | instid1(VALU_DEP_1)
	v_cndmask_b32_e64 v11, v11, 0xffffff82, vcc_lo
	v_add3_u32 v13, v21, v11, v13
	v_and_b32_e32 v11, 0x1fffff, v12
                                        ; implicit-def: $vgpr12
	s_delay_alu instid0(VALU_DEP_1) | instskip(NEXT) | instid1(VALU_DEP_1)
	v_dual_add_nc_u32 v20, 14, v13 :: v_dual_add_nc_u32 v14, v11, v10
                                        ; implicit-def: $vgpr10_vgpr11
	v_cmpx_ne_u32_e32 0, v20
	s_xor_b32 s10, exec_lo, s10
; %bb.11217:                            ;   in Loop: Header=BB4_9783 Depth=2
	s_delay_alu instid0(VALU_DEP_2) | instskip(SKIP_1) | instid1(VALU_DEP_1)
	v_cmp_lt_u64_e32 vcc_lo, 0xffffff, v[14:15]
	v_add_nc_u32_e32 v10, 15, v13
	v_cndmask_b32_e32 v12, v20, v10, vcc_lo
	v_cndmask_b32_e64 v10, 0, 1, vcc_lo
	s_delay_alu instid0(VALU_DEP_1)
	v_lshrrev_b64 v[10:11], v10, v[14:15]
; %bb.11218:                            ;   in Loop: Header=BB4_9783 Depth=2
	s_and_not1_saveexec_b32 s10, s10
; %bb.11219:                            ;   in Loop: Header=BB4_9783 Depth=2
	v_mov_b64_e32 v[10:11], v[14:15]
	v_bfe_u32 v12, v14, 23, 1
; %bb.11220:                            ;   in Loop: Header=BB4_9783 Depth=2
	s_or_b32 exec_lo, exec_lo, s10
	s_delay_alu instid0(VALU_DEP_2) | instskip(NEXT) | instid1(VALU_DEP_2)
	v_lshrrev_b64 v[10:11], 21, v[10:11]
	v_cmp_gt_i32_e32 vcc_lo, 32, v12
	v_min_i32_e32 v13, 31, v12
	v_cmp_eq_u32_e64 s10, 0, v12
	s_delay_alu instid0(VALU_DEP_2) | instskip(SKIP_1) | instid1(VALU_DEP_2)
	v_dual_cndmask_b32 v11, 0, v11, vcc_lo :: v_dual_lshlrev_b32 v13, 2, v13
	v_cndmask_b32_e32 v10, 3, v10, vcc_lo
	v_and_b32_e32 v13, 0xfc, v13
	s_delay_alu instid0(VALU_DEP_2) | instskip(NEXT) | instid1(VALU_DEP_2)
	v_cmp_eq_u64_e32 vcc_lo, 0, v[10:11]
	v_and_or_b32 v10, v10, 3, v13
	s_and_b32 s10, s10, vcc_lo
	s_delay_alu instid0(VALU_DEP_1) | instid1(SALU_CYCLE_1)
	v_cndmask_b32_e64 v10, v10, 0, s10
	s_delay_alu instid0(VALU_DEP_1)
	v_or_b32_e32 v105, v10, v2
.LBB4_11221:                            ;   in Loop: Header=BB4_9783 Depth=2
	s_or_b32 exec_lo, exec_lo, s40
                                        ; implicit-def: $vgpr2
.LBB4_11222:                            ;   in Loop: Header=BB4_9783 Depth=2
	s_and_not1_saveexec_b32 s10, s29
; %bb.11223:                            ;   in Loop: Header=BB4_9783 Depth=2
	v_or_b32_e32 v105, 0x7b, v2
; %bb.11224:                            ;   in Loop: Header=BB4_9783 Depth=2
	s_or_b32 exec_lo, exec_lo, s10
                                        ; implicit-def: $vgpr10
                                        ; implicit-def: $vgpr2
.LBB4_11225:                            ;   in Loop: Header=BB4_9783 Depth=2
	s_and_not1_saveexec_b32 s10, s28
	s_cbranch_execz .LBB4_11231
; %bb.11226:                            ;   in Loop: Header=BB4_9783 Depth=2
	s_mov_b32 s28, exec_lo
                                        ; implicit-def: $vgpr105
	v_cmpx_ne_u64_e32 0, v[14:15]
	s_xor_b32 s28, exec_lo, s28
; %bb.11227:                            ;   in Loop: Header=BB4_9783 Depth=2
	v_or_b32_e32 v105, 0x7f, v2
                                        ; implicit-def: $vgpr10
; %bb.11228:                            ;   in Loop: Header=BB4_9783 Depth=2
	s_and_not1_saveexec_b32 s28, s28
; %bb.11229:                            ;   in Loop: Header=BB4_9783 Depth=2
	v_cmp_lt_i32_e32 vcc_lo, -1, v10
	v_cndmask_b32_e32 v105, 0xfc, v101, vcc_lo
; %bb.11230:                            ;   in Loop: Header=BB4_9783 Depth=2
	s_or_b32 exec_lo, exec_lo, s28
.LBB4_11231:                            ;   in Loop: Header=BB4_9783 Depth=2
	s_delay_alu instid0(SALU_CYCLE_1) | instskip(SKIP_3) | instid1(VALU_DEP_1)
	s_or_b32 exec_lo, exec_lo, s10
	global_load_b128 v[10:13], v[84:85], off offset:1536 th:TH_LOAD_NT
	s_wait_loadcnt 0x0
	v_and_b32_e32 v2, 0xff, v10
	v_cmp_ne_u16_e32 vcc_lo, 0, v2
	v_mov_b32_e32 v2, 0
	s_wait_xcnt 0x0
	s_and_saveexec_b32 s10, vcc_lo
	s_cbranch_execz .LBB4_11241
; %bb.11232:                            ;   in Loop: Header=BB4_9783 Depth=2
	v_bfe_i32 v20, v10, 0, 8
	v_bfrev_b32_e32 v2, 1
	s_mov_b32 s28, exec_lo
	s_delay_alu instid0(VALU_DEP_2)
	v_cmpx_ne_u16_e32 0xff80, v20
	s_cbranch_execz .LBB4_11240
; %bb.11233:                            ;   in Loop: Header=BB4_9783 Depth=2
	v_and_b32_e32 v2, 0x7c, v10
	v_and_b32_e32 v14, 3, v10
	s_delay_alu instid0(VALU_DEP_2) | instskip(SKIP_1) | instid1(SALU_CYCLE_1)
	v_cmp_ne_u32_e32 vcc_lo, 0x7c, v2
                                        ; implicit-def: $vgpr2
	s_and_saveexec_b32 s29, vcc_lo
	s_xor_b32 s29, exec_lo, s29
	s_cbranch_execz .LBB4_11237
; %bb.11234:                            ;   in Loop: Header=BB4_9783 Depth=2
	v_bfe_u32 v2, v10, 2, 5
	s_mov_b32 s40, exec_lo
	s_delay_alu instid0(VALU_DEP_1)
	v_cmpx_eq_u32_e32 0, v2
; %bb.11235:                            ;   in Loop: Header=BB4_9783 Depth=2
	v_clz_i32_u32_e32 v2, v14
	s_delay_alu instid0(VALU_DEP_1) | instskip(NEXT) | instid1(VALU_DEP_1)
	v_min_u32_e32 v2, 32, v2
	v_subrev_nc_u32_e32 v14, 29, v2
	s_delay_alu instid0(VALU_DEP_1) | instskip(NEXT) | instid1(VALU_DEP_1)
	v_lshlrev_b64_e32 v[20:21], v14, v[10:11]
	v_dual_sub_nc_u32 v2, 30, v2 :: v_dual_bitop2_b32 v14, 3, v20 bitop3:0x40
; %bb.11236:                            ;   in Loop: Header=BB4_9783 Depth=2
	s_or_b32 exec_lo, exec_lo, s40
	v_lshlrev_b32_e32 v20, 24, v10
	s_delay_alu instid0(VALU_DEP_1) | instskip(NEXT) | instid1(VALU_DEP_1)
	v_and_b32_e32 v20, 0x80000000, v20
	v_lshl_add_u32 v2, v2, 23, v20
                                        ; implicit-def: $vgpr20
	s_delay_alu instid0(VALU_DEP_1) | instskip(NEXT) | instid1(VALU_DEP_1)
	v_lshl_or_b32 v2, v14, 21, v2
                                        ; implicit-def: $vgpr14
	v_add_nc_u32_e32 v2, 0x38000000, v2
.LBB4_11237:                            ;   in Loop: Header=BB4_9783 Depth=2
	s_and_not1_saveexec_b32 s29, s29
; %bb.11238:                            ;   in Loop: Header=BB4_9783 Depth=2
	v_cmp_lt_i16_e32 vcc_lo, -1, v20
	v_cndmask_b32_e32 v2, 0xff800000, v100, vcc_lo
	v_cmp_eq_u32_e32 vcc_lo, 0, v14
	s_delay_alu instid0(VALU_DEP_2)
	v_cndmask_b32_e32 v2, 0x7f800001, v2, vcc_lo
; %bb.11239:                            ;   in Loop: Header=BB4_9783 Depth=2
	s_or_b32 exec_lo, exec_lo, s29
.LBB4_11240:                            ;   in Loop: Header=BB4_9783 Depth=2
	s_delay_alu instid0(SALU_CYCLE_1)
	s_or_b32 exec_lo, exec_lo, s28
.LBB4_11241:                            ;   in Loop: Header=BB4_9783 Depth=2
	s_delay_alu instid0(SALU_CYCLE_1) | instskip(NEXT) | instid1(VALU_DEP_1)
	s_or_b32 exec_lo, exec_lo, s10
	v_dual_mul_f32 v30, s27, v2 :: v_dual_mov_b32 v21, v15
                                        ; implicit-def: $vgpr106
	s_mov_b32 s10, exec_lo
	s_delay_alu instid0(VALU_DEP_1) | instskip(SKIP_2) | instid1(VALU_DEP_3)
	v_and_b32_e32 v20, 0x7f800000, v30
	v_and_b32_e32 v14, 0x7fffff, v30
	v_lshrrev_b32_e32 v2, 24, v30
	v_cmpx_ne_u64_e32 0x7f800000, v[20:21]
	s_xor_b32 s28, exec_lo, s10
	s_cbranch_execz .LBB4_11255
; %bb.11242:                            ;   in Loop: Header=BB4_9783 Depth=2
	v_and_b32_e32 v20, 0x7fffffff, v30
	v_mov_b32_e32 v21, v15
	v_and_b32_e32 v2, 0x80, v2
                                        ; implicit-def: $vgpr106
	s_mov_b32 s10, exec_lo
	s_delay_alu instid0(VALU_DEP_2)
	v_cmpx_gt_u64_e32 0x47600001, v[20:21]
	s_xor_b32 s29, exec_lo, s10
	s_cbranch_execz .LBB4_11252
; %bb.11243:                            ;   in Loop: Header=BB4_9783 Depth=2
	v_mov_b32_e32 v106, 0
	s_mov_b32 s40, exec_lo
	v_cmpx_ne_u32_e32 0, v30
	s_cbranch_execz .LBB4_11251
; %bb.11244:                            ;   in Loop: Header=BB4_9783 Depth=2
	v_bfe_u32 v20, v30, 23, 8
	v_or_b32_e32 v25, 0x800000, v14
	s_mov_b32 s41, exec_lo
	v_mov_b32_e32 v87, v15
	s_delay_alu instid0(VALU_DEP_3) | instskip(SKIP_1) | instid1(VALU_DEP_2)
	v_sub_nc_u32_e32 v21, 0x71, v20
	v_cmp_gt_u32_e32 vcc_lo, 0x72, v20
	v_cndmask_b32_e32 v21, 0, v21, vcc_lo
	v_cmp_eq_u32_e32 vcc_lo, 0, v20
	s_delay_alu instid0(VALU_DEP_2) | instskip(NEXT) | instid1(VALU_DEP_1)
	v_cndmask_b32_e64 v21, v21, 0x70, vcc_lo
	v_dual_cndmask_b32 v86, v25, v14, vcc_lo :: v_dual_add_nc_u32 v24, 21, v21
	s_delay_alu instid0(VALU_DEP_1) | instskip(SKIP_1) | instid1(VALU_DEP_1)
	v_lshlrev_b64_e64 v[84:85], v24, -1
	v_add_nc_u32_e32 v24, 20, v21
	v_lshlrev_b64_e64 v[106:107], v24, 1
	s_delay_alu instid0(VALU_DEP_3) | instskip(NEXT) | instid1(VALU_DEP_4)
	v_bfi_b32 v109, v85, 0, 0
	v_bfi_b32 v108, v84, 0, v86
	v_lshrrev_b64 v[84:85], v21, v[86:87]
	s_delay_alu instid0(VALU_DEP_1) | instskip(NEXT) | instid1(VALU_DEP_3)
	v_mov_b64_e32 v[86:87], v[84:85]
	v_cmpx_eq_u64_e64 v[108:109], v[106:107]
; %bb.11245:                            ;   in Loop: Header=BB4_9783 Depth=2
	v_bfe_u32 v86, v84, 21, 1
	v_mov_b32_e32 v87, v15
	s_delay_alu instid0(VALU_DEP_1) | instskip(NEXT) | instid1(VALU_DEP_1)
	v_add_nc_u64_e32 v[86:87], v[84:85], v[86:87]
	v_add_nc_u64_e32 v[86:87], -1, v[86:87]
; %bb.11246:                            ;   in Loop: Header=BB4_9783 Depth=2
	s_or_b32 exec_lo, exec_lo, s41
	v_add_nc_u32_e32 v14, 0xffffff81, v20
	v_lshrrev_b32_e32 v20, 23, v84
	s_mov_b32 s10, exec_lo
	s_delay_alu instid0(VALU_DEP_2) | instskip(NEXT) | instid1(VALU_DEP_1)
	v_cndmask_b32_e64 v14, v14, 0xffffff82, vcc_lo
	v_add3_u32 v21, v21, v14, v20
	v_and_b32_e32 v14, 0x1fffff, v86
                                        ; implicit-def: $vgpr20
	s_delay_alu instid0(VALU_DEP_1) | instskip(NEXT) | instid1(VALU_DEP_1)
	v_dual_add_nc_u32 v30, 14, v21 :: v_dual_add_nc_u32 v14, v14, v84
                                        ; implicit-def: $vgpr84_vgpr85
	v_cmpx_ne_u32_e32 0, v30
	s_xor_b32 s10, exec_lo, s10
; %bb.11247:                            ;   in Loop: Header=BB4_9783 Depth=2
	s_delay_alu instid0(VALU_DEP_2) | instskip(SKIP_2) | instid1(VALU_DEP_2)
	v_cmp_lt_u64_e32 vcc_lo, 0xffffff, v[14:15]
	v_add_nc_u32_e32 v20, 15, v21
	v_cndmask_b32_e64 v21, 0, 1, vcc_lo
	v_cndmask_b32_e32 v20, v30, v20, vcc_lo
	s_delay_alu instid0(VALU_DEP_2)
	v_lshrrev_b64 v[84:85], v21, v[14:15]
; %bb.11248:                            ;   in Loop: Header=BB4_9783 Depth=2
	s_and_not1_saveexec_b32 s10, s10
; %bb.11249:                            ;   in Loop: Header=BB4_9783 Depth=2
	v_mov_b64_e32 v[84:85], v[14:15]
	v_bfe_u32 v20, v14, 23, 1
; %bb.11250:                            ;   in Loop: Header=BB4_9783 Depth=2
	s_or_b32 exec_lo, exec_lo, s10
	s_delay_alu instid0(VALU_DEP_2) | instskip(NEXT) | instid1(VALU_DEP_2)
	v_lshrrev_b64 v[84:85], 21, v[84:85]
	v_cmp_gt_i32_e32 vcc_lo, 32, v20
	v_min_i32_e32 v14, 31, v20
	v_cmp_eq_u32_e64 s10, 0, v20
	s_delay_alu instid0(VALU_DEP_2) | instskip(SKIP_1) | instid1(VALU_DEP_2)
	v_dual_cndmask_b32 v85, 0, v85 :: v_dual_lshlrev_b32 v14, 2, v14
	v_cndmask_b32_e32 v84, 3, v84, vcc_lo
	v_and_b32_e32 v14, 0xfc, v14
	s_delay_alu instid0(VALU_DEP_2) | instskip(NEXT) | instid1(VALU_DEP_2)
	v_cmp_eq_u64_e32 vcc_lo, 0, v[84:85]
	v_and_or_b32 v14, v84, 3, v14
	s_and_b32 s10, s10, vcc_lo
	s_delay_alu instid0(VALU_DEP_1) | instid1(SALU_CYCLE_1)
	v_cndmask_b32_e64 v14, v14, 0, s10
	s_delay_alu instid0(VALU_DEP_1)
	v_or_b32_e32 v106, v14, v2
.LBB4_11251:                            ;   in Loop: Header=BB4_9783 Depth=2
	s_or_b32 exec_lo, exec_lo, s40
                                        ; implicit-def: $vgpr2
.LBB4_11252:                            ;   in Loop: Header=BB4_9783 Depth=2
	s_and_not1_saveexec_b32 s10, s29
; %bb.11253:                            ;   in Loop: Header=BB4_9783 Depth=2
	v_or_b32_e32 v106, 0x7b, v2
; %bb.11254:                            ;   in Loop: Header=BB4_9783 Depth=2
	s_or_b32 exec_lo, exec_lo, s10
                                        ; implicit-def: $vgpr30
                                        ; implicit-def: $vgpr2
.LBB4_11255:                            ;   in Loop: Header=BB4_9783 Depth=2
	s_and_not1_saveexec_b32 s10, s28
	s_cbranch_execz .LBB4_11261
; %bb.11256:                            ;   in Loop: Header=BB4_9783 Depth=2
	s_mov_b32 s28, exec_lo
                                        ; implicit-def: $vgpr106
	v_cmpx_ne_u64_e32 0, v[14:15]
	s_xor_b32 s28, exec_lo, s28
; %bb.11257:                            ;   in Loop: Header=BB4_9783 Depth=2
	v_or_b32_e32 v106, 0x7f, v2
                                        ; implicit-def: $vgpr30
; %bb.11258:                            ;   in Loop: Header=BB4_9783 Depth=2
	s_and_not1_saveexec_b32 s28, s28
; %bb.11259:                            ;   in Loop: Header=BB4_9783 Depth=2
	v_cmp_lt_i32_e32 vcc_lo, -1, v30
	v_cndmask_b32_e32 v106, 0xfc, v101, vcc_lo
; %bb.11260:                            ;   in Loop: Header=BB4_9783 Depth=2
	s_or_b32 exec_lo, exec_lo, s28
.LBB4_11261:                            ;   in Loop: Header=BB4_9783 Depth=2
	s_delay_alu instid0(SALU_CYCLE_1) | instskip(SKIP_3) | instid1(VALU_DEP_2)
	s_or_b32 exec_lo, exec_lo, s10
	v_lshrrev_b16 v84, 8, v10
	v_mov_b32_e32 v14, 0
	s_mov_b32 s10, exec_lo
	v_cmpx_ne_u16_e32 0, v84
	s_cbranch_execz .LBB4_11271
; %bb.11262:                            ;   in Loop: Header=BB4_9783 Depth=2
	v_bfrev_b32_e32 v14, 1
	s_mov_b32 s28, exec_lo
	v_cmpx_ne_u16_e32 0x80, v84
	s_cbranch_execz .LBB4_11270
; %bb.11263:                            ;   in Loop: Header=BB4_9783 Depth=2
	v_and_b32_e32 v20, 0xffff, v84
	s_delay_alu instid0(VALU_DEP_1) | instskip(SKIP_1) | instid1(VALU_DEP_2)
	v_and_b32_e32 v14, 0x7c, v20
	v_and_b32_e32 v2, 3, v20
	v_cmp_ne_u32_e32 vcc_lo, 0x7c, v14
                                        ; implicit-def: $vgpr14
	s_and_saveexec_b32 s29, vcc_lo
	s_delay_alu instid0(SALU_CYCLE_1)
	s_xor_b32 s29, exec_lo, s29
	s_cbranch_execz .LBB4_11267
; %bb.11264:                            ;   in Loop: Header=BB4_9783 Depth=2
	v_bfe_u32 v14, v20, 2, 5
	s_mov_b32 s40, exec_lo
	s_delay_alu instid0(VALU_DEP_1)
	v_cmpx_eq_u32_e32 0, v14
; %bb.11265:                            ;   in Loop: Header=BB4_9783 Depth=2
	v_clz_i32_u32_e32 v2, v2
	s_delay_alu instid0(VALU_DEP_1) | instskip(SKIP_1) | instid1(VALU_DEP_2)
	v_min_u32_e32 v2, 32, v2
	v_mov_b32_e32 v85, v15
	v_subrev_nc_u32_e32 v14, 29, v2
	s_delay_alu instid0(VALU_DEP_1) | instskip(NEXT) | instid1(VALU_DEP_1)
	v_lshlrev_b64_e32 v[20:21], v14, v[84:85]
	v_dual_sub_nc_u32 v14, 30, v2 :: v_dual_bitop2_b32 v2, 3, v20 bitop3:0x40
; %bb.11266:                            ;   in Loop: Header=BB4_9783 Depth=2
	s_or_b32 exec_lo, exec_lo, s40
	v_lshlrev_b32_e32 v20, 16, v10
	s_delay_alu instid0(VALU_DEP_1) | instskip(NEXT) | instid1(VALU_DEP_1)
	v_and_b32_e32 v20, 0x80000000, v20
	v_lshl_add_u32 v14, v14, 23, v20
	s_delay_alu instid0(VALU_DEP_1) | instskip(NEXT) | instid1(VALU_DEP_1)
	v_lshl_or_b32 v2, v2, 21, v14
	v_add_nc_u32_e32 v14, 0x38000000, v2
                                        ; implicit-def: $vgpr2
.LBB4_11267:                            ;   in Loop: Header=BB4_9783 Depth=2
	s_and_not1_saveexec_b32 s29, s29
; %bb.11268:                            ;   in Loop: Header=BB4_9783 Depth=2
	v_cmp_lt_i16_e32 vcc_lo, -1, v10
	v_cndmask_b32_e32 v14, 0xff800000, v100, vcc_lo
	v_cmp_eq_u32_e32 vcc_lo, 0, v2
	s_delay_alu instid0(VALU_DEP_2)
	v_cndmask_b32_e32 v14, 0x7f800001, v14, vcc_lo
; %bb.11269:                            ;   in Loop: Header=BB4_9783 Depth=2
	s_or_b32 exec_lo, exec_lo, s29
.LBB4_11270:                            ;   in Loop: Header=BB4_9783 Depth=2
	s_delay_alu instid0(SALU_CYCLE_1)
	s_or_b32 exec_lo, exec_lo, s28
.LBB4_11271:                            ;   in Loop: Header=BB4_9783 Depth=2
	s_delay_alu instid0(SALU_CYCLE_1) | instskip(NEXT) | instid1(VALU_DEP_1)
	s_or_b32 exec_lo, exec_lo, s10
	v_dual_mul_f32 v30, s27, v14 :: v_dual_mov_b32 v21, v15
                                        ; implicit-def: $vgpr107
	s_mov_b32 s10, exec_lo
	s_delay_alu instid0(VALU_DEP_1) | instskip(SKIP_2) | instid1(VALU_DEP_3)
	v_and_b32_e32 v20, 0x7f800000, v30
	v_and_b32_e32 v14, 0x7fffff, v30
	v_lshrrev_b32_e32 v2, 24, v30
	v_cmpx_ne_u64_e32 0x7f800000, v[20:21]
	s_xor_b32 s28, exec_lo, s10
	s_cbranch_execz .LBB4_11285
; %bb.11272:                            ;   in Loop: Header=BB4_9783 Depth=2
	v_and_b32_e32 v20, 0x7fffffff, v30
	v_mov_b32_e32 v21, v15
	v_and_b32_e32 v2, 0x80, v2
                                        ; implicit-def: $vgpr107
	s_mov_b32 s10, exec_lo
	s_delay_alu instid0(VALU_DEP_2)
	v_cmpx_gt_u64_e32 0x47600001, v[20:21]
	s_xor_b32 s29, exec_lo, s10
	s_cbranch_execz .LBB4_11282
; %bb.11273:                            ;   in Loop: Header=BB4_9783 Depth=2
	v_mov_b32_e32 v107, 0
	s_mov_b32 s40, exec_lo
	v_cmpx_ne_u32_e32 0, v30
	s_cbranch_execz .LBB4_11281
; %bb.11274:                            ;   in Loop: Header=BB4_9783 Depth=2
	v_bfe_u32 v20, v30, 23, 8
	v_or_b32_e32 v25, 0x800000, v14
	s_mov_b32 s41, exec_lo
	v_mov_b32_e32 v87, v15
	s_delay_alu instid0(VALU_DEP_3) | instskip(SKIP_1) | instid1(VALU_DEP_2)
	v_sub_nc_u32_e32 v21, 0x71, v20
	v_cmp_gt_u32_e32 vcc_lo, 0x72, v20
	v_cndmask_b32_e32 v21, 0, v21, vcc_lo
	v_cmp_eq_u32_e32 vcc_lo, 0, v20
	s_delay_alu instid0(VALU_DEP_2) | instskip(NEXT) | instid1(VALU_DEP_1)
	v_cndmask_b32_e64 v21, v21, 0x70, vcc_lo
	v_dual_cndmask_b32 v86, v25, v14, vcc_lo :: v_dual_add_nc_u32 v24, 21, v21
	s_delay_alu instid0(VALU_DEP_1) | instskip(SKIP_1) | instid1(VALU_DEP_1)
	v_lshlrev_b64_e64 v[84:85], v24, -1
	v_add_nc_u32_e32 v24, 20, v21
	v_lshlrev_b64_e64 v[108:109], v24, 1
	s_delay_alu instid0(VALU_DEP_3) | instskip(NEXT) | instid1(VALU_DEP_4)
	v_bfi_b32 v111, v85, 0, 0
	v_bfi_b32 v110, v84, 0, v86
	v_lshrrev_b64 v[84:85], v21, v[86:87]
	s_delay_alu instid0(VALU_DEP_1) | instskip(NEXT) | instid1(VALU_DEP_3)
	v_mov_b64_e32 v[86:87], v[84:85]
	v_cmpx_eq_u64_e64 v[110:111], v[108:109]
; %bb.11275:                            ;   in Loop: Header=BB4_9783 Depth=2
	v_bfe_u32 v86, v84, 21, 1
	v_mov_b32_e32 v87, v15
	s_delay_alu instid0(VALU_DEP_1) | instskip(NEXT) | instid1(VALU_DEP_1)
	v_add_nc_u64_e32 v[86:87], v[84:85], v[86:87]
	v_add_nc_u64_e32 v[86:87], -1, v[86:87]
; %bb.11276:                            ;   in Loop: Header=BB4_9783 Depth=2
	s_or_b32 exec_lo, exec_lo, s41
	v_add_nc_u32_e32 v14, 0xffffff81, v20
	v_lshrrev_b32_e32 v20, 23, v84
	s_mov_b32 s10, exec_lo
	s_delay_alu instid0(VALU_DEP_2) | instskip(NEXT) | instid1(VALU_DEP_1)
	v_cndmask_b32_e64 v14, v14, 0xffffff82, vcc_lo
	v_add3_u32 v21, v21, v14, v20
	v_and_b32_e32 v14, 0x1fffff, v86
                                        ; implicit-def: $vgpr20
	s_delay_alu instid0(VALU_DEP_1) | instskip(NEXT) | instid1(VALU_DEP_1)
	v_dual_add_nc_u32 v30, 14, v21 :: v_dual_add_nc_u32 v14, v14, v84
                                        ; implicit-def: $vgpr84_vgpr85
	v_cmpx_ne_u32_e32 0, v30
	s_xor_b32 s10, exec_lo, s10
; %bb.11277:                            ;   in Loop: Header=BB4_9783 Depth=2
	s_delay_alu instid0(VALU_DEP_2) | instskip(SKIP_2) | instid1(VALU_DEP_2)
	v_cmp_lt_u64_e32 vcc_lo, 0xffffff, v[14:15]
	v_add_nc_u32_e32 v20, 15, v21
	v_cndmask_b32_e64 v21, 0, 1, vcc_lo
	v_cndmask_b32_e32 v20, v30, v20, vcc_lo
	s_delay_alu instid0(VALU_DEP_2)
	v_lshrrev_b64 v[84:85], v21, v[14:15]
; %bb.11278:                            ;   in Loop: Header=BB4_9783 Depth=2
	s_and_not1_saveexec_b32 s10, s10
; %bb.11279:                            ;   in Loop: Header=BB4_9783 Depth=2
	v_mov_b64_e32 v[84:85], v[14:15]
	v_bfe_u32 v20, v14, 23, 1
; %bb.11280:                            ;   in Loop: Header=BB4_9783 Depth=2
	s_or_b32 exec_lo, exec_lo, s10
	s_delay_alu instid0(VALU_DEP_2) | instskip(NEXT) | instid1(VALU_DEP_2)
	v_lshrrev_b64 v[84:85], 21, v[84:85]
	v_cmp_gt_i32_e32 vcc_lo, 32, v20
	v_min_i32_e32 v14, 31, v20
	v_cmp_eq_u32_e64 s10, 0, v20
	s_delay_alu instid0(VALU_DEP_2) | instskip(SKIP_1) | instid1(VALU_DEP_2)
	v_dual_cndmask_b32 v85, 0, v85 :: v_dual_lshlrev_b32 v14, 2, v14
	v_cndmask_b32_e32 v84, 3, v84, vcc_lo
	v_and_b32_e32 v14, 0xfc, v14
	s_delay_alu instid0(VALU_DEP_2) | instskip(NEXT) | instid1(VALU_DEP_2)
	v_cmp_eq_u64_e32 vcc_lo, 0, v[84:85]
	v_and_or_b32 v14, v84, 3, v14
	s_and_b32 s10, s10, vcc_lo
	s_delay_alu instid0(VALU_DEP_1) | instid1(SALU_CYCLE_1)
	v_cndmask_b32_e64 v14, v14, 0, s10
	s_delay_alu instid0(VALU_DEP_1)
	v_or_b32_e32 v107, v14, v2
.LBB4_11281:                            ;   in Loop: Header=BB4_9783 Depth=2
	s_or_b32 exec_lo, exec_lo, s40
                                        ; implicit-def: $vgpr2
.LBB4_11282:                            ;   in Loop: Header=BB4_9783 Depth=2
	s_and_not1_saveexec_b32 s10, s29
; %bb.11283:                            ;   in Loop: Header=BB4_9783 Depth=2
	v_or_b32_e32 v107, 0x7b, v2
; %bb.11284:                            ;   in Loop: Header=BB4_9783 Depth=2
	s_or_b32 exec_lo, exec_lo, s10
                                        ; implicit-def: $vgpr30
                                        ; implicit-def: $vgpr2
.LBB4_11285:                            ;   in Loop: Header=BB4_9783 Depth=2
	s_and_not1_saveexec_b32 s10, s28
	s_cbranch_execz .LBB4_11291
; %bb.11286:                            ;   in Loop: Header=BB4_9783 Depth=2
	s_mov_b32 s28, exec_lo
                                        ; implicit-def: $vgpr107
	v_cmpx_ne_u64_e32 0, v[14:15]
	s_xor_b32 s28, exec_lo, s28
; %bb.11287:                            ;   in Loop: Header=BB4_9783 Depth=2
	v_or_b32_e32 v107, 0x7f, v2
                                        ; implicit-def: $vgpr30
; %bb.11288:                            ;   in Loop: Header=BB4_9783 Depth=2
	s_and_not1_saveexec_b32 s28, s28
; %bb.11289:                            ;   in Loop: Header=BB4_9783 Depth=2
	v_cmp_lt_i32_e32 vcc_lo, -1, v30
	v_cndmask_b32_e32 v107, 0xfc, v101, vcc_lo
; %bb.11290:                            ;   in Loop: Header=BB4_9783 Depth=2
	s_or_b32 exec_lo, exec_lo, s28
.LBB4_11291:                            ;   in Loop: Header=BB4_9783 Depth=2
	s_delay_alu instid0(SALU_CYCLE_1) | instskip(SKIP_2) | instid1(VALU_DEP_1)
	s_or_b32 exec_lo, exec_lo, s10
	v_dual_lshrrev_b32 v14, 16, v10 :: v_dual_mov_b32 v20, 0
	s_mov_b32 s10, exec_lo
	v_and_b32_e32 v2, 0xff, v14
	s_delay_alu instid0(VALU_DEP_1)
	v_cmpx_ne_u16_e32 0, v2
	s_cbranch_execz .LBB4_11301
; %bb.11292:                            ;   in Loop: Header=BB4_9783 Depth=2
	v_bfrev_b32_e32 v20, 1
	s_mov_b32 s28, exec_lo
	v_cmpx_ne_u16_e32 0x80, v2
	s_cbranch_execz .LBB4_11300
; %bb.11293:                            ;   in Loop: Header=BB4_9783 Depth=2
	v_and_b32_e32 v20, 0x7c0000, v10
	v_bfe_u32 v2, v10, 16, 2
	s_delay_alu instid0(VALU_DEP_2) | instskip(SKIP_1) | instid1(SALU_CYCLE_1)
	v_cmp_ne_u32_e32 vcc_lo, 0x7c0000, v20
                                        ; implicit-def: $vgpr20
	s_and_saveexec_b32 s29, vcc_lo
	s_xor_b32 s29, exec_lo, s29
	s_cbranch_execz .LBB4_11297
; %bb.11294:                            ;   in Loop: Header=BB4_9783 Depth=2
	v_bfe_u32 v20, v10, 18, 5
	s_mov_b32 s40, exec_lo
	s_delay_alu instid0(VALU_DEP_1)
	v_cmpx_eq_u32_e32 0, v20
; %bb.11295:                            ;   in Loop: Header=BB4_9783 Depth=2
	v_clz_i32_u32_e32 v2, v2
	s_delay_alu instid0(VALU_DEP_1) | instskip(NEXT) | instid1(VALU_DEP_1)
	v_min_u32_e32 v2, 32, v2
	v_subrev_nc_u32_e32 v20, 29, v2
	s_delay_alu instid0(VALU_DEP_1) | instskip(NEXT) | instid1(VALU_DEP_1)
	v_lshlrev_b64_e32 v[84:85], v20, v[14:15]
	v_dual_sub_nc_u32 v20, 30, v2 :: v_dual_bitop2_b32 v2, 3, v84 bitop3:0x40
; %bb.11296:                            ;   in Loop: Header=BB4_9783 Depth=2
	s_or_b32 exec_lo, exec_lo, s40
	v_lshlrev_b32_e32 v14, 24, v14
	s_delay_alu instid0(VALU_DEP_1) | instskip(NEXT) | instid1(VALU_DEP_1)
	v_and_b32_e32 v14, 0x80000000, v14
	v_lshl_add_u32 v14, v20, 23, v14
	s_delay_alu instid0(VALU_DEP_1) | instskip(NEXT) | instid1(VALU_DEP_1)
	v_lshl_or_b32 v2, v2, 21, v14
                                        ; implicit-def: $vgpr14
	v_add_nc_u32_e32 v20, 0x38000000, v2
                                        ; implicit-def: $vgpr2
.LBB4_11297:                            ;   in Loop: Header=BB4_9783 Depth=2
	s_and_not1_saveexec_b32 s29, s29
; %bb.11298:                            ;   in Loop: Header=BB4_9783 Depth=2
	v_bfe_i32 v14, v14, 0, 8
	s_delay_alu instid0(VALU_DEP_1) | instskip(SKIP_2) | instid1(VALU_DEP_2)
	v_cmp_lt_i16_e32 vcc_lo, -1, v14
	v_cndmask_b32_e32 v14, 0xff800000, v100, vcc_lo
	v_cmp_eq_u32_e32 vcc_lo, 0, v2
	v_cndmask_b32_e32 v20, 0x7f800001, v14, vcc_lo
; %bb.11299:                            ;   in Loop: Header=BB4_9783 Depth=2
	s_or_b32 exec_lo, exec_lo, s29
.LBB4_11300:                            ;   in Loop: Header=BB4_9783 Depth=2
	s_delay_alu instid0(SALU_CYCLE_1)
	s_or_b32 exec_lo, exec_lo, s28
.LBB4_11301:                            ;   in Loop: Header=BB4_9783 Depth=2
	s_delay_alu instid0(SALU_CYCLE_1) | instskip(NEXT) | instid1(VALU_DEP_1)
	s_or_b32 exec_lo, exec_lo, s10
	v_dual_mul_f32 v30, s27, v20 :: v_dual_mov_b32 v21, v15
                                        ; implicit-def: $vgpr108
	s_mov_b32 s10, exec_lo
	s_delay_alu instid0(VALU_DEP_1) | instskip(SKIP_2) | instid1(VALU_DEP_3)
	v_and_b32_e32 v20, 0x7f800000, v30
	v_and_b32_e32 v14, 0x7fffff, v30
	v_lshrrev_b32_e32 v2, 24, v30
	v_cmpx_ne_u64_e32 0x7f800000, v[20:21]
	s_xor_b32 s28, exec_lo, s10
	s_cbranch_execz .LBB4_11315
; %bb.11302:                            ;   in Loop: Header=BB4_9783 Depth=2
	v_and_b32_e32 v20, 0x7fffffff, v30
	v_mov_b32_e32 v21, v15
	v_and_b32_e32 v2, 0x80, v2
                                        ; implicit-def: $vgpr108
	s_mov_b32 s10, exec_lo
	s_delay_alu instid0(VALU_DEP_2)
	v_cmpx_gt_u64_e32 0x47600001, v[20:21]
	s_xor_b32 s29, exec_lo, s10
	s_cbranch_execz .LBB4_11312
; %bb.11303:                            ;   in Loop: Header=BB4_9783 Depth=2
	v_mov_b32_e32 v108, 0
	s_mov_b32 s40, exec_lo
	v_cmpx_ne_u32_e32 0, v30
	s_cbranch_execz .LBB4_11311
; %bb.11304:                            ;   in Loop: Header=BB4_9783 Depth=2
	v_bfe_u32 v20, v30, 23, 8
	v_or_b32_e32 v25, 0x800000, v14
	s_mov_b32 s41, exec_lo
	v_mov_b32_e32 v87, v15
	s_delay_alu instid0(VALU_DEP_3) | instskip(SKIP_1) | instid1(VALU_DEP_2)
	v_sub_nc_u32_e32 v21, 0x71, v20
	v_cmp_gt_u32_e32 vcc_lo, 0x72, v20
	v_cndmask_b32_e32 v21, 0, v21, vcc_lo
	v_cmp_eq_u32_e32 vcc_lo, 0, v20
	s_delay_alu instid0(VALU_DEP_2) | instskip(NEXT) | instid1(VALU_DEP_1)
	v_cndmask_b32_e64 v21, v21, 0x70, vcc_lo
	v_dual_cndmask_b32 v86, v25, v14, vcc_lo :: v_dual_add_nc_u32 v24, 21, v21
	s_delay_alu instid0(VALU_DEP_1) | instskip(SKIP_1) | instid1(VALU_DEP_1)
	v_lshlrev_b64_e64 v[84:85], v24, -1
	v_add_nc_u32_e32 v24, 20, v21
	v_lshlrev_b64_e64 v[108:109], v24, 1
	s_delay_alu instid0(VALU_DEP_3) | instskip(NEXT) | instid1(VALU_DEP_4)
	v_bfi_b32 v111, v85, 0, 0
	v_bfi_b32 v110, v84, 0, v86
	v_lshrrev_b64 v[84:85], v21, v[86:87]
	s_delay_alu instid0(VALU_DEP_1) | instskip(NEXT) | instid1(VALU_DEP_3)
	v_mov_b64_e32 v[86:87], v[84:85]
	v_cmpx_eq_u64_e64 v[110:111], v[108:109]
; %bb.11305:                            ;   in Loop: Header=BB4_9783 Depth=2
	v_bfe_u32 v86, v84, 21, 1
	v_mov_b32_e32 v87, v15
	s_delay_alu instid0(VALU_DEP_1) | instskip(NEXT) | instid1(VALU_DEP_1)
	v_add_nc_u64_e32 v[86:87], v[84:85], v[86:87]
	v_add_nc_u64_e32 v[86:87], -1, v[86:87]
; %bb.11306:                            ;   in Loop: Header=BB4_9783 Depth=2
	s_or_b32 exec_lo, exec_lo, s41
	v_add_nc_u32_e32 v14, 0xffffff81, v20
	v_lshrrev_b32_e32 v20, 23, v84
	s_mov_b32 s10, exec_lo
	s_delay_alu instid0(VALU_DEP_2) | instskip(NEXT) | instid1(VALU_DEP_1)
	v_cndmask_b32_e64 v14, v14, 0xffffff82, vcc_lo
	v_add3_u32 v21, v21, v14, v20
	v_and_b32_e32 v14, 0x1fffff, v86
                                        ; implicit-def: $vgpr20
	s_delay_alu instid0(VALU_DEP_1) | instskip(NEXT) | instid1(VALU_DEP_1)
	v_dual_add_nc_u32 v30, 14, v21 :: v_dual_add_nc_u32 v14, v14, v84
                                        ; implicit-def: $vgpr84_vgpr85
	v_cmpx_ne_u32_e32 0, v30
	s_xor_b32 s10, exec_lo, s10
; %bb.11307:                            ;   in Loop: Header=BB4_9783 Depth=2
	s_delay_alu instid0(VALU_DEP_2) | instskip(SKIP_2) | instid1(VALU_DEP_2)
	v_cmp_lt_u64_e32 vcc_lo, 0xffffff, v[14:15]
	v_add_nc_u32_e32 v20, 15, v21
	v_cndmask_b32_e64 v21, 0, 1, vcc_lo
	v_cndmask_b32_e32 v20, v30, v20, vcc_lo
	s_delay_alu instid0(VALU_DEP_2)
	v_lshrrev_b64 v[84:85], v21, v[14:15]
; %bb.11308:                            ;   in Loop: Header=BB4_9783 Depth=2
	s_and_not1_saveexec_b32 s10, s10
; %bb.11309:                            ;   in Loop: Header=BB4_9783 Depth=2
	v_mov_b64_e32 v[84:85], v[14:15]
	v_bfe_u32 v20, v14, 23, 1
; %bb.11310:                            ;   in Loop: Header=BB4_9783 Depth=2
	s_or_b32 exec_lo, exec_lo, s10
	s_delay_alu instid0(VALU_DEP_2) | instskip(NEXT) | instid1(VALU_DEP_2)
	v_lshrrev_b64 v[84:85], 21, v[84:85]
	v_cmp_gt_i32_e32 vcc_lo, 32, v20
	v_min_i32_e32 v14, 31, v20
	v_cmp_eq_u32_e64 s10, 0, v20
	s_delay_alu instid0(VALU_DEP_2) | instskip(SKIP_1) | instid1(VALU_DEP_2)
	v_dual_cndmask_b32 v85, 0, v85 :: v_dual_lshlrev_b32 v14, 2, v14
	v_cndmask_b32_e32 v84, 3, v84, vcc_lo
	v_and_b32_e32 v14, 0xfc, v14
	s_delay_alu instid0(VALU_DEP_2) | instskip(NEXT) | instid1(VALU_DEP_2)
	v_cmp_eq_u64_e32 vcc_lo, 0, v[84:85]
	v_and_or_b32 v14, v84, 3, v14
	s_and_b32 s10, s10, vcc_lo
	s_delay_alu instid0(VALU_DEP_1) | instid1(SALU_CYCLE_1)
	v_cndmask_b32_e64 v14, v14, 0, s10
	s_delay_alu instid0(VALU_DEP_1)
	v_or_b32_e32 v108, v14, v2
.LBB4_11311:                            ;   in Loop: Header=BB4_9783 Depth=2
	s_or_b32 exec_lo, exec_lo, s40
                                        ; implicit-def: $vgpr2
.LBB4_11312:                            ;   in Loop: Header=BB4_9783 Depth=2
	s_and_not1_saveexec_b32 s10, s29
; %bb.11313:                            ;   in Loop: Header=BB4_9783 Depth=2
	v_or_b32_e32 v108, 0x7b, v2
; %bb.11314:                            ;   in Loop: Header=BB4_9783 Depth=2
	s_or_b32 exec_lo, exec_lo, s10
                                        ; implicit-def: $vgpr30
                                        ; implicit-def: $vgpr2
.LBB4_11315:                            ;   in Loop: Header=BB4_9783 Depth=2
	s_and_not1_saveexec_b32 s10, s28
	s_cbranch_execz .LBB4_11321
; %bb.11316:                            ;   in Loop: Header=BB4_9783 Depth=2
	s_mov_b32 s28, exec_lo
                                        ; implicit-def: $vgpr108
	v_cmpx_ne_u64_e32 0, v[14:15]
	s_xor_b32 s28, exec_lo, s28
; %bb.11317:                            ;   in Loop: Header=BB4_9783 Depth=2
	v_or_b32_e32 v108, 0x7f, v2
                                        ; implicit-def: $vgpr30
; %bb.11318:                            ;   in Loop: Header=BB4_9783 Depth=2
	s_and_not1_saveexec_b32 s28, s28
; %bb.11319:                            ;   in Loop: Header=BB4_9783 Depth=2
	v_cmp_lt_i32_e32 vcc_lo, -1, v30
	v_cndmask_b32_e32 v108, 0xfc, v101, vcc_lo
; %bb.11320:                            ;   in Loop: Header=BB4_9783 Depth=2
	s_or_b32 exec_lo, exec_lo, s28
.LBB4_11321:                            ;   in Loop: Header=BB4_9783 Depth=2
	s_delay_alu instid0(SALU_CYCLE_1)
	s_or_b32 exec_lo, exec_lo, s10
	v_mov_b32_e32 v2, 0
	s_mov_b32 s10, exec_lo
	v_cmpx_lt_u32_e32 0xffffff, v10
	s_cbranch_execz .LBB4_11331
; %bb.11322:                            ;   in Loop: Header=BB4_9783 Depth=2
	v_lshrrev_b32_e32 v14, 24, v10
	v_bfrev_b32_e32 v2, 1
	s_mov_b32 s28, exec_lo
	s_delay_alu instid0(VALU_DEP_2)
	v_cmpx_ne_u32_e32 0x80, v14
	s_cbranch_execz .LBB4_11330
; %bb.11323:                            ;   in Loop: Header=BB4_9783 Depth=2
	v_and_b32_e32 v2, 0x7c000000, v10
	v_bfe_u32 v20, v10, 24, 2
	s_delay_alu instid0(VALU_DEP_2) | instskip(SKIP_1) | instid1(SALU_CYCLE_1)
	v_cmp_ne_u32_e32 vcc_lo, 0x7c000000, v2
                                        ; implicit-def: $vgpr2
	s_and_saveexec_b32 s29, vcc_lo
	s_xor_b32 s29, exec_lo, s29
	s_cbranch_execz .LBB4_11327
; %bb.11324:                            ;   in Loop: Header=BB4_9783 Depth=2
	v_bfe_u32 v2, v10, 26, 5
	s_mov_b32 s40, exec_lo
	s_delay_alu instid0(VALU_DEP_1)
	v_cmpx_eq_u32_e32 0, v2
; %bb.11325:                            ;   in Loop: Header=BB4_9783 Depth=2
	v_clz_i32_u32_e32 v2, v20
	s_delay_alu instid0(VALU_DEP_1) | instskip(NEXT) | instid1(VALU_DEP_1)
	v_min_u32_e32 v2, 32, v2
	v_subrev_nc_u32_e32 v20, 29, v2
	s_delay_alu instid0(VALU_DEP_1) | instskip(NEXT) | instid1(VALU_DEP_1)
	v_lshlrev_b64_e32 v[20:21], v20, v[14:15]
	v_dual_sub_nc_u32 v2, 30, v2 :: v_dual_bitop2_b32 v20, 3, v20 bitop3:0x40
; %bb.11326:                            ;   in Loop: Header=BB4_9783 Depth=2
	s_or_b32 exec_lo, exec_lo, s40
	v_and_b32_e32 v14, 0x80000000, v10
	s_delay_alu instid0(VALU_DEP_1) | instskip(NEXT) | instid1(VALU_DEP_1)
	v_lshl_add_u32 v2, v2, 23, v14
	v_lshl_or_b32 v2, v20, 21, v2
                                        ; implicit-def: $vgpr20
	s_delay_alu instid0(VALU_DEP_1)
	v_add_nc_u32_e32 v2, 0x38000000, v2
.LBB4_11327:                            ;   in Loop: Header=BB4_9783 Depth=2
	s_and_not1_saveexec_b32 s29, s29
; %bb.11328:                            ;   in Loop: Header=BB4_9783 Depth=2
	v_cmp_lt_i32_e32 vcc_lo, -1, v10
	v_cndmask_b32_e32 v2, 0xff800000, v100, vcc_lo
	v_cmp_eq_u32_e32 vcc_lo, 0, v20
	s_delay_alu instid0(VALU_DEP_2)
	v_cndmask_b32_e32 v2, 0x7f800001, v2, vcc_lo
; %bb.11329:                            ;   in Loop: Header=BB4_9783 Depth=2
	s_or_b32 exec_lo, exec_lo, s29
.LBB4_11330:                            ;   in Loop: Header=BB4_9783 Depth=2
	s_delay_alu instid0(SALU_CYCLE_1)
	s_or_b32 exec_lo, exec_lo, s28
.LBB4_11331:                            ;   in Loop: Header=BB4_9783 Depth=2
	s_delay_alu instid0(SALU_CYCLE_1) | instskip(NEXT) | instid1(VALU_DEP_1)
	s_or_b32 exec_lo, exec_lo, s10
	v_dual_mul_f32 v30, s27, v2 :: v_dual_mov_b32 v21, v15
                                        ; implicit-def: $vgpr109
	s_mov_b32 s10, exec_lo
	s_delay_alu instid0(VALU_DEP_1) | instskip(SKIP_2) | instid1(VALU_DEP_3)
	v_and_b32_e32 v20, 0x7f800000, v30
	v_and_b32_e32 v14, 0x7fffff, v30
	v_lshrrev_b32_e32 v2, 24, v30
	v_cmpx_ne_u64_e32 0x7f800000, v[20:21]
	s_xor_b32 s28, exec_lo, s10
	s_cbranch_execz .LBB4_11345
; %bb.11332:                            ;   in Loop: Header=BB4_9783 Depth=2
	v_and_b32_e32 v20, 0x7fffffff, v30
	v_mov_b32_e32 v21, v15
	v_and_b32_e32 v2, 0x80, v2
                                        ; implicit-def: $vgpr109
	s_mov_b32 s10, exec_lo
	s_delay_alu instid0(VALU_DEP_2)
	v_cmpx_gt_u64_e32 0x47600001, v[20:21]
	s_xor_b32 s29, exec_lo, s10
	s_cbranch_execz .LBB4_11342
; %bb.11333:                            ;   in Loop: Header=BB4_9783 Depth=2
	v_mov_b32_e32 v109, 0
	s_mov_b32 s40, exec_lo
	v_cmpx_ne_u32_e32 0, v30
	s_cbranch_execz .LBB4_11341
; %bb.11334:                            ;   in Loop: Header=BB4_9783 Depth=2
	v_bfe_u32 v98, v30, 23, 8
	v_or_b32_e32 v21, 0x800000, v14
	s_delay_alu instid0(VALU_DEP_2) | instskip(SKIP_2) | instid1(VALU_DEP_2)
	v_cmp_gt_u32_e64 s10, 0x72, v98
	v_sub_nc_u32_e32 v20, 0x71, v98
	v_cmp_eq_u32_e32 vcc_lo, 0, v98
	v_cndmask_b32_e64 v20, 0, v20, s10
	s_delay_alu instid0(VALU_DEP_1) | instskip(SKIP_1) | instid1(VALU_DEP_2)
	v_cndmask_b32_e64 v30, v20, 0x70, vcc_lo
	v_dual_cndmask_b32 v20, v21, v14 :: v_dual_mov_b32 v21, v15
	v_add_nc_u32_e32 v14, 21, v30
	s_delay_alu instid0(VALU_DEP_1) | instskip(SKIP_1) | instid1(VALU_DEP_1)
	v_lshlrev_b64_e64 v[84:85], v14, -1
	v_add_nc_u32_e32 v14, 20, v30
	v_lshlrev_b64_e64 v[86:87], v14, 1
	s_delay_alu instid0(VALU_DEP_3) | instskip(NEXT) | instid1(VALU_DEP_4)
	v_bfi_b32 v85, v85, 0, 0
	v_bfi_b32 v84, v84, 0, v20
	s_delay_alu instid0(VALU_DEP_1) | instskip(SKIP_1) | instid1(VALU_DEP_1)
	v_cmp_eq_u64_e64 s10, v[84:85], v[86:87]
	v_lshrrev_b64 v[84:85], v30, v[20:21]
	v_mov_b64_e32 v[86:87], v[84:85]
	s_and_saveexec_b32 s41, s10
; %bb.11335:                            ;   in Loop: Header=BB4_9783 Depth=2
	v_bfe_u32 v20, v84, 21, 1
	v_mov_b32_e32 v21, v15
	s_delay_alu instid0(VALU_DEP_1) | instskip(NEXT) | instid1(VALU_DEP_1)
	v_add_nc_u64_e32 v[20:21], v[84:85], v[20:21]
	v_add_nc_u64_e32 v[86:87], -1, v[20:21]
; %bb.11336:                            ;   in Loop: Header=BB4_9783 Depth=2
	s_or_b32 exec_lo, exec_lo, s41
	v_add_nc_u32_e32 v14, 0xffffff81, v98
	v_lshrrev_b32_e32 v20, 23, v84
	s_mov_b32 s10, exec_lo
	s_delay_alu instid0(VALU_DEP_2) | instskip(NEXT) | instid1(VALU_DEP_1)
	v_cndmask_b32_e64 v14, v14, 0xffffff82, vcc_lo
	v_add3_u32 v21, v30, v14, v20
	v_and_b32_e32 v14, 0x1fffff, v86
                                        ; implicit-def: $vgpr20
	s_delay_alu instid0(VALU_DEP_1) | instskip(NEXT) | instid1(VALU_DEP_1)
	v_dual_add_nc_u32 v30, 14, v21 :: v_dual_add_nc_u32 v14, v14, v84
                                        ; implicit-def: $vgpr84_vgpr85
	v_cmpx_ne_u32_e32 0, v30
	s_xor_b32 s10, exec_lo, s10
; %bb.11337:                            ;   in Loop: Header=BB4_9783 Depth=2
	s_delay_alu instid0(VALU_DEP_2) | instskip(SKIP_2) | instid1(VALU_DEP_2)
	v_cmp_lt_u64_e32 vcc_lo, 0xffffff, v[14:15]
	v_add_nc_u32_e32 v20, 15, v21
	v_cndmask_b32_e64 v21, 0, 1, vcc_lo
	v_cndmask_b32_e32 v20, v30, v20, vcc_lo
	s_delay_alu instid0(VALU_DEP_2)
	v_lshrrev_b64 v[84:85], v21, v[14:15]
; %bb.11338:                            ;   in Loop: Header=BB4_9783 Depth=2
	s_and_not1_saveexec_b32 s10, s10
; %bb.11339:                            ;   in Loop: Header=BB4_9783 Depth=2
	v_mov_b64_e32 v[84:85], v[14:15]
	v_bfe_u32 v20, v14, 23, 1
; %bb.11340:                            ;   in Loop: Header=BB4_9783 Depth=2
	s_or_b32 exec_lo, exec_lo, s10
	s_delay_alu instid0(VALU_DEP_2) | instskip(NEXT) | instid1(VALU_DEP_2)
	v_lshrrev_b64 v[84:85], 21, v[84:85]
	v_cmp_gt_i32_e32 vcc_lo, 32, v20
	v_min_i32_e32 v14, 31, v20
	v_cmp_eq_u32_e64 s10, 0, v20
	s_delay_alu instid0(VALU_DEP_2) | instskip(SKIP_1) | instid1(VALU_DEP_2)
	v_dual_cndmask_b32 v85, 0, v85 :: v_dual_lshlrev_b32 v14, 2, v14
	v_cndmask_b32_e32 v84, 3, v84, vcc_lo
	v_and_b32_e32 v14, 0xfc, v14
	s_delay_alu instid0(VALU_DEP_2) | instskip(NEXT) | instid1(VALU_DEP_2)
	v_cmp_eq_u64_e32 vcc_lo, 0, v[84:85]
	v_and_or_b32 v14, v84, 3, v14
	s_and_b32 s10, s10, vcc_lo
	s_delay_alu instid0(VALU_DEP_1) | instid1(SALU_CYCLE_1)
	v_cndmask_b32_e64 v14, v14, 0, s10
	s_delay_alu instid0(VALU_DEP_1)
	v_or_b32_e32 v109, v14, v2
.LBB4_11341:                            ;   in Loop: Header=BB4_9783 Depth=2
	s_or_b32 exec_lo, exec_lo, s40
                                        ; implicit-def: $vgpr2
.LBB4_11342:                            ;   in Loop: Header=BB4_9783 Depth=2
	s_and_not1_saveexec_b32 s10, s29
; %bb.11343:                            ;   in Loop: Header=BB4_9783 Depth=2
	v_or_b32_e32 v109, 0x7b, v2
; %bb.11344:                            ;   in Loop: Header=BB4_9783 Depth=2
	s_or_b32 exec_lo, exec_lo, s10
                                        ; implicit-def: $vgpr30
                                        ; implicit-def: $vgpr2
.LBB4_11345:                            ;   in Loop: Header=BB4_9783 Depth=2
	s_and_not1_saveexec_b32 s10, s28
	s_cbranch_execz .LBB4_11351
; %bb.11346:                            ;   in Loop: Header=BB4_9783 Depth=2
	s_mov_b32 s28, exec_lo
                                        ; implicit-def: $vgpr109
	v_cmpx_ne_u64_e32 0, v[14:15]
	s_xor_b32 s28, exec_lo, s28
; %bb.11347:                            ;   in Loop: Header=BB4_9783 Depth=2
	v_or_b32_e32 v109, 0x7f, v2
                                        ; implicit-def: $vgpr30
; %bb.11348:                            ;   in Loop: Header=BB4_9783 Depth=2
	s_and_not1_saveexec_b32 s28, s28
; %bb.11349:                            ;   in Loop: Header=BB4_9783 Depth=2
	v_cmp_lt_i32_e32 vcc_lo, -1, v30
	v_cndmask_b32_e32 v109, 0xfc, v101, vcc_lo
; %bb.11350:                            ;   in Loop: Header=BB4_9783 Depth=2
	s_or_b32 exec_lo, exec_lo, s28
.LBB4_11351:                            ;   in Loop: Header=BB4_9783 Depth=2
	s_delay_alu instid0(SALU_CYCLE_1) | instskip(SKIP_3) | instid1(VALU_DEP_2)
	s_or_b32 exec_lo, exec_lo, s10
	v_and_b32_e32 v2, 0xff, v11
	v_dual_mov_b32 v14, v11 :: v_dual_mov_b32 v20, 0
	s_mov_b32 s10, exec_lo
	v_cmpx_ne_u16_e32 0, v2
	s_cbranch_execz .LBB4_11361
; %bb.11352:                            ;   in Loop: Header=BB4_9783 Depth=2
	v_bfrev_b32_e32 v20, 1
	s_mov_b32 s28, exec_lo
	v_cmpx_ne_u16_e32 0x80, v2
	s_cbranch_execz .LBB4_11360
; %bb.11353:                            ;   in Loop: Header=BB4_9783 Depth=2
	v_and_b32_e32 v20, 0x7c, v11
	v_and_b32_e32 v2, 3, v11
	s_delay_alu instid0(VALU_DEP_2) | instskip(SKIP_1) | instid1(SALU_CYCLE_1)
	v_cmp_ne_u32_e32 vcc_lo, 0x7c, v20
                                        ; implicit-def: $vgpr20
	s_and_saveexec_b32 s29, vcc_lo
	s_xor_b32 s29, exec_lo, s29
	s_cbranch_execz .LBB4_11357
; %bb.11354:                            ;   in Loop: Header=BB4_9783 Depth=2
	v_bfe_u32 v20, v11, 2, 5
	s_mov_b32 s40, exec_lo
	s_delay_alu instid0(VALU_DEP_1)
	v_cmpx_eq_u32_e32 0, v20
; %bb.11355:                            ;   in Loop: Header=BB4_9783 Depth=2
	v_clz_i32_u32_e32 v2, v2
	s_delay_alu instid0(VALU_DEP_1) | instskip(NEXT) | instid1(VALU_DEP_1)
	v_min_u32_e32 v2, 32, v2
	v_subrev_nc_u32_e32 v20, 29, v2
	s_delay_alu instid0(VALU_DEP_1) | instskip(NEXT) | instid1(VALU_DEP_1)
	v_lshlrev_b64_e32 v[84:85], v20, v[14:15]
	v_dual_sub_nc_u32 v20, 30, v2 :: v_dual_bitop2_b32 v2, 3, v84 bitop3:0x40
; %bb.11356:                            ;   in Loop: Header=BB4_9783 Depth=2
	s_or_b32 exec_lo, exec_lo, s40
	v_lshlrev_b32_e32 v21, 24, v11
	s_delay_alu instid0(VALU_DEP_1) | instskip(NEXT) | instid1(VALU_DEP_1)
	v_and_b32_e32 v21, 0x80000000, v21
	v_lshl_add_u32 v20, v20, 23, v21
	s_delay_alu instid0(VALU_DEP_1) | instskip(NEXT) | instid1(VALU_DEP_1)
	v_lshl_or_b32 v2, v2, 21, v20
	v_add_nc_u32_e32 v20, 0x38000000, v2
                                        ; implicit-def: $vgpr2
.LBB4_11357:                            ;   in Loop: Header=BB4_9783 Depth=2
	s_and_not1_saveexec_b32 s29, s29
; %bb.11358:                            ;   in Loop: Header=BB4_9783 Depth=2
	v_bfe_i32 v20, v11, 0, 8
	s_delay_alu instid0(VALU_DEP_1) | instskip(SKIP_2) | instid1(VALU_DEP_2)
	v_cmp_lt_i16_e32 vcc_lo, -1, v20
	v_cndmask_b32_e32 v20, 0xff800000, v100, vcc_lo
	v_cmp_eq_u32_e32 vcc_lo, 0, v2
	v_cndmask_b32_e32 v20, 0x7f800001, v20, vcc_lo
; %bb.11359:                            ;   in Loop: Header=BB4_9783 Depth=2
	s_or_b32 exec_lo, exec_lo, s29
.LBB4_11360:                            ;   in Loop: Header=BB4_9783 Depth=2
	s_delay_alu instid0(SALU_CYCLE_1)
	s_or_b32 exec_lo, exec_lo, s28
.LBB4_11361:                            ;   in Loop: Header=BB4_9783 Depth=2
	s_delay_alu instid0(SALU_CYCLE_1) | instskip(NEXT) | instid1(VALU_DEP_1)
	s_or_b32 exec_lo, exec_lo, s10
	v_dual_mul_f32 v30, s27, v20 :: v_dual_mov_b32 v21, v15
	v_mov_b32_e32 v85, v15
                                        ; implicit-def: $vgpr110
	s_mov_b32 s10, exec_lo
	s_delay_alu instid0(VALU_DEP_2) | instskip(SKIP_2) | instid1(VALU_DEP_3)
	v_and_b32_e32 v20, 0x7f800000, v30
	v_and_b32_e32 v84, 0x7fffff, v30
	v_lshrrev_b32_e32 v2, 24, v30
	v_cmpx_ne_u64_e32 0x7f800000, v[20:21]
	s_xor_b32 s28, exec_lo, s10
	s_cbranch_execz .LBB4_11375
; %bb.11362:                            ;   in Loop: Header=BB4_9783 Depth=2
	v_and_b32_e32 v20, 0x7fffffff, v30
	v_mov_b32_e32 v21, v15
	v_and_b32_e32 v2, 0x80, v2
                                        ; implicit-def: $vgpr110
	s_mov_b32 s10, exec_lo
	s_delay_alu instid0(VALU_DEP_2)
	v_cmpx_gt_u64_e32 0x47600001, v[20:21]
	s_xor_b32 s29, exec_lo, s10
	s_cbranch_execz .LBB4_11372
; %bb.11363:                            ;   in Loop: Header=BB4_9783 Depth=2
	v_mov_b32_e32 v110, 0
	s_mov_b32 s40, exec_lo
	v_cmpx_ne_u32_e32 0, v30
	s_cbranch_execz .LBB4_11371
; %bb.11364:                            ;   in Loop: Header=BB4_9783 Depth=2
	v_bfe_u32 v30, v30, 23, 8
	v_or_b32_e32 v21, 0x800000, v84
	s_delay_alu instid0(VALU_DEP_2) | instskip(SKIP_2) | instid1(VALU_DEP_2)
	v_cmp_gt_u32_e64 s10, 0x72, v30
	v_sub_nc_u32_e32 v20, 0x71, v30
	v_cmp_eq_u32_e32 vcc_lo, 0, v30
	v_cndmask_b32_e64 v20, 0, v20, s10
	v_cndmask_b32_e32 v84, v21, v84, vcc_lo
	s_delay_alu instid0(VALU_DEP_2) | instskip(NEXT) | instid1(VALU_DEP_1)
	v_cndmask_b32_e64 v20, v20, 0x70, vcc_lo
	v_add_nc_u32_e32 v21, 21, v20
	s_delay_alu instid0(VALU_DEP_1) | instskip(SKIP_1) | instid1(VALU_DEP_1)
	v_lshlrev_b64_e64 v[86:87], v21, -1
	v_add_nc_u32_e32 v21, 20, v20
	v_lshlrev_b64_e64 v[110:111], v21, 1
	s_delay_alu instid0(VALU_DEP_3) | instskip(SKIP_2) | instid1(VALU_DEP_1)
	v_bfi_b32 v86, v86, 0, v84
	v_lshrrev_b64 v[84:85], v20, v[84:85]
	v_bfi_b32 v87, v87, 0, 0
	v_cmp_eq_u64_e64 s10, v[86:87], v[110:111]
	s_delay_alu instid0(VALU_DEP_3)
	v_mov_b64_e32 v[86:87], v[84:85]
	s_and_saveexec_b32 s41, s10
; %bb.11365:                            ;   in Loop: Header=BB4_9783 Depth=2
	v_bfe_u32 v86, v84, 21, 1
	v_mov_b32_e32 v87, v15
	s_delay_alu instid0(VALU_DEP_1) | instskip(NEXT) | instid1(VALU_DEP_1)
	v_add_nc_u64_e32 v[86:87], v[84:85], v[86:87]
	v_add_nc_u64_e32 v[86:87], -1, v[86:87]
; %bb.11366:                            ;   in Loop: Header=BB4_9783 Depth=2
	s_or_b32 exec_lo, exec_lo, s41
	v_add_nc_u32_e32 v21, 0xffffff81, v30
	v_lshrrev_b32_e32 v24, 23, v84
	s_mov_b32 s10, exec_lo
	v_mov_b32_e32 v85, v15
	s_delay_alu instid0(VALU_DEP_3) | instskip(NEXT) | instid1(VALU_DEP_1)
	v_cndmask_b32_e64 v21, v21, 0xffffff82, vcc_lo
	v_add3_u32 v21, v20, v21, v24
	v_and_b32_e32 v20, 0x1fffff, v86
	s_delay_alu instid0(VALU_DEP_1) | instskip(NEXT) | instid1(VALU_DEP_1)
	v_dual_add_nc_u32 v30, 14, v21 :: v_dual_add_nc_u32 v84, v20, v84
                                        ; implicit-def: $vgpr20
	v_cmpx_ne_u32_e32 0, v30
	s_xor_b32 s10, exec_lo, s10
; %bb.11367:                            ;   in Loop: Header=BB4_9783 Depth=2
	s_delay_alu instid0(VALU_DEP_2) | instskip(SKIP_2) | instid1(VALU_DEP_2)
	v_cmp_lt_u64_e32 vcc_lo, 0xffffff, v[84:85]
	v_add_nc_u32_e32 v20, 15, v21
	v_cndmask_b32_e64 v21, 0, 1, vcc_lo
	v_cndmask_b32_e32 v20, v30, v20, vcc_lo
	s_delay_alu instid0(VALU_DEP_2)
	v_lshrrev_b64 v[84:85], v21, v[84:85]
; %bb.11368:                            ;   in Loop: Header=BB4_9783 Depth=2
	s_and_not1_saveexec_b32 s10, s10
; %bb.11369:                            ;   in Loop: Header=BB4_9783 Depth=2
	s_delay_alu instid0(VALU_DEP_1)
	v_bfe_u32 v20, v84, 23, 1
; %bb.11370:                            ;   in Loop: Header=BB4_9783 Depth=2
	s_or_b32 exec_lo, exec_lo, s10
	s_delay_alu instid0(VALU_DEP_2) | instskip(NEXT) | instid1(VALU_DEP_2)
	v_lshrrev_b64 v[84:85], 21, v[84:85]
	v_cmp_gt_i32_e32 vcc_lo, 32, v20
	v_min_i32_e32 v21, 31, v20
	v_cmp_eq_u32_e64 s10, 0, v20
	s_delay_alu instid0(VALU_DEP_4) | instskip(NEXT) | instid1(VALU_DEP_3)
	v_cndmask_b32_e32 v85, 0, v85, vcc_lo
	v_dual_cndmask_b32 v84, 3, v84 :: v_dual_lshlrev_b32 v21, 2, v21
	s_delay_alu instid0(VALU_DEP_1) | instskip(NEXT) | instid1(VALU_DEP_2)
	v_and_b32_e32 v21, 0xfc, v21
	v_cmp_eq_u64_e32 vcc_lo, 0, v[84:85]
	s_delay_alu instid0(VALU_DEP_2)
	v_and_or_b32 v20, v84, 3, v21
	s_and_b32 s10, s10, vcc_lo
	s_delay_alu instid0(VALU_DEP_1) | instid1(SALU_CYCLE_1)
	v_cndmask_b32_e64 v20, v20, 0, s10
	s_delay_alu instid0(VALU_DEP_1)
	v_or_b32_e32 v110, v20, v2
.LBB4_11371:                            ;   in Loop: Header=BB4_9783 Depth=2
	s_or_b32 exec_lo, exec_lo, s40
                                        ; implicit-def: $vgpr2
.LBB4_11372:                            ;   in Loop: Header=BB4_9783 Depth=2
	s_and_not1_saveexec_b32 s10, s29
; %bb.11373:                            ;   in Loop: Header=BB4_9783 Depth=2
	v_or_b32_e32 v110, 0x7b, v2
; %bb.11374:                            ;   in Loop: Header=BB4_9783 Depth=2
	s_or_b32 exec_lo, exec_lo, s10
                                        ; implicit-def: $vgpr30
                                        ; implicit-def: $vgpr84_vgpr85
                                        ; implicit-def: $vgpr2
.LBB4_11375:                            ;   in Loop: Header=BB4_9783 Depth=2
	s_and_not1_saveexec_b32 s10, s28
	s_cbranch_execz .LBB4_11381
; %bb.11376:                            ;   in Loop: Header=BB4_9783 Depth=2
	s_mov_b32 s28, exec_lo
                                        ; implicit-def: $vgpr110
	v_cmpx_ne_u64_e32 0, v[84:85]
	s_xor_b32 s28, exec_lo, s28
; %bb.11377:                            ;   in Loop: Header=BB4_9783 Depth=2
	v_or_b32_e32 v110, 0x7f, v2
                                        ; implicit-def: $vgpr30
; %bb.11378:                            ;   in Loop: Header=BB4_9783 Depth=2
	s_and_not1_saveexec_b32 s28, s28
; %bb.11379:                            ;   in Loop: Header=BB4_9783 Depth=2
	v_cmp_lt_i32_e32 vcc_lo, -1, v30
	v_cndmask_b32_e32 v110, 0xfc, v101, vcc_lo
; %bb.11380:                            ;   in Loop: Header=BB4_9783 Depth=2
	s_or_b32 exec_lo, exec_lo, s28
.LBB4_11381:                            ;   in Loop: Header=BB4_9783 Depth=2
	s_delay_alu instid0(SALU_CYCLE_1) | instskip(SKIP_3) | instid1(VALU_DEP_2)
	s_or_b32 exec_lo, exec_lo, s10
	v_lshrrev_b16 v84, 8, v14
	v_mov_b32_e32 v20, 0
	s_mov_b32 s10, exec_lo
	v_cmpx_ne_u16_e32 0, v84
	s_cbranch_execz .LBB4_11391
; %bb.11382:                            ;   in Loop: Header=BB4_9783 Depth=2
	v_bfrev_b32_e32 v20, 1
	s_mov_b32 s28, exec_lo
	v_cmpx_ne_u16_e32 0x80, v84
	s_cbranch_execz .LBB4_11390
; %bb.11383:                            ;   in Loop: Header=BB4_9783 Depth=2
	v_and_b32_e32 v21, 0xffff, v84
	s_delay_alu instid0(VALU_DEP_1) | instskip(SKIP_1) | instid1(VALU_DEP_2)
	v_and_b32_e32 v20, 0x7c, v21
	v_and_b32_e32 v2, 3, v21
	v_cmp_ne_u32_e32 vcc_lo, 0x7c, v20
                                        ; implicit-def: $vgpr20
	s_and_saveexec_b32 s29, vcc_lo
	s_delay_alu instid0(SALU_CYCLE_1)
	s_xor_b32 s29, exec_lo, s29
	s_cbranch_execz .LBB4_11387
; %bb.11384:                            ;   in Loop: Header=BB4_9783 Depth=2
	v_bfe_u32 v20, v21, 2, 5
	s_mov_b32 s40, exec_lo
	s_delay_alu instid0(VALU_DEP_1)
	v_cmpx_eq_u32_e32 0, v20
; %bb.11385:                            ;   in Loop: Header=BB4_9783 Depth=2
	v_clz_i32_u32_e32 v2, v2
	s_delay_alu instid0(VALU_DEP_1) | instskip(SKIP_1) | instid1(VALU_DEP_2)
	v_min_u32_e32 v2, 32, v2
	v_mov_b32_e32 v85, v15
	v_subrev_nc_u32_e32 v20, 29, v2
	s_delay_alu instid0(VALU_DEP_1) | instskip(NEXT) | instid1(VALU_DEP_1)
	v_lshlrev_b64_e32 v[84:85], v20, v[84:85]
	v_dual_sub_nc_u32 v20, 30, v2 :: v_dual_bitop2_b32 v2, 3, v84 bitop3:0x40
; %bb.11386:                            ;   in Loop: Header=BB4_9783 Depth=2
	s_or_b32 exec_lo, exec_lo, s40
	v_lshlrev_b32_e32 v14, 16, v14
	s_delay_alu instid0(VALU_DEP_1) | instskip(NEXT) | instid1(VALU_DEP_1)
	v_and_b32_e32 v14, 0x80000000, v14
	v_lshl_add_u32 v14, v20, 23, v14
	s_delay_alu instid0(VALU_DEP_1) | instskip(NEXT) | instid1(VALU_DEP_1)
	v_lshl_or_b32 v2, v2, 21, v14
	v_add_nc_u32_e32 v20, 0x38000000, v2
                                        ; implicit-def: $vgpr2
.LBB4_11387:                            ;   in Loop: Header=BB4_9783 Depth=2
	s_and_not1_saveexec_b32 s29, s29
; %bb.11388:                            ;   in Loop: Header=BB4_9783 Depth=2
	v_cmp_lt_i16_e32 vcc_lo, -1, v14
	v_cndmask_b32_e32 v14, 0xff800000, v100, vcc_lo
	v_cmp_eq_u32_e32 vcc_lo, 0, v2
	s_delay_alu instid0(VALU_DEP_2)
	v_cndmask_b32_e32 v20, 0x7f800001, v14, vcc_lo
; %bb.11389:                            ;   in Loop: Header=BB4_9783 Depth=2
	s_or_b32 exec_lo, exec_lo, s29
.LBB4_11390:                            ;   in Loop: Header=BB4_9783 Depth=2
	s_delay_alu instid0(SALU_CYCLE_1)
	s_or_b32 exec_lo, exec_lo, s28
.LBB4_11391:                            ;   in Loop: Header=BB4_9783 Depth=2
	s_delay_alu instid0(SALU_CYCLE_1) | instskip(NEXT) | instid1(VALU_DEP_1)
	s_or_b32 exec_lo, exec_lo, s10
	v_dual_mul_f32 v30, s27, v20 :: v_dual_mov_b32 v21, v15
                                        ; implicit-def: $vgpr111
	s_mov_b32 s10, exec_lo
	s_delay_alu instid0(VALU_DEP_1) | instskip(SKIP_2) | instid1(VALU_DEP_3)
	v_and_b32_e32 v20, 0x7f800000, v30
	v_and_b32_e32 v14, 0x7fffff, v30
	v_lshrrev_b32_e32 v2, 24, v30
	v_cmpx_ne_u64_e32 0x7f800000, v[20:21]
	s_xor_b32 s28, exec_lo, s10
	s_cbranch_execz .LBB4_11405
; %bb.11392:                            ;   in Loop: Header=BB4_9783 Depth=2
	v_and_b32_e32 v20, 0x7fffffff, v30
	v_mov_b32_e32 v21, v15
	v_and_b32_e32 v2, 0x80, v2
                                        ; implicit-def: $vgpr111
	s_mov_b32 s10, exec_lo
	s_delay_alu instid0(VALU_DEP_2)
	v_cmpx_gt_u64_e32 0x47600001, v[20:21]
	s_xor_b32 s29, exec_lo, s10
	s_cbranch_execz .LBB4_11402
; %bb.11393:                            ;   in Loop: Header=BB4_9783 Depth=2
	v_mov_b32_e32 v111, 0
	s_mov_b32 s40, exec_lo
	v_cmpx_ne_u32_e32 0, v30
	s_cbranch_execz .LBB4_11401
; %bb.11394:                            ;   in Loop: Header=BB4_9783 Depth=2
	v_bfe_u32 v98, v30, 23, 8
	v_or_b32_e32 v21, 0x800000, v14
	s_delay_alu instid0(VALU_DEP_2) | instskip(SKIP_2) | instid1(VALU_DEP_2)
	v_cmp_gt_u32_e64 s10, 0x72, v98
	v_sub_nc_u32_e32 v20, 0x71, v98
	v_cmp_eq_u32_e32 vcc_lo, 0, v98
	v_cndmask_b32_e64 v20, 0, v20, s10
	s_delay_alu instid0(VALU_DEP_1) | instskip(SKIP_1) | instid1(VALU_DEP_2)
	v_cndmask_b32_e64 v30, v20, 0x70, vcc_lo
	v_dual_cndmask_b32 v20, v21, v14 :: v_dual_mov_b32 v21, v15
	v_add_nc_u32_e32 v14, 21, v30
	s_delay_alu instid0(VALU_DEP_1) | instskip(SKIP_1) | instid1(VALU_DEP_1)
	v_lshlrev_b64_e64 v[84:85], v14, -1
	v_add_nc_u32_e32 v14, 20, v30
	v_lshlrev_b64_e64 v[86:87], v14, 1
	s_delay_alu instid0(VALU_DEP_3) | instskip(NEXT) | instid1(VALU_DEP_4)
	v_bfi_b32 v85, v85, 0, 0
	v_bfi_b32 v84, v84, 0, v20
	s_delay_alu instid0(VALU_DEP_1) | instskip(SKIP_1) | instid1(VALU_DEP_1)
	v_cmp_eq_u64_e64 s10, v[84:85], v[86:87]
	v_lshrrev_b64 v[84:85], v30, v[20:21]
	v_mov_b64_e32 v[86:87], v[84:85]
	s_and_saveexec_b32 s41, s10
; %bb.11395:                            ;   in Loop: Header=BB4_9783 Depth=2
	v_bfe_u32 v20, v84, 21, 1
	v_mov_b32_e32 v21, v15
	s_delay_alu instid0(VALU_DEP_1) | instskip(NEXT) | instid1(VALU_DEP_1)
	v_add_nc_u64_e32 v[20:21], v[84:85], v[20:21]
	v_add_nc_u64_e32 v[86:87], -1, v[20:21]
; %bb.11396:                            ;   in Loop: Header=BB4_9783 Depth=2
	s_or_b32 exec_lo, exec_lo, s41
	v_add_nc_u32_e32 v14, 0xffffff81, v98
	v_lshrrev_b32_e32 v20, 23, v84
	s_mov_b32 s10, exec_lo
	s_delay_alu instid0(VALU_DEP_2) | instskip(NEXT) | instid1(VALU_DEP_1)
	v_cndmask_b32_e64 v14, v14, 0xffffff82, vcc_lo
	v_add3_u32 v21, v30, v14, v20
	v_and_b32_e32 v14, 0x1fffff, v86
                                        ; implicit-def: $vgpr20
	s_delay_alu instid0(VALU_DEP_1) | instskip(NEXT) | instid1(VALU_DEP_1)
	v_dual_add_nc_u32 v30, 14, v21 :: v_dual_add_nc_u32 v14, v14, v84
                                        ; implicit-def: $vgpr84_vgpr85
	v_cmpx_ne_u32_e32 0, v30
	s_xor_b32 s10, exec_lo, s10
; %bb.11397:                            ;   in Loop: Header=BB4_9783 Depth=2
	s_delay_alu instid0(VALU_DEP_2) | instskip(SKIP_2) | instid1(VALU_DEP_2)
	v_cmp_lt_u64_e32 vcc_lo, 0xffffff, v[14:15]
	v_add_nc_u32_e32 v20, 15, v21
	v_cndmask_b32_e64 v21, 0, 1, vcc_lo
	v_cndmask_b32_e32 v20, v30, v20, vcc_lo
	s_delay_alu instid0(VALU_DEP_2)
	v_lshrrev_b64 v[84:85], v21, v[14:15]
; %bb.11398:                            ;   in Loop: Header=BB4_9783 Depth=2
	s_and_not1_saveexec_b32 s10, s10
; %bb.11399:                            ;   in Loop: Header=BB4_9783 Depth=2
	v_mov_b64_e32 v[84:85], v[14:15]
	v_bfe_u32 v20, v14, 23, 1
; %bb.11400:                            ;   in Loop: Header=BB4_9783 Depth=2
	s_or_b32 exec_lo, exec_lo, s10
	s_delay_alu instid0(VALU_DEP_2) | instskip(NEXT) | instid1(VALU_DEP_2)
	v_lshrrev_b64 v[84:85], 21, v[84:85]
	v_cmp_gt_i32_e32 vcc_lo, 32, v20
	v_min_i32_e32 v14, 31, v20
	v_cmp_eq_u32_e64 s10, 0, v20
	s_delay_alu instid0(VALU_DEP_2) | instskip(SKIP_1) | instid1(VALU_DEP_2)
	v_dual_cndmask_b32 v85, 0, v85 :: v_dual_lshlrev_b32 v14, 2, v14
	v_cndmask_b32_e32 v84, 3, v84, vcc_lo
	v_and_b32_e32 v14, 0xfc, v14
	s_delay_alu instid0(VALU_DEP_2) | instskip(NEXT) | instid1(VALU_DEP_2)
	v_cmp_eq_u64_e32 vcc_lo, 0, v[84:85]
	v_and_or_b32 v14, v84, 3, v14
	s_and_b32 s10, s10, vcc_lo
	s_delay_alu instid0(VALU_DEP_1) | instid1(SALU_CYCLE_1)
	v_cndmask_b32_e64 v14, v14, 0, s10
	s_delay_alu instid0(VALU_DEP_1)
	v_or_b32_e32 v111, v14, v2
.LBB4_11401:                            ;   in Loop: Header=BB4_9783 Depth=2
	s_or_b32 exec_lo, exec_lo, s40
                                        ; implicit-def: $vgpr2
.LBB4_11402:                            ;   in Loop: Header=BB4_9783 Depth=2
	s_and_not1_saveexec_b32 s10, s29
; %bb.11403:                            ;   in Loop: Header=BB4_9783 Depth=2
	v_or_b32_e32 v111, 0x7b, v2
; %bb.11404:                            ;   in Loop: Header=BB4_9783 Depth=2
	s_or_b32 exec_lo, exec_lo, s10
                                        ; implicit-def: $vgpr30
                                        ; implicit-def: $vgpr2
.LBB4_11405:                            ;   in Loop: Header=BB4_9783 Depth=2
	s_and_not1_saveexec_b32 s10, s28
	s_cbranch_execz .LBB4_11411
; %bb.11406:                            ;   in Loop: Header=BB4_9783 Depth=2
	s_mov_b32 s28, exec_lo
                                        ; implicit-def: $vgpr111
	v_cmpx_ne_u64_e32 0, v[14:15]
	s_xor_b32 s28, exec_lo, s28
; %bb.11407:                            ;   in Loop: Header=BB4_9783 Depth=2
	v_or_b32_e32 v111, 0x7f, v2
                                        ; implicit-def: $vgpr30
; %bb.11408:                            ;   in Loop: Header=BB4_9783 Depth=2
	s_and_not1_saveexec_b32 s28, s28
; %bb.11409:                            ;   in Loop: Header=BB4_9783 Depth=2
	v_cmp_lt_i32_e32 vcc_lo, -1, v30
	v_cndmask_b32_e32 v111, 0xfc, v101, vcc_lo
; %bb.11410:                            ;   in Loop: Header=BB4_9783 Depth=2
	s_or_b32 exec_lo, exec_lo, s28
.LBB4_11411:                            ;   in Loop: Header=BB4_9783 Depth=2
	s_delay_alu instid0(SALU_CYCLE_1) | instskip(SKIP_2) | instid1(VALU_DEP_1)
	s_or_b32 exec_lo, exec_lo, s10
	v_dual_lshrrev_b32 v14, 16, v11 :: v_dual_mov_b32 v20, 0
	s_mov_b32 s10, exec_lo
	v_and_b32_e32 v2, 0xff, v14
	s_delay_alu instid0(VALU_DEP_1)
	v_cmpx_ne_u16_e32 0, v2
	s_cbranch_execz .LBB4_11421
; %bb.11412:                            ;   in Loop: Header=BB4_9783 Depth=2
	v_bfrev_b32_e32 v20, 1
	s_mov_b32 s28, exec_lo
	v_cmpx_ne_u16_e32 0x80, v2
	s_cbranch_execz .LBB4_11420
; %bb.11413:                            ;   in Loop: Header=BB4_9783 Depth=2
	v_and_b32_e32 v20, 0x7c0000, v11
	v_bfe_u32 v2, v11, 16, 2
	s_delay_alu instid0(VALU_DEP_2) | instskip(SKIP_1) | instid1(SALU_CYCLE_1)
	v_cmp_ne_u32_e32 vcc_lo, 0x7c0000, v20
                                        ; implicit-def: $vgpr20
	s_and_saveexec_b32 s29, vcc_lo
	s_xor_b32 s29, exec_lo, s29
	s_cbranch_execz .LBB4_11417
; %bb.11414:                            ;   in Loop: Header=BB4_9783 Depth=2
	v_bfe_u32 v20, v11, 18, 5
	s_mov_b32 s40, exec_lo
	s_delay_alu instid0(VALU_DEP_1)
	v_cmpx_eq_u32_e32 0, v20
; %bb.11415:                            ;   in Loop: Header=BB4_9783 Depth=2
	v_clz_i32_u32_e32 v2, v2
	s_delay_alu instid0(VALU_DEP_1) | instskip(NEXT) | instid1(VALU_DEP_1)
	v_min_u32_e32 v2, 32, v2
	v_subrev_nc_u32_e32 v20, 29, v2
	s_delay_alu instid0(VALU_DEP_1) | instskip(NEXT) | instid1(VALU_DEP_1)
	v_lshlrev_b64_e32 v[84:85], v20, v[14:15]
	v_dual_sub_nc_u32 v20, 30, v2 :: v_dual_bitop2_b32 v2, 3, v84 bitop3:0x40
; %bb.11416:                            ;   in Loop: Header=BB4_9783 Depth=2
	s_or_b32 exec_lo, exec_lo, s40
	v_lshlrev_b32_e32 v14, 24, v14
	s_delay_alu instid0(VALU_DEP_1) | instskip(NEXT) | instid1(VALU_DEP_1)
	v_and_b32_e32 v14, 0x80000000, v14
	v_lshl_add_u32 v14, v20, 23, v14
	s_delay_alu instid0(VALU_DEP_1) | instskip(NEXT) | instid1(VALU_DEP_1)
	v_lshl_or_b32 v2, v2, 21, v14
                                        ; implicit-def: $vgpr14
	v_add_nc_u32_e32 v20, 0x38000000, v2
                                        ; implicit-def: $vgpr2
.LBB4_11417:                            ;   in Loop: Header=BB4_9783 Depth=2
	s_and_not1_saveexec_b32 s29, s29
; %bb.11418:                            ;   in Loop: Header=BB4_9783 Depth=2
	v_bfe_i32 v14, v14, 0, 8
	s_delay_alu instid0(VALU_DEP_1) | instskip(SKIP_2) | instid1(VALU_DEP_2)
	v_cmp_lt_i16_e32 vcc_lo, -1, v14
	v_cndmask_b32_e32 v14, 0xff800000, v100, vcc_lo
	v_cmp_eq_u32_e32 vcc_lo, 0, v2
	v_cndmask_b32_e32 v20, 0x7f800001, v14, vcc_lo
; %bb.11419:                            ;   in Loop: Header=BB4_9783 Depth=2
	s_or_b32 exec_lo, exec_lo, s29
.LBB4_11420:                            ;   in Loop: Header=BB4_9783 Depth=2
	s_delay_alu instid0(SALU_CYCLE_1)
	s_or_b32 exec_lo, exec_lo, s28
.LBB4_11421:                            ;   in Loop: Header=BB4_9783 Depth=2
	s_delay_alu instid0(SALU_CYCLE_1) | instskip(NEXT) | instid1(VALU_DEP_1)
	s_or_b32 exec_lo, exec_lo, s10
	v_dual_mul_f32 v30, s27, v20 :: v_dual_mov_b32 v21, v15
                                        ; implicit-def: $vgpr86
	s_mov_b32 s10, exec_lo
	s_delay_alu instid0(VALU_DEP_1) | instskip(SKIP_2) | instid1(VALU_DEP_3)
	v_and_b32_e32 v20, 0x7f800000, v30
	v_and_b32_e32 v14, 0x7fffff, v30
	v_lshrrev_b32_e32 v2, 24, v30
	v_cmpx_ne_u64_e32 0x7f800000, v[20:21]
	s_xor_b32 s28, exec_lo, s10
	s_cbranch_execz .LBB4_11435
; %bb.11422:                            ;   in Loop: Header=BB4_9783 Depth=2
	v_and_b32_e32 v20, 0x7fffffff, v30
	v_mov_b32_e32 v21, v15
	v_and_b32_e32 v2, 0x80, v2
                                        ; implicit-def: $vgpr86
	s_mov_b32 s10, exec_lo
	s_delay_alu instid0(VALU_DEP_2)
	v_cmpx_gt_u64_e32 0x47600001, v[20:21]
	s_xor_b32 s29, exec_lo, s10
	s_cbranch_execz .LBB4_11432
; %bb.11423:                            ;   in Loop: Header=BB4_9783 Depth=2
	v_mov_b32_e32 v86, 0
	s_mov_b32 s40, exec_lo
	v_cmpx_ne_u32_e32 0, v30
	s_cbranch_execz .LBB4_11431
; %bb.11424:                            ;   in Loop: Header=BB4_9783 Depth=2
	v_bfe_u32 v98, v30, 23, 8
	v_or_b32_e32 v21, 0x800000, v14
	s_delay_alu instid0(VALU_DEP_2) | instskip(SKIP_2) | instid1(VALU_DEP_2)
	v_cmp_gt_u32_e64 s10, 0x72, v98
	v_sub_nc_u32_e32 v20, 0x71, v98
	v_cmp_eq_u32_e32 vcc_lo, 0, v98
	v_cndmask_b32_e64 v20, 0, v20, s10
	s_delay_alu instid0(VALU_DEP_1) | instskip(SKIP_1) | instid1(VALU_DEP_2)
	v_cndmask_b32_e64 v30, v20, 0x70, vcc_lo
	v_dual_cndmask_b32 v20, v21, v14 :: v_dual_mov_b32 v21, v15
	v_add_nc_u32_e32 v14, 21, v30
	s_delay_alu instid0(VALU_DEP_1) | instskip(SKIP_1) | instid1(VALU_DEP_1)
	v_lshlrev_b64_e64 v[84:85], v14, -1
	v_add_nc_u32_e32 v14, 20, v30
	v_lshlrev_b64_e64 v[86:87], v14, 1
	s_delay_alu instid0(VALU_DEP_3) | instskip(NEXT) | instid1(VALU_DEP_4)
	v_bfi_b32 v85, v85, 0, 0
	v_bfi_b32 v84, v84, 0, v20
	s_delay_alu instid0(VALU_DEP_1) | instskip(SKIP_1) | instid1(VALU_DEP_1)
	v_cmp_eq_u64_e64 s10, v[84:85], v[86:87]
	v_lshrrev_b64 v[84:85], v30, v[20:21]
	v_mov_b64_e32 v[86:87], v[84:85]
	s_and_saveexec_b32 s41, s10
; %bb.11425:                            ;   in Loop: Header=BB4_9783 Depth=2
	v_bfe_u32 v20, v84, 21, 1
	v_mov_b32_e32 v21, v15
	s_delay_alu instid0(VALU_DEP_1) | instskip(NEXT) | instid1(VALU_DEP_1)
	v_add_nc_u64_e32 v[20:21], v[84:85], v[20:21]
	v_add_nc_u64_e32 v[86:87], -1, v[20:21]
; %bb.11426:                            ;   in Loop: Header=BB4_9783 Depth=2
	s_or_b32 exec_lo, exec_lo, s41
	v_add_nc_u32_e32 v14, 0xffffff81, v98
	v_lshrrev_b32_e32 v20, 23, v84
	s_mov_b32 s10, exec_lo
	s_delay_alu instid0(VALU_DEP_2) | instskip(NEXT) | instid1(VALU_DEP_1)
	v_cndmask_b32_e64 v14, v14, 0xffffff82, vcc_lo
	v_add3_u32 v21, v30, v14, v20
	v_and_b32_e32 v14, 0x1fffff, v86
                                        ; implicit-def: $vgpr20
	s_delay_alu instid0(VALU_DEP_1) | instskip(NEXT) | instid1(VALU_DEP_1)
	v_dual_add_nc_u32 v30, 14, v21 :: v_dual_add_nc_u32 v14, v14, v84
                                        ; implicit-def: $vgpr84_vgpr85
	v_cmpx_ne_u32_e32 0, v30
	s_xor_b32 s10, exec_lo, s10
; %bb.11427:                            ;   in Loop: Header=BB4_9783 Depth=2
	s_delay_alu instid0(VALU_DEP_2) | instskip(SKIP_2) | instid1(VALU_DEP_2)
	v_cmp_lt_u64_e32 vcc_lo, 0xffffff, v[14:15]
	v_add_nc_u32_e32 v20, 15, v21
	v_cndmask_b32_e64 v21, 0, 1, vcc_lo
	v_cndmask_b32_e32 v20, v30, v20, vcc_lo
	s_delay_alu instid0(VALU_DEP_2)
	v_lshrrev_b64 v[84:85], v21, v[14:15]
; %bb.11428:                            ;   in Loop: Header=BB4_9783 Depth=2
	s_and_not1_saveexec_b32 s10, s10
; %bb.11429:                            ;   in Loop: Header=BB4_9783 Depth=2
	v_mov_b64_e32 v[84:85], v[14:15]
	v_bfe_u32 v20, v14, 23, 1
; %bb.11430:                            ;   in Loop: Header=BB4_9783 Depth=2
	s_or_b32 exec_lo, exec_lo, s10
	s_delay_alu instid0(VALU_DEP_2) | instskip(NEXT) | instid1(VALU_DEP_2)
	v_lshrrev_b64 v[84:85], 21, v[84:85]
	v_cmp_gt_i32_e32 vcc_lo, 32, v20
	v_min_i32_e32 v14, 31, v20
	v_cmp_eq_u32_e64 s10, 0, v20
	s_delay_alu instid0(VALU_DEP_2) | instskip(SKIP_1) | instid1(VALU_DEP_2)
	v_dual_cndmask_b32 v85, 0, v85 :: v_dual_lshlrev_b32 v14, 2, v14
	v_cndmask_b32_e32 v84, 3, v84, vcc_lo
	v_and_b32_e32 v14, 0xfc, v14
	s_delay_alu instid0(VALU_DEP_2) | instskip(NEXT) | instid1(VALU_DEP_2)
	v_cmp_eq_u64_e32 vcc_lo, 0, v[84:85]
	v_and_or_b32 v14, v84, 3, v14
	s_and_b32 s10, s10, vcc_lo
	s_delay_alu instid0(VALU_DEP_1) | instid1(SALU_CYCLE_1)
	v_cndmask_b32_e64 v14, v14, 0, s10
	s_delay_alu instid0(VALU_DEP_1)
	v_or_b32_e32 v86, v14, v2
.LBB4_11431:                            ;   in Loop: Header=BB4_9783 Depth=2
	s_or_b32 exec_lo, exec_lo, s40
                                        ; implicit-def: $vgpr2
.LBB4_11432:                            ;   in Loop: Header=BB4_9783 Depth=2
	s_and_not1_saveexec_b32 s10, s29
; %bb.11433:                            ;   in Loop: Header=BB4_9783 Depth=2
	v_or_b32_e32 v86, 0x7b, v2
; %bb.11434:                            ;   in Loop: Header=BB4_9783 Depth=2
	s_or_b32 exec_lo, exec_lo, s10
                                        ; implicit-def: $vgpr30
                                        ; implicit-def: $vgpr2
.LBB4_11435:                            ;   in Loop: Header=BB4_9783 Depth=2
	s_and_not1_saveexec_b32 s10, s28
	s_cbranch_execz .LBB4_11441
; %bb.11436:                            ;   in Loop: Header=BB4_9783 Depth=2
	s_mov_b32 s28, exec_lo
                                        ; implicit-def: $vgpr86
	v_cmpx_ne_u64_e32 0, v[14:15]
	s_xor_b32 s28, exec_lo, s28
; %bb.11437:                            ;   in Loop: Header=BB4_9783 Depth=2
	v_or_b32_e32 v86, 0x7f, v2
                                        ; implicit-def: $vgpr30
; %bb.11438:                            ;   in Loop: Header=BB4_9783 Depth=2
	s_and_not1_saveexec_b32 s28, s28
; %bb.11439:                            ;   in Loop: Header=BB4_9783 Depth=2
	v_cmp_lt_i32_e32 vcc_lo, -1, v30
	v_cndmask_b32_e32 v86, 0xfc, v101, vcc_lo
; %bb.11440:                            ;   in Loop: Header=BB4_9783 Depth=2
	s_or_b32 exec_lo, exec_lo, s28
.LBB4_11441:                            ;   in Loop: Header=BB4_9783 Depth=2
	s_delay_alu instid0(SALU_CYCLE_1)
	s_or_b32 exec_lo, exec_lo, s10
	v_mov_b32_e32 v2, 0
	s_mov_b32 s10, exec_lo
	v_cmpx_lt_u64_e64 s[12:13], v[10:11]
	s_cbranch_execz .LBB4_11451
; %bb.11442:                            ;   in Loop: Header=BB4_9783 Depth=2
	v_lshrrev_b32_e32 v14, 24, v11
	v_bfrev_b32_e32 v2, 1
	s_mov_b32 s28, exec_lo
	s_delay_alu instid0(VALU_DEP_2)
	v_cmpx_ne_u32_e32 0x80, v14
	s_cbranch_execz .LBB4_11450
; %bb.11443:                            ;   in Loop: Header=BB4_9783 Depth=2
	v_and_b32_e32 v2, 0x7c000000, v11
	v_bfe_u32 v20, v11, 24, 2
	s_delay_alu instid0(VALU_DEP_2) | instskip(SKIP_1) | instid1(SALU_CYCLE_1)
	v_cmp_ne_u32_e32 vcc_lo, 0x7c000000, v2
                                        ; implicit-def: $vgpr2
	s_and_saveexec_b32 s29, vcc_lo
	s_xor_b32 s29, exec_lo, s29
	s_cbranch_execz .LBB4_11447
; %bb.11444:                            ;   in Loop: Header=BB4_9783 Depth=2
	v_bfe_u32 v2, v11, 26, 5
	s_mov_b32 s40, exec_lo
	s_delay_alu instid0(VALU_DEP_1)
	v_cmpx_eq_u32_e32 0, v2
; %bb.11445:                            ;   in Loop: Header=BB4_9783 Depth=2
	v_clz_i32_u32_e32 v2, v20
	s_delay_alu instid0(VALU_DEP_1) | instskip(NEXT) | instid1(VALU_DEP_1)
	v_min_u32_e32 v2, 32, v2
	v_subrev_nc_u32_e32 v20, 29, v2
	s_delay_alu instid0(VALU_DEP_1) | instskip(NEXT) | instid1(VALU_DEP_1)
	v_lshlrev_b64_e32 v[20:21], v20, v[14:15]
	v_dual_sub_nc_u32 v2, 30, v2 :: v_dual_bitop2_b32 v20, 3, v20 bitop3:0x40
; %bb.11446:                            ;   in Loop: Header=BB4_9783 Depth=2
	s_or_b32 exec_lo, exec_lo, s40
	v_and_b32_e32 v14, 0x80000000, v11
	s_delay_alu instid0(VALU_DEP_1) | instskip(NEXT) | instid1(VALU_DEP_1)
	v_lshl_add_u32 v2, v2, 23, v14
	v_lshl_or_b32 v2, v20, 21, v2
                                        ; implicit-def: $vgpr20
	s_delay_alu instid0(VALU_DEP_1)
	v_add_nc_u32_e32 v2, 0x38000000, v2
.LBB4_11447:                            ;   in Loop: Header=BB4_9783 Depth=2
	s_and_not1_saveexec_b32 s29, s29
; %bb.11448:                            ;   in Loop: Header=BB4_9783 Depth=2
	v_cmp_lt_i64_e32 vcc_lo, -1, v[10:11]
	v_cndmask_b32_e32 v2, 0xff800000, v100, vcc_lo
	v_cmp_eq_u32_e32 vcc_lo, 0, v20
	s_delay_alu instid0(VALU_DEP_2)
	v_cndmask_b32_e32 v2, 0x7f800001, v2, vcc_lo
; %bb.11449:                            ;   in Loop: Header=BB4_9783 Depth=2
	s_or_b32 exec_lo, exec_lo, s29
.LBB4_11450:                            ;   in Loop: Header=BB4_9783 Depth=2
	s_delay_alu instid0(SALU_CYCLE_1)
	s_or_b32 exec_lo, exec_lo, s28
.LBB4_11451:                            ;   in Loop: Header=BB4_9783 Depth=2
	s_delay_alu instid0(SALU_CYCLE_1) | instskip(NEXT) | instid1(VALU_DEP_1)
	s_or_b32 exec_lo, exec_lo, s10
	v_dual_mul_f32 v10, s27, v2 :: v_dual_mov_b32 v21, v15
                                        ; implicit-def: $vgpr87
	s_mov_b32 s10, exec_lo
	s_delay_alu instid0(VALU_DEP_1) | instskip(SKIP_2) | instid1(VALU_DEP_3)
	v_and_b32_e32 v20, 0x7f800000, v10
	v_and_b32_e32 v14, 0x7fffff, v10
	v_lshrrev_b32_e32 v2, 24, v10
	v_cmpx_ne_u64_e32 0x7f800000, v[20:21]
	s_xor_b32 s28, exec_lo, s10
	s_cbranch_execz .LBB4_11465
; %bb.11452:                            ;   in Loop: Header=BB4_9783 Depth=2
	v_and_b32_e32 v20, 0x7fffffff, v10
	v_mov_b32_e32 v21, v15
	v_and_b32_e32 v2, 0x80, v2
                                        ; implicit-def: $vgpr87
	s_mov_b32 s10, exec_lo
	s_delay_alu instid0(VALU_DEP_2)
	v_cmpx_gt_u64_e32 0x47600001, v[20:21]
	s_xor_b32 s29, exec_lo, s10
	s_cbranch_execz .LBB4_11462
; %bb.11453:                            ;   in Loop: Header=BB4_9783 Depth=2
	v_mov_b32_e32 v87, 0
	s_mov_b32 s40, exec_lo
	v_cmpx_ne_u32_e32 0, v10
	s_cbranch_execz .LBB4_11461
; %bb.11454:                            ;   in Loop: Header=BB4_9783 Depth=2
	v_bfe_u32 v87, v10, 23, 8
	v_or_b32_e32 v11, 0x800000, v14
	s_delay_alu instid0(VALU_DEP_2) | instskip(SKIP_2) | instid1(VALU_DEP_2)
	v_cmp_gt_u32_e64 s10, 0x72, v87
	v_sub_nc_u32_e32 v10, 0x71, v87
	v_cmp_eq_u32_e32 vcc_lo, 0, v87
	v_cndmask_b32_e64 v10, 0, v10, s10
	s_delay_alu instid0(VALU_DEP_1) | instskip(SKIP_1) | instid1(VALU_DEP_2)
	v_cndmask_b32_e64 v30, v10, 0x70, vcc_lo
	v_cndmask_b32_e32 v10, v11, v14, vcc_lo
	v_dual_mov_b32 v11, v15 :: v_dual_add_nc_u32 v14, 21, v30
	s_delay_alu instid0(VALU_DEP_1) | instskip(SKIP_1) | instid1(VALU_DEP_1)
	v_lshlrev_b64_e64 v[20:21], v14, -1
	v_add_nc_u32_e32 v14, 20, v30
	v_lshlrev_b64_e64 v[84:85], v14, 1
	s_delay_alu instid0(VALU_DEP_3) | instskip(SKIP_2) | instid1(VALU_DEP_1)
	v_bfi_b32 v20, v20, 0, v10
	v_lshrrev_b64 v[10:11], v30, v[10:11]
	v_bfi_b32 v21, v21, 0, 0
	v_cmp_eq_u64_e64 s10, v[20:21], v[84:85]
	s_delay_alu instid0(VALU_DEP_3)
	v_mov_b64_e32 v[84:85], v[10:11]
	s_and_saveexec_b32 s41, s10
; %bb.11455:                            ;   in Loop: Header=BB4_9783 Depth=2
	v_bfe_u32 v20, v10, 21, 1
	v_mov_b32_e32 v21, v15
	s_delay_alu instid0(VALU_DEP_1) | instskip(NEXT) | instid1(VALU_DEP_1)
	v_add_nc_u64_e32 v[20:21], v[10:11], v[20:21]
	v_add_nc_u64_e32 v[84:85], -1, v[20:21]
; %bb.11456:                            ;   in Loop: Header=BB4_9783 Depth=2
	s_or_b32 exec_lo, exec_lo, s41
	v_add_nc_u32_e32 v11, 0xffffff81, v87
	v_lshrrev_b32_e32 v14, 23, v10
	s_mov_b32 s10, exec_lo
                                        ; implicit-def: $vgpr20
	s_delay_alu instid0(VALU_DEP_2) | instskip(NEXT) | instid1(VALU_DEP_1)
	v_cndmask_b32_e64 v11, v11, 0xffffff82, vcc_lo
	v_add3_u32 v21, v30, v11, v14
	v_and_b32_e32 v11, 0x1fffff, v84
	s_delay_alu instid0(VALU_DEP_1) | instskip(NEXT) | instid1(VALU_DEP_1)
	v_dual_add_nc_u32 v30, 14, v21 :: v_dual_add_nc_u32 v14, v11, v10
                                        ; implicit-def: $vgpr10_vgpr11
	v_cmpx_ne_u32_e32 0, v30
	s_xor_b32 s10, exec_lo, s10
; %bb.11457:                            ;   in Loop: Header=BB4_9783 Depth=2
	s_delay_alu instid0(VALU_DEP_2) | instskip(SKIP_1) | instid1(VALU_DEP_1)
	v_cmp_lt_u64_e32 vcc_lo, 0xffffff, v[14:15]
	v_add_nc_u32_e32 v10, 15, v21
	v_cndmask_b32_e32 v20, v30, v10, vcc_lo
	v_cndmask_b32_e64 v10, 0, 1, vcc_lo
	s_delay_alu instid0(VALU_DEP_1)
	v_lshrrev_b64 v[10:11], v10, v[14:15]
; %bb.11458:                            ;   in Loop: Header=BB4_9783 Depth=2
	s_and_not1_saveexec_b32 s10, s10
; %bb.11459:                            ;   in Loop: Header=BB4_9783 Depth=2
	v_mov_b64_e32 v[10:11], v[14:15]
	v_bfe_u32 v20, v14, 23, 1
; %bb.11460:                            ;   in Loop: Header=BB4_9783 Depth=2
	s_or_b32 exec_lo, exec_lo, s10
	s_delay_alu instid0(VALU_DEP_2) | instskip(NEXT) | instid1(VALU_DEP_2)
	v_lshrrev_b64 v[10:11], 21, v[10:11]
	v_cmp_gt_i32_e32 vcc_lo, 32, v20
	v_min_i32_e32 v14, 31, v20
	v_cmp_eq_u32_e64 s10, 0, v20
	s_delay_alu instid0(VALU_DEP_2) | instskip(SKIP_1) | instid1(VALU_DEP_2)
	v_dual_cndmask_b32 v11, 0, v11 :: v_dual_lshlrev_b32 v14, 2, v14
	v_cndmask_b32_e32 v10, 3, v10, vcc_lo
	v_and_b32_e32 v14, 0xfc, v14
	s_delay_alu instid0(VALU_DEP_2) | instskip(NEXT) | instid1(VALU_DEP_2)
	v_cmp_eq_u64_e32 vcc_lo, 0, v[10:11]
	v_and_or_b32 v10, v10, 3, v14
	s_and_b32 s10, s10, vcc_lo
	s_delay_alu instid0(VALU_DEP_1) | instid1(SALU_CYCLE_1)
	v_cndmask_b32_e64 v10, v10, 0, s10
	s_delay_alu instid0(VALU_DEP_1)
	v_or_b32_e32 v87, v10, v2
.LBB4_11461:                            ;   in Loop: Header=BB4_9783 Depth=2
	s_or_b32 exec_lo, exec_lo, s40
                                        ; implicit-def: $vgpr2
.LBB4_11462:                            ;   in Loop: Header=BB4_9783 Depth=2
	s_and_not1_saveexec_b32 s10, s29
; %bb.11463:                            ;   in Loop: Header=BB4_9783 Depth=2
	v_or_b32_e32 v87, 0x7b, v2
; %bb.11464:                            ;   in Loop: Header=BB4_9783 Depth=2
	s_or_b32 exec_lo, exec_lo, s10
                                        ; implicit-def: $vgpr10
                                        ; implicit-def: $vgpr2
.LBB4_11465:                            ;   in Loop: Header=BB4_9783 Depth=2
	s_and_not1_saveexec_b32 s10, s28
	s_cbranch_execz .LBB4_11471
; %bb.11466:                            ;   in Loop: Header=BB4_9783 Depth=2
	s_mov_b32 s28, exec_lo
                                        ; implicit-def: $vgpr87
	v_cmpx_ne_u64_e32 0, v[14:15]
	s_xor_b32 s28, exec_lo, s28
; %bb.11467:                            ;   in Loop: Header=BB4_9783 Depth=2
	v_or_b32_e32 v87, 0x7f, v2
                                        ; implicit-def: $vgpr10
; %bb.11468:                            ;   in Loop: Header=BB4_9783 Depth=2
	s_and_not1_saveexec_b32 s28, s28
; %bb.11469:                            ;   in Loop: Header=BB4_9783 Depth=2
	v_cmp_lt_i32_e32 vcc_lo, -1, v10
	v_cndmask_b32_e32 v87, 0xfc, v101, vcc_lo
; %bb.11470:                            ;   in Loop: Header=BB4_9783 Depth=2
	s_or_b32 exec_lo, exec_lo, s28
.LBB4_11471:                            ;   in Loop: Header=BB4_9783 Depth=2
	s_delay_alu instid0(SALU_CYCLE_1) | instskip(SKIP_1) | instid1(VALU_DEP_1)
	s_or_b32 exec_lo, exec_lo, s10
	v_and_b32_e32 v2, 0xff, v12
	v_cmp_ne_u16_e32 vcc_lo, 0, v2
	v_mov_b32_e32 v2, 0
	s_and_saveexec_b32 s10, vcc_lo
	s_cbranch_execz .LBB4_11481
; %bb.11472:                            ;   in Loop: Header=BB4_9783 Depth=2
	v_bfe_i32 v11, v12, 0, 8
	v_bfrev_b32_e32 v2, 1
	s_mov_b32 s28, exec_lo
	s_delay_alu instid0(VALU_DEP_2)
	v_cmpx_ne_u16_e32 0xff80, v11
	s_cbranch_execz .LBB4_11480
; %bb.11473:                            ;   in Loop: Header=BB4_9783 Depth=2
	v_and_b32_e32 v2, 0x7c, v12
	v_and_b32_e32 v10, 3, v12
	s_delay_alu instid0(VALU_DEP_2) | instskip(SKIP_1) | instid1(SALU_CYCLE_1)
	v_cmp_ne_u32_e32 vcc_lo, 0x7c, v2
                                        ; implicit-def: $vgpr2
	s_and_saveexec_b32 s29, vcc_lo
	s_xor_b32 s29, exec_lo, s29
	s_cbranch_execz .LBB4_11477
; %bb.11474:                            ;   in Loop: Header=BB4_9783 Depth=2
	v_bfe_u32 v2, v12, 2, 5
	s_mov_b32 s40, exec_lo
	s_delay_alu instid0(VALU_DEP_1)
	v_cmpx_eq_u32_e32 0, v2
; %bb.11475:                            ;   in Loop: Header=BB4_9783 Depth=2
	v_clz_i32_u32_e32 v2, v10
	s_delay_alu instid0(VALU_DEP_1) | instskip(NEXT) | instid1(VALU_DEP_1)
	v_min_u32_e32 v2, 32, v2
	v_subrev_nc_u32_e32 v10, 29, v2
	v_sub_nc_u32_e32 v2, 30, v2
	s_delay_alu instid0(VALU_DEP_2) | instskip(NEXT) | instid1(VALU_DEP_1)
	v_lshlrev_b64_e32 v[10:11], v10, v[12:13]
	v_and_b32_e32 v10, 3, v10
; %bb.11476:                            ;   in Loop: Header=BB4_9783 Depth=2
	s_or_b32 exec_lo, exec_lo, s40
	v_lshlrev_b32_e32 v11, 24, v12
	s_delay_alu instid0(VALU_DEP_1) | instskip(NEXT) | instid1(VALU_DEP_1)
	v_and_b32_e32 v11, 0x80000000, v11
	v_lshl_add_u32 v2, v2, 23, v11
                                        ; implicit-def: $vgpr11
	s_delay_alu instid0(VALU_DEP_1) | instskip(NEXT) | instid1(VALU_DEP_1)
	v_lshl_or_b32 v2, v10, 21, v2
                                        ; implicit-def: $vgpr10
	v_add_nc_u32_e32 v2, 0x38000000, v2
.LBB4_11477:                            ;   in Loop: Header=BB4_9783 Depth=2
	s_and_not1_saveexec_b32 s29, s29
; %bb.11478:                            ;   in Loop: Header=BB4_9783 Depth=2
	v_cmp_lt_i16_e32 vcc_lo, -1, v11
	v_cndmask_b32_e32 v2, 0xff800000, v100, vcc_lo
	v_cmp_eq_u32_e32 vcc_lo, 0, v10
	s_delay_alu instid0(VALU_DEP_2)
	v_cndmask_b32_e32 v2, 0x7f800001, v2, vcc_lo
; %bb.11479:                            ;   in Loop: Header=BB4_9783 Depth=2
	s_or_b32 exec_lo, exec_lo, s29
.LBB4_11480:                            ;   in Loop: Header=BB4_9783 Depth=2
	s_delay_alu instid0(SALU_CYCLE_1)
	s_or_b32 exec_lo, exec_lo, s28
.LBB4_11481:                            ;   in Loop: Header=BB4_9783 Depth=2
	s_delay_alu instid0(SALU_CYCLE_1) | instskip(NEXT) | instid1(VALU_DEP_1)
	s_or_b32 exec_lo, exec_lo, s10
	v_dual_mul_f32 v10, s27, v2 :: v_dual_mov_b32 v21, v15
                                        ; implicit-def: $vgpr122
	s_mov_b32 s10, exec_lo
	s_delay_alu instid0(VALU_DEP_1) | instskip(SKIP_2) | instid1(VALU_DEP_3)
	v_and_b32_e32 v20, 0x7f800000, v10
	v_and_b32_e32 v14, 0x7fffff, v10
	v_lshrrev_b32_e32 v2, 24, v10
	v_cmpx_ne_u64_e32 0x7f800000, v[20:21]
	s_xor_b32 s28, exec_lo, s10
	s_cbranch_execz .LBB4_11495
; %bb.11482:                            ;   in Loop: Header=BB4_9783 Depth=2
	v_and_b32_e32 v20, 0x7fffffff, v10
	v_mov_b32_e32 v21, v15
	v_and_b32_e32 v2, 0x80, v2
                                        ; implicit-def: $vgpr122
	s_mov_b32 s10, exec_lo
	s_delay_alu instid0(VALU_DEP_2)
	v_cmpx_gt_u64_e32 0x47600001, v[20:21]
	s_xor_b32 s29, exec_lo, s10
	s_cbranch_execz .LBB4_11492
; %bb.11483:                            ;   in Loop: Header=BB4_9783 Depth=2
	v_mov_b32_e32 v122, 0
	s_mov_b32 s40, exec_lo
	v_cmpx_ne_u32_e32 0, v10
	s_cbranch_execz .LBB4_11491
; %bb.11484:                            ;   in Loop: Header=BB4_9783 Depth=2
	v_bfe_u32 v98, v10, 23, 8
	v_or_b32_e32 v11, 0x800000, v14
	s_delay_alu instid0(VALU_DEP_2) | instskip(SKIP_2) | instid1(VALU_DEP_2)
	v_cmp_gt_u32_e64 s10, 0x72, v98
	v_sub_nc_u32_e32 v10, 0x71, v98
	v_cmp_eq_u32_e32 vcc_lo, 0, v98
	v_cndmask_b32_e64 v10, 0, v10, s10
	s_delay_alu instid0(VALU_DEP_1) | instskip(SKIP_1) | instid1(VALU_DEP_2)
	v_cndmask_b32_e64 v30, v10, 0x70, vcc_lo
	v_cndmask_b32_e32 v10, v11, v14, vcc_lo
	v_dual_mov_b32 v11, v15 :: v_dual_add_nc_u32 v14, 21, v30
	s_delay_alu instid0(VALU_DEP_1) | instskip(SKIP_1) | instid1(VALU_DEP_1)
	v_lshlrev_b64_e64 v[20:21], v14, -1
	v_add_nc_u32_e32 v14, 20, v30
	v_lshlrev_b64_e64 v[84:85], v14, 1
	s_delay_alu instid0(VALU_DEP_3) | instskip(SKIP_2) | instid1(VALU_DEP_1)
	v_bfi_b32 v20, v20, 0, v10
	v_lshrrev_b64 v[10:11], v30, v[10:11]
	v_bfi_b32 v21, v21, 0, 0
	v_cmp_eq_u64_e64 s10, v[20:21], v[84:85]
	s_delay_alu instid0(VALU_DEP_3)
	v_mov_b64_e32 v[84:85], v[10:11]
	s_and_saveexec_b32 s41, s10
; %bb.11485:                            ;   in Loop: Header=BB4_9783 Depth=2
	v_bfe_u32 v20, v10, 21, 1
	v_mov_b32_e32 v21, v15
	s_delay_alu instid0(VALU_DEP_1) | instskip(NEXT) | instid1(VALU_DEP_1)
	v_add_nc_u64_e32 v[20:21], v[10:11], v[20:21]
	v_add_nc_u64_e32 v[84:85], -1, v[20:21]
; %bb.11486:                            ;   in Loop: Header=BB4_9783 Depth=2
	s_or_b32 exec_lo, exec_lo, s41
	v_add_nc_u32_e32 v11, 0xffffff81, v98
	v_lshrrev_b32_e32 v14, 23, v10
	s_mov_b32 s10, exec_lo
                                        ; implicit-def: $vgpr20
	s_delay_alu instid0(VALU_DEP_2) | instskip(NEXT) | instid1(VALU_DEP_1)
	v_cndmask_b32_e64 v11, v11, 0xffffff82, vcc_lo
	v_add3_u32 v21, v30, v11, v14
	v_and_b32_e32 v11, 0x1fffff, v84
	s_delay_alu instid0(VALU_DEP_1) | instskip(NEXT) | instid1(VALU_DEP_1)
	v_dual_add_nc_u32 v30, 14, v21 :: v_dual_add_nc_u32 v14, v11, v10
                                        ; implicit-def: $vgpr10_vgpr11
	v_cmpx_ne_u32_e32 0, v30
	s_xor_b32 s10, exec_lo, s10
; %bb.11487:                            ;   in Loop: Header=BB4_9783 Depth=2
	s_delay_alu instid0(VALU_DEP_2) | instskip(SKIP_1) | instid1(VALU_DEP_1)
	v_cmp_lt_u64_e32 vcc_lo, 0xffffff, v[14:15]
	v_add_nc_u32_e32 v10, 15, v21
	v_cndmask_b32_e32 v20, v30, v10, vcc_lo
	v_cndmask_b32_e64 v10, 0, 1, vcc_lo
	s_delay_alu instid0(VALU_DEP_1)
	v_lshrrev_b64 v[10:11], v10, v[14:15]
; %bb.11488:                            ;   in Loop: Header=BB4_9783 Depth=2
	s_and_not1_saveexec_b32 s10, s10
; %bb.11489:                            ;   in Loop: Header=BB4_9783 Depth=2
	v_mov_b64_e32 v[10:11], v[14:15]
	v_bfe_u32 v20, v14, 23, 1
; %bb.11490:                            ;   in Loop: Header=BB4_9783 Depth=2
	s_or_b32 exec_lo, exec_lo, s10
	s_delay_alu instid0(VALU_DEP_2) | instskip(NEXT) | instid1(VALU_DEP_2)
	v_lshrrev_b64 v[10:11], 21, v[10:11]
	v_cmp_gt_i32_e32 vcc_lo, 32, v20
	v_min_i32_e32 v14, 31, v20
	v_cmp_eq_u32_e64 s10, 0, v20
	s_delay_alu instid0(VALU_DEP_2) | instskip(SKIP_1) | instid1(VALU_DEP_2)
	v_dual_cndmask_b32 v11, 0, v11 :: v_dual_lshlrev_b32 v14, 2, v14
	v_cndmask_b32_e32 v10, 3, v10, vcc_lo
	v_and_b32_e32 v14, 0xfc, v14
	s_delay_alu instid0(VALU_DEP_2) | instskip(NEXT) | instid1(VALU_DEP_2)
	v_cmp_eq_u64_e32 vcc_lo, 0, v[10:11]
	v_and_or_b32 v10, v10, 3, v14
	s_and_b32 s10, s10, vcc_lo
	s_delay_alu instid0(VALU_DEP_1) | instid1(SALU_CYCLE_1)
	v_cndmask_b32_e64 v10, v10, 0, s10
	s_delay_alu instid0(VALU_DEP_1)
	v_or_b32_e32 v122, v10, v2
.LBB4_11491:                            ;   in Loop: Header=BB4_9783 Depth=2
	s_or_b32 exec_lo, exec_lo, s40
                                        ; implicit-def: $vgpr2
.LBB4_11492:                            ;   in Loop: Header=BB4_9783 Depth=2
	s_and_not1_saveexec_b32 s10, s29
; %bb.11493:                            ;   in Loop: Header=BB4_9783 Depth=2
	v_or_b32_e32 v122, 0x7b, v2
; %bb.11494:                            ;   in Loop: Header=BB4_9783 Depth=2
	s_or_b32 exec_lo, exec_lo, s10
                                        ; implicit-def: $vgpr10
                                        ; implicit-def: $vgpr2
.LBB4_11495:                            ;   in Loop: Header=BB4_9783 Depth=2
	s_and_not1_saveexec_b32 s10, s28
	s_cbranch_execz .LBB4_11501
; %bb.11496:                            ;   in Loop: Header=BB4_9783 Depth=2
	s_mov_b32 s28, exec_lo
                                        ; implicit-def: $vgpr122
	v_cmpx_ne_u64_e32 0, v[14:15]
	s_xor_b32 s28, exec_lo, s28
; %bb.11497:                            ;   in Loop: Header=BB4_9783 Depth=2
	v_or_b32_e32 v122, 0x7f, v2
                                        ; implicit-def: $vgpr10
; %bb.11498:                            ;   in Loop: Header=BB4_9783 Depth=2
	s_and_not1_saveexec_b32 s28, s28
; %bb.11499:                            ;   in Loop: Header=BB4_9783 Depth=2
	v_cmp_lt_i32_e32 vcc_lo, -1, v10
	v_cndmask_b32_e32 v122, 0xfc, v101, vcc_lo
; %bb.11500:                            ;   in Loop: Header=BB4_9783 Depth=2
	s_or_b32 exec_lo, exec_lo, s28
.LBB4_11501:                            ;   in Loop: Header=BB4_9783 Depth=2
	s_delay_alu instid0(SALU_CYCLE_1) | instskip(SKIP_3) | instid1(VALU_DEP_2)
	s_or_b32 exec_lo, exec_lo, s10
	v_lshrrev_b16 v10, 8, v12
	v_mov_b32_e32 v11, 0
	s_mov_b32 s10, exec_lo
	v_cmpx_ne_u16_e32 0, v10
	s_cbranch_execz .LBB4_11511
; %bb.11502:                            ;   in Loop: Header=BB4_9783 Depth=2
	v_bfrev_b32_e32 v11, 1
	s_mov_b32 s28, exec_lo
	v_cmpx_ne_u16_e32 0x80, v10
	s_cbranch_execz .LBB4_11510
; %bb.11503:                            ;   in Loop: Header=BB4_9783 Depth=2
	v_and_b32_e32 v14, 0xffff, v10
	s_delay_alu instid0(VALU_DEP_1) | instskip(SKIP_1) | instid1(VALU_DEP_2)
	v_and_b32_e32 v11, 0x7c, v14
	v_and_b32_e32 v2, 3, v14
	v_cmp_ne_u32_e32 vcc_lo, 0x7c, v11
                                        ; implicit-def: $vgpr11
	s_and_saveexec_b32 s29, vcc_lo
	s_delay_alu instid0(SALU_CYCLE_1)
	s_xor_b32 s29, exec_lo, s29
	s_cbranch_execz .LBB4_11507
; %bb.11504:                            ;   in Loop: Header=BB4_9783 Depth=2
	v_bfe_u32 v11, v14, 2, 5
	s_mov_b32 s40, exec_lo
	s_delay_alu instid0(VALU_DEP_1)
	v_cmpx_eq_u32_e32 0, v11
	s_cbranch_execz .LBB4_11506
; %bb.11505:                            ;   in Loop: Header=BB4_9783 Depth=2
	v_clz_i32_u32_e32 v2, v2
	v_mov_b32_e32 v11, v15
	s_delay_alu instid0(VALU_DEP_2) | instskip(NEXT) | instid1(VALU_DEP_1)
	v_min_u32_e32 v2, 32, v2
	v_subrev_nc_u32_e32 v14, 29, v2
	s_delay_alu instid0(VALU_DEP_1) | instskip(SKIP_1) | instid1(VALU_DEP_2)
	v_lshlrev_b64_e32 v[10:11], v14, v[10:11]
	v_sub_nc_u32_e32 v11, 30, v2
	v_and_b32_e32 v2, 3, v10
.LBB4_11506:                            ;   in Loop: Header=BB4_9783 Depth=2
	s_or_b32 exec_lo, exec_lo, s40
	v_lshlrev_b32_e32 v10, 16, v12
	s_delay_alu instid0(VALU_DEP_1) | instskip(NEXT) | instid1(VALU_DEP_1)
	v_and_b32_e32 v10, 0x80000000, v10
	v_lshl_add_u32 v10, v11, 23, v10
	s_delay_alu instid0(VALU_DEP_1) | instskip(NEXT) | instid1(VALU_DEP_1)
	v_lshl_or_b32 v2, v2, 21, v10
	v_add_nc_u32_e32 v11, 0x38000000, v2
                                        ; implicit-def: $vgpr2
.LBB4_11507:                            ;   in Loop: Header=BB4_9783 Depth=2
	s_and_not1_saveexec_b32 s29, s29
; %bb.11508:                            ;   in Loop: Header=BB4_9783 Depth=2
	v_cmp_lt_i16_e32 vcc_lo, -1, v12
	v_cndmask_b32_e32 v10, 0xff800000, v100, vcc_lo
	v_cmp_eq_u32_e32 vcc_lo, 0, v2
	s_delay_alu instid0(VALU_DEP_2)
	v_cndmask_b32_e32 v11, 0x7f800001, v10, vcc_lo
; %bb.11509:                            ;   in Loop: Header=BB4_9783 Depth=2
	s_or_b32 exec_lo, exec_lo, s29
.LBB4_11510:                            ;   in Loop: Header=BB4_9783 Depth=2
	s_delay_alu instid0(SALU_CYCLE_1)
	s_or_b32 exec_lo, exec_lo, s28
.LBB4_11511:                            ;   in Loop: Header=BB4_9783 Depth=2
	s_delay_alu instid0(SALU_CYCLE_1) | instskip(NEXT) | instid1(VALU_DEP_1)
	s_or_b32 exec_lo, exec_lo, s10
	v_dual_mul_f32 v10, s27, v11 :: v_dual_mov_b32 v21, v15
                                        ; implicit-def: $vgpr123
	s_mov_b32 s10, exec_lo
	s_delay_alu instid0(VALU_DEP_1) | instskip(SKIP_2) | instid1(VALU_DEP_3)
	v_and_b32_e32 v20, 0x7f800000, v10
	v_and_b32_e32 v14, 0x7fffff, v10
	v_lshrrev_b32_e32 v2, 24, v10
	v_cmpx_ne_u64_e32 0x7f800000, v[20:21]
	s_xor_b32 s28, exec_lo, s10
	s_cbranch_execz .LBB4_11525
; %bb.11512:                            ;   in Loop: Header=BB4_9783 Depth=2
	v_and_b32_e32 v20, 0x7fffffff, v10
	v_mov_b32_e32 v21, v15
	v_and_b32_e32 v2, 0x80, v2
                                        ; implicit-def: $vgpr123
	s_mov_b32 s10, exec_lo
	s_delay_alu instid0(VALU_DEP_2)
	v_cmpx_gt_u64_e32 0x47600001, v[20:21]
	s_xor_b32 s29, exec_lo, s10
	s_cbranch_execz .LBB4_11522
; %bb.11513:                            ;   in Loop: Header=BB4_9783 Depth=2
	v_mov_b32_e32 v123, 0
	s_mov_b32 s40, exec_lo
	v_cmpx_ne_u32_e32 0, v10
	s_cbranch_execz .LBB4_11521
; %bb.11514:                            ;   in Loop: Header=BB4_9783 Depth=2
	v_bfe_u32 v98, v10, 23, 8
	v_or_b32_e32 v11, 0x800000, v14
	s_delay_alu instid0(VALU_DEP_2) | instskip(SKIP_2) | instid1(VALU_DEP_2)
	v_cmp_gt_u32_e64 s10, 0x72, v98
	v_sub_nc_u32_e32 v10, 0x71, v98
	v_cmp_eq_u32_e32 vcc_lo, 0, v98
	v_cndmask_b32_e64 v10, 0, v10, s10
	s_delay_alu instid0(VALU_DEP_1) | instskip(SKIP_1) | instid1(VALU_DEP_2)
	v_cndmask_b32_e64 v30, v10, 0x70, vcc_lo
	v_cndmask_b32_e32 v10, v11, v14, vcc_lo
	v_dual_mov_b32 v11, v15 :: v_dual_add_nc_u32 v14, 21, v30
	s_delay_alu instid0(VALU_DEP_1) | instskip(SKIP_1) | instid1(VALU_DEP_1)
	v_lshlrev_b64_e64 v[20:21], v14, -1
	v_add_nc_u32_e32 v14, 20, v30
	v_lshlrev_b64_e64 v[84:85], v14, 1
	s_delay_alu instid0(VALU_DEP_3) | instskip(SKIP_2) | instid1(VALU_DEP_1)
	v_bfi_b32 v20, v20, 0, v10
	v_lshrrev_b64 v[10:11], v30, v[10:11]
	v_bfi_b32 v21, v21, 0, 0
	v_cmp_eq_u64_e64 s10, v[20:21], v[84:85]
	s_delay_alu instid0(VALU_DEP_3)
	v_mov_b64_e32 v[84:85], v[10:11]
	s_and_saveexec_b32 s41, s10
; %bb.11515:                            ;   in Loop: Header=BB4_9783 Depth=2
	v_bfe_u32 v20, v10, 21, 1
	v_mov_b32_e32 v21, v15
	s_delay_alu instid0(VALU_DEP_1) | instskip(NEXT) | instid1(VALU_DEP_1)
	v_add_nc_u64_e32 v[20:21], v[10:11], v[20:21]
	v_add_nc_u64_e32 v[84:85], -1, v[20:21]
; %bb.11516:                            ;   in Loop: Header=BB4_9783 Depth=2
	s_or_b32 exec_lo, exec_lo, s41
	v_add_nc_u32_e32 v11, 0xffffff81, v98
	v_lshrrev_b32_e32 v14, 23, v10
	s_mov_b32 s10, exec_lo
                                        ; implicit-def: $vgpr20
	s_delay_alu instid0(VALU_DEP_2) | instskip(NEXT) | instid1(VALU_DEP_1)
	v_cndmask_b32_e64 v11, v11, 0xffffff82, vcc_lo
	v_add3_u32 v21, v30, v11, v14
	v_and_b32_e32 v11, 0x1fffff, v84
	s_delay_alu instid0(VALU_DEP_1) | instskip(NEXT) | instid1(VALU_DEP_1)
	v_dual_add_nc_u32 v30, 14, v21 :: v_dual_add_nc_u32 v14, v11, v10
                                        ; implicit-def: $vgpr10_vgpr11
	v_cmpx_ne_u32_e32 0, v30
	s_xor_b32 s10, exec_lo, s10
; %bb.11517:                            ;   in Loop: Header=BB4_9783 Depth=2
	s_delay_alu instid0(VALU_DEP_2) | instskip(SKIP_1) | instid1(VALU_DEP_1)
	v_cmp_lt_u64_e32 vcc_lo, 0xffffff, v[14:15]
	v_add_nc_u32_e32 v10, 15, v21
	v_cndmask_b32_e32 v20, v30, v10, vcc_lo
	v_cndmask_b32_e64 v10, 0, 1, vcc_lo
	s_delay_alu instid0(VALU_DEP_1)
	v_lshrrev_b64 v[10:11], v10, v[14:15]
; %bb.11518:                            ;   in Loop: Header=BB4_9783 Depth=2
	s_and_not1_saveexec_b32 s10, s10
; %bb.11519:                            ;   in Loop: Header=BB4_9783 Depth=2
	v_mov_b64_e32 v[10:11], v[14:15]
	v_bfe_u32 v20, v14, 23, 1
; %bb.11520:                            ;   in Loop: Header=BB4_9783 Depth=2
	s_or_b32 exec_lo, exec_lo, s10
	s_delay_alu instid0(VALU_DEP_2) | instskip(NEXT) | instid1(VALU_DEP_2)
	v_lshrrev_b64 v[10:11], 21, v[10:11]
	v_cmp_gt_i32_e32 vcc_lo, 32, v20
	v_min_i32_e32 v14, 31, v20
	v_cmp_eq_u32_e64 s10, 0, v20
	s_delay_alu instid0(VALU_DEP_2) | instskip(SKIP_1) | instid1(VALU_DEP_2)
	v_dual_cndmask_b32 v11, 0, v11 :: v_dual_lshlrev_b32 v14, 2, v14
	v_cndmask_b32_e32 v10, 3, v10, vcc_lo
	v_and_b32_e32 v14, 0xfc, v14
	s_delay_alu instid0(VALU_DEP_2) | instskip(NEXT) | instid1(VALU_DEP_2)
	v_cmp_eq_u64_e32 vcc_lo, 0, v[10:11]
	v_and_or_b32 v10, v10, 3, v14
	s_and_b32 s10, s10, vcc_lo
	s_delay_alu instid0(VALU_DEP_1) | instid1(SALU_CYCLE_1)
	v_cndmask_b32_e64 v10, v10, 0, s10
	s_delay_alu instid0(VALU_DEP_1)
	v_or_b32_e32 v123, v10, v2
.LBB4_11521:                            ;   in Loop: Header=BB4_9783 Depth=2
	s_or_b32 exec_lo, exec_lo, s40
                                        ; implicit-def: $vgpr2
.LBB4_11522:                            ;   in Loop: Header=BB4_9783 Depth=2
	s_and_not1_saveexec_b32 s10, s29
; %bb.11523:                            ;   in Loop: Header=BB4_9783 Depth=2
	v_or_b32_e32 v123, 0x7b, v2
; %bb.11524:                            ;   in Loop: Header=BB4_9783 Depth=2
	s_or_b32 exec_lo, exec_lo, s10
                                        ; implicit-def: $vgpr10
                                        ; implicit-def: $vgpr2
.LBB4_11525:                            ;   in Loop: Header=BB4_9783 Depth=2
	s_and_not1_saveexec_b32 s10, s28
	s_cbranch_execz .LBB4_11531
; %bb.11526:                            ;   in Loop: Header=BB4_9783 Depth=2
	s_mov_b32 s28, exec_lo
                                        ; implicit-def: $vgpr123
	v_cmpx_ne_u64_e32 0, v[14:15]
	s_xor_b32 s28, exec_lo, s28
; %bb.11527:                            ;   in Loop: Header=BB4_9783 Depth=2
	v_or_b32_e32 v123, 0x7f, v2
                                        ; implicit-def: $vgpr10
; %bb.11528:                            ;   in Loop: Header=BB4_9783 Depth=2
	s_and_not1_saveexec_b32 s28, s28
; %bb.11529:                            ;   in Loop: Header=BB4_9783 Depth=2
	v_cmp_lt_i32_e32 vcc_lo, -1, v10
	v_cndmask_b32_e32 v123, 0xfc, v101, vcc_lo
; %bb.11530:                            ;   in Loop: Header=BB4_9783 Depth=2
	s_or_b32 exec_lo, exec_lo, s28
.LBB4_11531:                            ;   in Loop: Header=BB4_9783 Depth=2
	s_delay_alu instid0(SALU_CYCLE_1) | instskip(SKIP_2) | instid1(VALU_DEP_1)
	s_or_b32 exec_lo, exec_lo, s10
	v_dual_mov_b32 v11, 0 :: v_dual_lshrrev_b32 v10, 16, v12
	s_mov_b32 s10, exec_lo
	v_and_b32_e32 v2, 0xff, v10
	s_delay_alu instid0(VALU_DEP_1)
	v_cmpx_ne_u16_e32 0, v2
	s_cbranch_execz .LBB4_11541
; %bb.11532:                            ;   in Loop: Header=BB4_9783 Depth=2
	v_bfrev_b32_e32 v11, 1
	s_mov_b32 s28, exec_lo
	v_cmpx_ne_u16_e32 0x80, v2
	s_cbranch_execz .LBB4_11540
; %bb.11533:                            ;   in Loop: Header=BB4_9783 Depth=2
	v_and_b32_e32 v11, 0x7c0000, v12
	v_bfe_u32 v2, v12, 16, 2
	s_delay_alu instid0(VALU_DEP_2) | instskip(SKIP_1) | instid1(SALU_CYCLE_1)
	v_cmp_ne_u32_e32 vcc_lo, 0x7c0000, v11
                                        ; implicit-def: $vgpr11
	s_and_saveexec_b32 s29, vcc_lo
	s_xor_b32 s29, exec_lo, s29
	s_cbranch_execz .LBB4_11537
; %bb.11534:                            ;   in Loop: Header=BB4_9783 Depth=2
	v_bfe_u32 v11, v12, 18, 5
	s_mov_b32 s40, exec_lo
	s_delay_alu instid0(VALU_DEP_1)
	v_cmpx_eq_u32_e32 0, v11
; %bb.11535:                            ;   in Loop: Header=BB4_9783 Depth=2
	v_clz_i32_u32_e32 v2, v2
	s_delay_alu instid0(VALU_DEP_1) | instskip(NEXT) | instid1(VALU_DEP_1)
	v_min_u32_e32 v2, 32, v2
	v_subrev_nc_u32_e32 v11, 29, v2
	s_delay_alu instid0(VALU_DEP_1) | instskip(NEXT) | instid1(VALU_DEP_1)
	v_lshlrev_b64_e32 v[20:21], v11, v[10:11]
	v_dual_sub_nc_u32 v11, 30, v2 :: v_dual_bitop2_b32 v2, 3, v20 bitop3:0x40
; %bb.11536:                            ;   in Loop: Header=BB4_9783 Depth=2
	s_or_b32 exec_lo, exec_lo, s40
	v_lshlrev_b32_e32 v10, 24, v10
	s_delay_alu instid0(VALU_DEP_1) | instskip(NEXT) | instid1(VALU_DEP_1)
	v_and_b32_e32 v10, 0x80000000, v10
	v_lshl_add_u32 v10, v11, 23, v10
	s_delay_alu instid0(VALU_DEP_1) | instskip(NEXT) | instid1(VALU_DEP_1)
	v_lshl_or_b32 v2, v2, 21, v10
                                        ; implicit-def: $vgpr10
	v_add_nc_u32_e32 v11, 0x38000000, v2
                                        ; implicit-def: $vgpr2
.LBB4_11537:                            ;   in Loop: Header=BB4_9783 Depth=2
	s_and_not1_saveexec_b32 s29, s29
; %bb.11538:                            ;   in Loop: Header=BB4_9783 Depth=2
	v_bfe_i32 v10, v10, 0, 8
	s_delay_alu instid0(VALU_DEP_1) | instskip(SKIP_2) | instid1(VALU_DEP_2)
	v_cmp_lt_i16_e32 vcc_lo, -1, v10
	v_cndmask_b32_e32 v10, 0xff800000, v100, vcc_lo
	v_cmp_eq_u32_e32 vcc_lo, 0, v2
	v_cndmask_b32_e32 v11, 0x7f800001, v10, vcc_lo
; %bb.11539:                            ;   in Loop: Header=BB4_9783 Depth=2
	s_or_b32 exec_lo, exec_lo, s29
.LBB4_11540:                            ;   in Loop: Header=BB4_9783 Depth=2
	s_delay_alu instid0(SALU_CYCLE_1)
	s_or_b32 exec_lo, exec_lo, s28
.LBB4_11541:                            ;   in Loop: Header=BB4_9783 Depth=2
	s_delay_alu instid0(SALU_CYCLE_1) | instskip(NEXT) | instid1(VALU_DEP_1)
	s_or_b32 exec_lo, exec_lo, s10
	v_dual_mul_f32 v10, s27, v11 :: v_dual_mov_b32 v21, v15
                                        ; implicit-def: $vgpr124
	s_mov_b32 s10, exec_lo
	s_delay_alu instid0(VALU_DEP_1) | instskip(SKIP_2) | instid1(VALU_DEP_3)
	v_and_b32_e32 v20, 0x7f800000, v10
	v_and_b32_e32 v14, 0x7fffff, v10
	v_lshrrev_b32_e32 v2, 24, v10
	v_cmpx_ne_u64_e32 0x7f800000, v[20:21]
	s_xor_b32 s28, exec_lo, s10
	s_cbranch_execz .LBB4_11555
; %bb.11542:                            ;   in Loop: Header=BB4_9783 Depth=2
	v_and_b32_e32 v20, 0x7fffffff, v10
	v_mov_b32_e32 v21, v15
	v_and_b32_e32 v2, 0x80, v2
                                        ; implicit-def: $vgpr124
	s_mov_b32 s10, exec_lo
	s_delay_alu instid0(VALU_DEP_2)
	v_cmpx_gt_u64_e32 0x47600001, v[20:21]
	s_xor_b32 s29, exec_lo, s10
	s_cbranch_execz .LBB4_11552
; %bb.11543:                            ;   in Loop: Header=BB4_9783 Depth=2
	v_mov_b32_e32 v124, 0
	s_mov_b32 s40, exec_lo
	v_cmpx_ne_u32_e32 0, v10
	s_cbranch_execz .LBB4_11551
; %bb.11544:                            ;   in Loop: Header=BB4_9783 Depth=2
	v_bfe_u32 v98, v10, 23, 8
	v_or_b32_e32 v11, 0x800000, v14
	s_delay_alu instid0(VALU_DEP_2) | instskip(SKIP_2) | instid1(VALU_DEP_2)
	v_cmp_gt_u32_e64 s10, 0x72, v98
	v_sub_nc_u32_e32 v10, 0x71, v98
	v_cmp_eq_u32_e32 vcc_lo, 0, v98
	v_cndmask_b32_e64 v10, 0, v10, s10
	s_delay_alu instid0(VALU_DEP_1) | instskip(SKIP_1) | instid1(VALU_DEP_2)
	v_cndmask_b32_e64 v30, v10, 0x70, vcc_lo
	v_cndmask_b32_e32 v10, v11, v14, vcc_lo
	v_dual_mov_b32 v11, v15 :: v_dual_add_nc_u32 v14, 21, v30
	s_delay_alu instid0(VALU_DEP_1) | instskip(SKIP_1) | instid1(VALU_DEP_1)
	v_lshlrev_b64_e64 v[20:21], v14, -1
	v_add_nc_u32_e32 v14, 20, v30
	v_lshlrev_b64_e64 v[84:85], v14, 1
	s_delay_alu instid0(VALU_DEP_3) | instskip(SKIP_2) | instid1(VALU_DEP_1)
	v_bfi_b32 v20, v20, 0, v10
	v_lshrrev_b64 v[10:11], v30, v[10:11]
	v_bfi_b32 v21, v21, 0, 0
	v_cmp_eq_u64_e64 s10, v[20:21], v[84:85]
	s_delay_alu instid0(VALU_DEP_3)
	v_mov_b64_e32 v[84:85], v[10:11]
	s_and_saveexec_b32 s41, s10
; %bb.11545:                            ;   in Loop: Header=BB4_9783 Depth=2
	v_bfe_u32 v20, v10, 21, 1
	v_mov_b32_e32 v21, v15
	s_delay_alu instid0(VALU_DEP_1) | instskip(NEXT) | instid1(VALU_DEP_1)
	v_add_nc_u64_e32 v[20:21], v[10:11], v[20:21]
	v_add_nc_u64_e32 v[84:85], -1, v[20:21]
; %bb.11546:                            ;   in Loop: Header=BB4_9783 Depth=2
	s_or_b32 exec_lo, exec_lo, s41
	v_add_nc_u32_e32 v11, 0xffffff81, v98
	v_lshrrev_b32_e32 v14, 23, v10
	s_mov_b32 s10, exec_lo
                                        ; implicit-def: $vgpr20
	s_delay_alu instid0(VALU_DEP_2) | instskip(NEXT) | instid1(VALU_DEP_1)
	v_cndmask_b32_e64 v11, v11, 0xffffff82, vcc_lo
	v_add3_u32 v30, v30, v11, v14
	v_and_b32_e32 v11, 0x1fffff, v84
	s_delay_alu instid0(VALU_DEP_2) | instskip(NEXT) | instid1(VALU_DEP_2)
	v_add_nc_u32_e32 v21, 14, v30
	v_add_nc_u32_e32 v14, v11, v10
                                        ; implicit-def: $vgpr10_vgpr11
	s_delay_alu instid0(VALU_DEP_2)
	v_cmpx_ne_u32_e32 0, v21
	s_xor_b32 s10, exec_lo, s10
; %bb.11547:                            ;   in Loop: Header=BB4_9783 Depth=2
	s_delay_alu instid0(VALU_DEP_2) | instskip(SKIP_1) | instid1(VALU_DEP_1)
	v_cmp_lt_u64_e32 vcc_lo, 0xffffff, v[14:15]
	v_add_nc_u32_e32 v10, 15, v30
	v_cndmask_b32_e32 v20, v21, v10, vcc_lo
	v_cndmask_b32_e64 v10, 0, 1, vcc_lo
	s_delay_alu instid0(VALU_DEP_1)
	v_lshrrev_b64 v[10:11], v10, v[14:15]
; %bb.11548:                            ;   in Loop: Header=BB4_9783 Depth=2
	s_and_not1_saveexec_b32 s10, s10
; %bb.11549:                            ;   in Loop: Header=BB4_9783 Depth=2
	v_mov_b64_e32 v[10:11], v[14:15]
	v_bfe_u32 v20, v14, 23, 1
; %bb.11550:                            ;   in Loop: Header=BB4_9783 Depth=2
	s_or_b32 exec_lo, exec_lo, s10
	s_delay_alu instid0(VALU_DEP_2) | instskip(NEXT) | instid1(VALU_DEP_2)
	v_lshrrev_b64 v[10:11], 21, v[10:11]
	v_cmp_gt_i32_e32 vcc_lo, 32, v20
	v_min_i32_e32 v14, 31, v20
	v_cmp_eq_u32_e64 s10, 0, v20
	s_delay_alu instid0(VALU_DEP_2) | instskip(SKIP_1) | instid1(VALU_DEP_2)
	v_dual_cndmask_b32 v11, 0, v11 :: v_dual_lshlrev_b32 v14, 2, v14
	v_cndmask_b32_e32 v10, 3, v10, vcc_lo
	v_and_b32_e32 v14, 0xfc, v14
	s_delay_alu instid0(VALU_DEP_2) | instskip(NEXT) | instid1(VALU_DEP_2)
	v_cmp_eq_u64_e32 vcc_lo, 0, v[10:11]
	v_and_or_b32 v10, v10, 3, v14
	s_and_b32 s10, s10, vcc_lo
	s_delay_alu instid0(VALU_DEP_1) | instid1(SALU_CYCLE_1)
	v_cndmask_b32_e64 v10, v10, 0, s10
	s_delay_alu instid0(VALU_DEP_1)
	v_or_b32_e32 v124, v10, v2
.LBB4_11551:                            ;   in Loop: Header=BB4_9783 Depth=2
	s_or_b32 exec_lo, exec_lo, s40
                                        ; implicit-def: $vgpr2
.LBB4_11552:                            ;   in Loop: Header=BB4_9783 Depth=2
	s_and_not1_saveexec_b32 s10, s29
; %bb.11553:                            ;   in Loop: Header=BB4_9783 Depth=2
	v_or_b32_e32 v124, 0x7b, v2
; %bb.11554:                            ;   in Loop: Header=BB4_9783 Depth=2
	s_or_b32 exec_lo, exec_lo, s10
                                        ; implicit-def: $vgpr10
                                        ; implicit-def: $vgpr2
.LBB4_11555:                            ;   in Loop: Header=BB4_9783 Depth=2
	s_and_not1_saveexec_b32 s10, s28
	s_cbranch_execz .LBB4_11561
; %bb.11556:                            ;   in Loop: Header=BB4_9783 Depth=2
	s_mov_b32 s28, exec_lo
                                        ; implicit-def: $vgpr124
	v_cmpx_ne_u64_e32 0, v[14:15]
	s_xor_b32 s28, exec_lo, s28
; %bb.11557:                            ;   in Loop: Header=BB4_9783 Depth=2
	v_or_b32_e32 v124, 0x7f, v2
                                        ; implicit-def: $vgpr10
; %bb.11558:                            ;   in Loop: Header=BB4_9783 Depth=2
	s_and_not1_saveexec_b32 s28, s28
; %bb.11559:                            ;   in Loop: Header=BB4_9783 Depth=2
	v_cmp_lt_i32_e32 vcc_lo, -1, v10
	v_cndmask_b32_e32 v124, 0xfc, v101, vcc_lo
; %bb.11560:                            ;   in Loop: Header=BB4_9783 Depth=2
	s_or_b32 exec_lo, exec_lo, s28
.LBB4_11561:                            ;   in Loop: Header=BB4_9783 Depth=2
	s_delay_alu instid0(SALU_CYCLE_1)
	s_or_b32 exec_lo, exec_lo, s10
	v_mov_b32_e32 v2, 0
	s_mov_b32 s10, exec_lo
	v_cmpx_lt_u32_e32 0xffffff, v12
	s_cbranch_execz .LBB4_11571
; %bb.11562:                            ;   in Loop: Header=BB4_9783 Depth=2
	v_lshrrev_b32_e32 v10, 24, v12
	v_bfrev_b32_e32 v2, 1
	s_mov_b32 s28, exec_lo
	s_delay_alu instid0(VALU_DEP_2)
	v_cmpx_ne_u32_e32 0x80, v10
	s_cbranch_execz .LBB4_11570
; %bb.11563:                            ;   in Loop: Header=BB4_9783 Depth=2
	v_and_b32_e32 v2, 0x7c000000, v12
	v_bfe_u32 v11, v12, 24, 2
	s_delay_alu instid0(VALU_DEP_2) | instskip(SKIP_1) | instid1(SALU_CYCLE_1)
	v_cmp_ne_u32_e32 vcc_lo, 0x7c000000, v2
                                        ; implicit-def: $vgpr2
	s_and_saveexec_b32 s29, vcc_lo
	s_xor_b32 s29, exec_lo, s29
	s_cbranch_execz .LBB4_11567
; %bb.11564:                            ;   in Loop: Header=BB4_9783 Depth=2
	v_bfe_u32 v2, v12, 26, 5
	s_mov_b32 s40, exec_lo
	s_delay_alu instid0(VALU_DEP_1)
	v_cmpx_eq_u32_e32 0, v2
; %bb.11565:                            ;   in Loop: Header=BB4_9783 Depth=2
	v_clz_i32_u32_e32 v2, v11
	s_delay_alu instid0(VALU_DEP_1) | instskip(NEXT) | instid1(VALU_DEP_1)
	v_min_u32_e32 v2, 32, v2
	v_subrev_nc_u32_e32 v11, 29, v2
	v_sub_nc_u32_e32 v2, 30, v2
	s_delay_alu instid0(VALU_DEP_2) | instskip(NEXT) | instid1(VALU_DEP_1)
	v_lshlrev_b64_e32 v[10:11], v11, v[10:11]
	v_and_b32_e32 v11, 3, v10
; %bb.11566:                            ;   in Loop: Header=BB4_9783 Depth=2
	s_or_b32 exec_lo, exec_lo, s40
	v_and_b32_e32 v10, 0x80000000, v12
	s_delay_alu instid0(VALU_DEP_1) | instskip(NEXT) | instid1(VALU_DEP_1)
	v_lshl_add_u32 v2, v2, 23, v10
	v_lshl_or_b32 v2, v11, 21, v2
                                        ; implicit-def: $vgpr11
	s_delay_alu instid0(VALU_DEP_1)
	v_add_nc_u32_e32 v2, 0x38000000, v2
.LBB4_11567:                            ;   in Loop: Header=BB4_9783 Depth=2
	s_and_not1_saveexec_b32 s29, s29
; %bb.11568:                            ;   in Loop: Header=BB4_9783 Depth=2
	v_cmp_lt_i32_e32 vcc_lo, -1, v12
	v_cndmask_b32_e32 v2, 0xff800000, v100, vcc_lo
	v_cmp_eq_u32_e32 vcc_lo, 0, v11
	s_delay_alu instid0(VALU_DEP_2)
	v_cndmask_b32_e32 v2, 0x7f800001, v2, vcc_lo
; %bb.11569:                            ;   in Loop: Header=BB4_9783 Depth=2
	s_or_b32 exec_lo, exec_lo, s29
.LBB4_11570:                            ;   in Loop: Header=BB4_9783 Depth=2
	s_delay_alu instid0(SALU_CYCLE_1)
	s_or_b32 exec_lo, exec_lo, s28
.LBB4_11571:                            ;   in Loop: Header=BB4_9783 Depth=2
	s_delay_alu instid0(SALU_CYCLE_1) | instskip(NEXT) | instid1(VALU_DEP_1)
	s_or_b32 exec_lo, exec_lo, s10
	v_dual_mul_f32 v10, s27, v2 :: v_dual_mov_b32 v21, v15
                                        ; implicit-def: $vgpr125
	s_mov_b32 s10, exec_lo
	s_delay_alu instid0(VALU_DEP_1) | instskip(SKIP_2) | instid1(VALU_DEP_3)
	v_and_b32_e32 v20, 0x7f800000, v10
	v_and_b32_e32 v14, 0x7fffff, v10
	v_lshrrev_b32_e32 v2, 24, v10
	v_cmpx_ne_u64_e32 0x7f800000, v[20:21]
	s_xor_b32 s28, exec_lo, s10
	s_cbranch_execz .LBB4_11585
; %bb.11572:                            ;   in Loop: Header=BB4_9783 Depth=2
	v_and_b32_e32 v20, 0x7fffffff, v10
	v_mov_b32_e32 v21, v15
	v_and_b32_e32 v2, 0x80, v2
                                        ; implicit-def: $vgpr125
	s_mov_b32 s10, exec_lo
	s_delay_alu instid0(VALU_DEP_2)
	v_cmpx_gt_u64_e32 0x47600001, v[20:21]
	s_xor_b32 s29, exec_lo, s10
	s_cbranch_execz .LBB4_11582
; %bb.11573:                            ;   in Loop: Header=BB4_9783 Depth=2
	v_mov_b32_e32 v125, 0
	s_mov_b32 s40, exec_lo
	v_cmpx_ne_u32_e32 0, v10
	s_cbranch_execz .LBB4_11581
; %bb.11574:                            ;   in Loop: Header=BB4_9783 Depth=2
	v_bfe_u32 v98, v10, 23, 8
	v_or_b32_e32 v11, 0x800000, v14
	s_delay_alu instid0(VALU_DEP_2) | instskip(SKIP_2) | instid1(VALU_DEP_2)
	v_cmp_gt_u32_e64 s10, 0x72, v98
	v_sub_nc_u32_e32 v10, 0x71, v98
	v_cmp_eq_u32_e32 vcc_lo, 0, v98
	v_cndmask_b32_e64 v10, 0, v10, s10
	s_delay_alu instid0(VALU_DEP_1) | instskip(SKIP_1) | instid1(VALU_DEP_2)
	v_cndmask_b32_e64 v30, v10, 0x70, vcc_lo
	v_cndmask_b32_e32 v10, v11, v14, vcc_lo
	v_dual_mov_b32 v11, v15 :: v_dual_add_nc_u32 v14, 21, v30
	s_delay_alu instid0(VALU_DEP_1) | instskip(SKIP_1) | instid1(VALU_DEP_1)
	v_lshlrev_b64_e64 v[20:21], v14, -1
	v_add_nc_u32_e32 v14, 20, v30
	v_lshlrev_b64_e64 v[84:85], v14, 1
	s_delay_alu instid0(VALU_DEP_3) | instskip(SKIP_2) | instid1(VALU_DEP_1)
	v_bfi_b32 v20, v20, 0, v10
	v_lshrrev_b64 v[10:11], v30, v[10:11]
	v_bfi_b32 v21, v21, 0, 0
	v_cmp_eq_u64_e64 s10, v[20:21], v[84:85]
	s_delay_alu instid0(VALU_DEP_3)
	v_mov_b64_e32 v[84:85], v[10:11]
	s_and_saveexec_b32 s41, s10
; %bb.11575:                            ;   in Loop: Header=BB4_9783 Depth=2
	v_bfe_u32 v20, v10, 21, 1
	v_mov_b32_e32 v21, v15
	s_delay_alu instid0(VALU_DEP_1) | instskip(NEXT) | instid1(VALU_DEP_1)
	v_add_nc_u64_e32 v[20:21], v[10:11], v[20:21]
	v_add_nc_u64_e32 v[84:85], -1, v[20:21]
; %bb.11576:                            ;   in Loop: Header=BB4_9783 Depth=2
	s_or_b32 exec_lo, exec_lo, s41
	v_add_nc_u32_e32 v11, 0xffffff81, v98
	v_lshrrev_b32_e32 v14, 23, v10
	s_mov_b32 s10, exec_lo
                                        ; implicit-def: $vgpr20
	s_delay_alu instid0(VALU_DEP_2) | instskip(NEXT) | instid1(VALU_DEP_1)
	v_cndmask_b32_e64 v11, v11, 0xffffff82, vcc_lo
	v_add3_u32 v30, v30, v11, v14
	v_and_b32_e32 v11, 0x1fffff, v84
	s_delay_alu instid0(VALU_DEP_2) | instskip(NEXT) | instid1(VALU_DEP_2)
	v_add_nc_u32_e32 v21, 14, v30
	v_add_nc_u32_e32 v14, v11, v10
                                        ; implicit-def: $vgpr10_vgpr11
	s_delay_alu instid0(VALU_DEP_2)
	v_cmpx_ne_u32_e32 0, v21
	s_xor_b32 s10, exec_lo, s10
; %bb.11577:                            ;   in Loop: Header=BB4_9783 Depth=2
	s_delay_alu instid0(VALU_DEP_2) | instskip(SKIP_1) | instid1(VALU_DEP_1)
	v_cmp_lt_u64_e32 vcc_lo, 0xffffff, v[14:15]
	v_add_nc_u32_e32 v10, 15, v30
	v_cndmask_b32_e32 v20, v21, v10, vcc_lo
	v_cndmask_b32_e64 v10, 0, 1, vcc_lo
	s_delay_alu instid0(VALU_DEP_1)
	v_lshrrev_b64 v[10:11], v10, v[14:15]
; %bb.11578:                            ;   in Loop: Header=BB4_9783 Depth=2
	s_and_not1_saveexec_b32 s10, s10
; %bb.11579:                            ;   in Loop: Header=BB4_9783 Depth=2
	v_mov_b64_e32 v[10:11], v[14:15]
	v_bfe_u32 v20, v14, 23, 1
; %bb.11580:                            ;   in Loop: Header=BB4_9783 Depth=2
	s_or_b32 exec_lo, exec_lo, s10
	s_delay_alu instid0(VALU_DEP_2) | instskip(NEXT) | instid1(VALU_DEP_2)
	v_lshrrev_b64 v[10:11], 21, v[10:11]
	v_cmp_gt_i32_e32 vcc_lo, 32, v20
	v_min_i32_e32 v14, 31, v20
	v_cmp_eq_u32_e64 s10, 0, v20
	s_delay_alu instid0(VALU_DEP_2) | instskip(SKIP_1) | instid1(VALU_DEP_2)
	v_dual_cndmask_b32 v11, 0, v11 :: v_dual_lshlrev_b32 v14, 2, v14
	v_cndmask_b32_e32 v10, 3, v10, vcc_lo
	v_and_b32_e32 v14, 0xfc, v14
	s_delay_alu instid0(VALU_DEP_2) | instskip(NEXT) | instid1(VALU_DEP_2)
	v_cmp_eq_u64_e32 vcc_lo, 0, v[10:11]
	v_and_or_b32 v10, v10, 3, v14
	s_and_b32 s10, s10, vcc_lo
	s_delay_alu instid0(VALU_DEP_1) | instid1(SALU_CYCLE_1)
	v_cndmask_b32_e64 v10, v10, 0, s10
	s_delay_alu instid0(VALU_DEP_1)
	v_or_b32_e32 v125, v10, v2
.LBB4_11581:                            ;   in Loop: Header=BB4_9783 Depth=2
	s_or_b32 exec_lo, exec_lo, s40
                                        ; implicit-def: $vgpr2
.LBB4_11582:                            ;   in Loop: Header=BB4_9783 Depth=2
	s_and_not1_saveexec_b32 s10, s29
; %bb.11583:                            ;   in Loop: Header=BB4_9783 Depth=2
	v_or_b32_e32 v125, 0x7b, v2
; %bb.11584:                            ;   in Loop: Header=BB4_9783 Depth=2
	s_or_b32 exec_lo, exec_lo, s10
                                        ; implicit-def: $vgpr10
                                        ; implicit-def: $vgpr2
.LBB4_11585:                            ;   in Loop: Header=BB4_9783 Depth=2
	s_and_not1_saveexec_b32 s10, s28
	s_cbranch_execz .LBB4_11591
; %bb.11586:                            ;   in Loop: Header=BB4_9783 Depth=2
	s_mov_b32 s28, exec_lo
                                        ; implicit-def: $vgpr125
	v_cmpx_ne_u64_e32 0, v[14:15]
	s_xor_b32 s28, exec_lo, s28
; %bb.11587:                            ;   in Loop: Header=BB4_9783 Depth=2
	v_or_b32_e32 v125, 0x7f, v2
                                        ; implicit-def: $vgpr10
; %bb.11588:                            ;   in Loop: Header=BB4_9783 Depth=2
	s_and_not1_saveexec_b32 s28, s28
; %bb.11589:                            ;   in Loop: Header=BB4_9783 Depth=2
	v_cmp_lt_i32_e32 vcc_lo, -1, v10
	v_cndmask_b32_e32 v125, 0xfc, v101, vcc_lo
; %bb.11590:                            ;   in Loop: Header=BB4_9783 Depth=2
	s_or_b32 exec_lo, exec_lo, s28
.LBB4_11591:                            ;   in Loop: Header=BB4_9783 Depth=2
	s_delay_alu instid0(SALU_CYCLE_1) | instskip(SKIP_3) | instid1(VALU_DEP_2)
	s_or_b32 exec_lo, exec_lo, s10
	v_and_b32_e32 v2, 0xff, v13
	v_dual_mov_b32 v14, v13 :: v_dual_mov_b32 v10, 0
	s_mov_b32 s10, exec_lo
	v_cmpx_ne_u16_e32 0, v2
	s_cbranch_execz .LBB4_11601
; %bb.11592:                            ;   in Loop: Header=BB4_9783 Depth=2
	v_bfrev_b32_e32 v10, 1
	s_mov_b32 s28, exec_lo
	v_cmpx_ne_u16_e32 0x80, v2
	s_cbranch_execz .LBB4_11600
; %bb.11593:                            ;   in Loop: Header=BB4_9783 Depth=2
	v_and_b32_e32 v10, 0x7c, v13
	v_and_b32_e32 v2, 3, v13
	s_delay_alu instid0(VALU_DEP_2) | instskip(SKIP_1) | instid1(SALU_CYCLE_1)
	v_cmp_ne_u32_e32 vcc_lo, 0x7c, v10
                                        ; implicit-def: $vgpr10
	s_and_saveexec_b32 s29, vcc_lo
	s_xor_b32 s29, exec_lo, s29
	s_cbranch_execz .LBB4_11597
; %bb.11594:                            ;   in Loop: Header=BB4_9783 Depth=2
	v_bfe_u32 v10, v13, 2, 5
	s_mov_b32 s40, exec_lo
	s_delay_alu instid0(VALU_DEP_1)
	v_cmpx_eq_u32_e32 0, v10
; %bb.11595:                            ;   in Loop: Header=BB4_9783 Depth=2
	v_clz_i32_u32_e32 v2, v2
	s_delay_alu instid0(VALU_DEP_1) | instskip(NEXT) | instid1(VALU_DEP_1)
	v_min_u32_e32 v2, 32, v2
	v_subrev_nc_u32_e32 v10, 29, v2
	s_delay_alu instid0(VALU_DEP_1) | instskip(NEXT) | instid1(VALU_DEP_1)
	v_lshlrev_b64_e32 v[20:21], v10, v[14:15]
	v_dual_sub_nc_u32 v10, 30, v2 :: v_dual_bitop2_b32 v2, 3, v20 bitop3:0x40
; %bb.11596:                            ;   in Loop: Header=BB4_9783 Depth=2
	s_or_b32 exec_lo, exec_lo, s40
	v_lshlrev_b32_e32 v11, 24, v13
	s_delay_alu instid0(VALU_DEP_1) | instskip(NEXT) | instid1(VALU_DEP_1)
	v_and_b32_e32 v11, 0x80000000, v11
	v_lshl_add_u32 v10, v10, 23, v11
	s_delay_alu instid0(VALU_DEP_1) | instskip(NEXT) | instid1(VALU_DEP_1)
	v_lshl_or_b32 v2, v2, 21, v10
	v_add_nc_u32_e32 v10, 0x38000000, v2
                                        ; implicit-def: $vgpr2
.LBB4_11597:                            ;   in Loop: Header=BB4_9783 Depth=2
	s_and_not1_saveexec_b32 s29, s29
; %bb.11598:                            ;   in Loop: Header=BB4_9783 Depth=2
	v_bfe_i32 v10, v13, 0, 8
	s_delay_alu instid0(VALU_DEP_1) | instskip(SKIP_2) | instid1(VALU_DEP_2)
	v_cmp_lt_i16_e32 vcc_lo, -1, v10
	v_cndmask_b32_e32 v10, 0xff800000, v100, vcc_lo
	v_cmp_eq_u32_e32 vcc_lo, 0, v2
	v_cndmask_b32_e32 v10, 0x7f800001, v10, vcc_lo
; %bb.11599:                            ;   in Loop: Header=BB4_9783 Depth=2
	s_or_b32 exec_lo, exec_lo, s29
.LBB4_11600:                            ;   in Loop: Header=BB4_9783 Depth=2
	s_delay_alu instid0(SALU_CYCLE_1)
	s_or_b32 exec_lo, exec_lo, s28
.LBB4_11601:                            ;   in Loop: Header=BB4_9783 Depth=2
	s_delay_alu instid0(SALU_CYCLE_1) | instskip(NEXT) | instid1(VALU_DEP_1)
	s_or_b32 exec_lo, exec_lo, s10
	v_dual_mul_f32 v30, s27, v10 :: v_dual_mov_b32 v21, v15
	v_mov_b32_e32 v11, v15
                                        ; implicit-def: $vgpr126
	s_mov_b32 s10, exec_lo
	s_delay_alu instid0(VALU_DEP_2) | instskip(SKIP_2) | instid1(VALU_DEP_3)
	v_and_b32_e32 v20, 0x7f800000, v30
	v_and_b32_e32 v10, 0x7fffff, v30
	v_lshrrev_b32_e32 v2, 24, v30
	v_cmpx_ne_u64_e32 0x7f800000, v[20:21]
	s_xor_b32 s28, exec_lo, s10
	s_cbranch_execz .LBB4_11615
; %bb.11602:                            ;   in Loop: Header=BB4_9783 Depth=2
	v_and_b32_e32 v20, 0x7fffffff, v30
	v_mov_b32_e32 v21, v15
	v_and_b32_e32 v2, 0x80, v2
                                        ; implicit-def: $vgpr126
	s_mov_b32 s10, exec_lo
	s_delay_alu instid0(VALU_DEP_2)
	v_cmpx_gt_u64_e32 0x47600001, v[20:21]
	s_xor_b32 s29, exec_lo, s10
	s_cbranch_execz .LBB4_11612
; %bb.11603:                            ;   in Loop: Header=BB4_9783 Depth=2
	v_mov_b32_e32 v126, 0
	s_mov_b32 s40, exec_lo
	v_cmpx_ne_u32_e32 0, v30
	s_cbranch_execz .LBB4_11611
; %bb.11604:                            ;   in Loop: Header=BB4_9783 Depth=2
	v_bfe_u32 v30, v30, 23, 8
	v_or_b32_e32 v21, 0x800000, v10
	s_delay_alu instid0(VALU_DEP_2) | instskip(SKIP_2) | instid1(VALU_DEP_2)
	v_cmp_gt_u32_e64 s10, 0x72, v30
	v_sub_nc_u32_e32 v20, 0x71, v30
	v_cmp_eq_u32_e32 vcc_lo, 0, v30
	v_dual_cndmask_b32 v20, 0, v20, s10 :: v_dual_cndmask_b32 v10, v21, v10, vcc_lo
	s_delay_alu instid0(VALU_DEP_1) | instskip(NEXT) | instid1(VALU_DEP_1)
	v_cndmask_b32_e64 v20, v20, 0x70, vcc_lo
	v_add_nc_u32_e32 v21, 21, v20
	s_delay_alu instid0(VALU_DEP_1) | instskip(SKIP_1) | instid1(VALU_DEP_1)
	v_lshlrev_b64_e64 v[84:85], v21, -1
	v_add_nc_u32_e32 v21, 20, v20
	v_lshlrev_b64_e64 v[98:99], v21, 1
	s_delay_alu instid0(VALU_DEP_3) | instskip(SKIP_2) | instid1(VALU_DEP_1)
	v_bfi_b32 v84, v84, 0, v10
	v_lshrrev_b64 v[10:11], v20, v[10:11]
	v_bfi_b32 v85, v85, 0, 0
	v_cmp_eq_u64_e64 s10, v[84:85], v[98:99]
	s_delay_alu instid0(VALU_DEP_3)
	v_mov_b64_e32 v[84:85], v[10:11]
	s_and_saveexec_b32 s41, s10
; %bb.11605:                            ;   in Loop: Header=BB4_9783 Depth=2
	v_bfe_u32 v84, v10, 21, 1
	v_mov_b32_e32 v85, v15
	s_delay_alu instid0(VALU_DEP_1) | instskip(NEXT) | instid1(VALU_DEP_1)
	v_add_nc_u64_e32 v[84:85], v[10:11], v[84:85]
	v_add_nc_u64_e32 v[84:85], -1, v[84:85]
; %bb.11606:                            ;   in Loop: Header=BB4_9783 Depth=2
	s_or_b32 exec_lo, exec_lo, s41
	v_add_nc_u32_e32 v11, 0xffffff81, v30
	v_lshrrev_b32_e32 v21, 23, v10
	s_mov_b32 s10, exec_lo
	s_delay_alu instid0(VALU_DEP_2) | instskip(NEXT) | instid1(VALU_DEP_1)
	v_cndmask_b32_e64 v11, v11, 0xffffff82, vcc_lo
	v_add3_u32 v30, v20, v11, v21
	v_and_b32_e32 v11, 0x1fffff, v84
                                        ; implicit-def: $vgpr20
	s_delay_alu instid0(VALU_DEP_2) | instskip(NEXT) | instid1(VALU_DEP_2)
	v_add_nc_u32_e32 v21, 14, v30
	v_add_nc_u32_e32 v10, v11, v10
	v_mov_b32_e32 v11, v15
	s_delay_alu instid0(VALU_DEP_3)
	v_cmpx_ne_u32_e32 0, v21
	s_xor_b32 s10, exec_lo, s10
; %bb.11607:                            ;   in Loop: Header=BB4_9783 Depth=2
	s_delay_alu instid0(VALU_DEP_2) | instskip(SKIP_1) | instid1(VALU_DEP_1)
	v_cmp_lt_u64_e32 vcc_lo, 0xffffff, v[10:11]
	v_add_nc_u32_e32 v20, 15, v30
	v_cndmask_b32_e32 v20, v21, v20, vcc_lo
	v_cndmask_b32_e64 v21, 0, 1, vcc_lo
	s_delay_alu instid0(VALU_DEP_1)
	v_lshrrev_b64 v[10:11], v21, v[10:11]
; %bb.11608:                            ;   in Loop: Header=BB4_9783 Depth=2
	s_and_not1_saveexec_b32 s10, s10
; %bb.11609:                            ;   in Loop: Header=BB4_9783 Depth=2
	s_delay_alu instid0(VALU_DEP_1)
	v_bfe_u32 v20, v10, 23, 1
; %bb.11610:                            ;   in Loop: Header=BB4_9783 Depth=2
	s_or_b32 exec_lo, exec_lo, s10
	s_delay_alu instid0(VALU_DEP_2) | instskip(NEXT) | instid1(VALU_DEP_2)
	v_lshrrev_b64 v[10:11], 21, v[10:11]
	v_cmp_gt_i32_e32 vcc_lo, 32, v20
	v_min_i32_e32 v21, 31, v20
	v_cmp_eq_u32_e64 s10, 0, v20
	s_delay_alu instid0(VALU_DEP_2) | instskip(SKIP_1) | instid1(VALU_DEP_2)
	v_dual_cndmask_b32 v11, 0, v11, vcc_lo :: v_dual_lshlrev_b32 v21, 2, v21
	v_cndmask_b32_e32 v10, 3, v10, vcc_lo
	v_and_b32_e32 v21, 0xfc, v21
	s_delay_alu instid0(VALU_DEP_2) | instskip(NEXT) | instid1(VALU_DEP_2)
	v_cmp_eq_u64_e32 vcc_lo, 0, v[10:11]
	v_and_or_b32 v10, v10, 3, v21
	s_and_b32 s10, s10, vcc_lo
	s_delay_alu instid0(VALU_DEP_1) | instid1(SALU_CYCLE_1)
	v_cndmask_b32_e64 v10, v10, 0, s10
	s_delay_alu instid0(VALU_DEP_1)
	v_or_b32_e32 v126, v10, v2
.LBB4_11611:                            ;   in Loop: Header=BB4_9783 Depth=2
	s_or_b32 exec_lo, exec_lo, s40
                                        ; implicit-def: $vgpr2
.LBB4_11612:                            ;   in Loop: Header=BB4_9783 Depth=2
	s_and_not1_saveexec_b32 s10, s29
; %bb.11613:                            ;   in Loop: Header=BB4_9783 Depth=2
	v_or_b32_e32 v126, 0x7b, v2
; %bb.11614:                            ;   in Loop: Header=BB4_9783 Depth=2
	s_or_b32 exec_lo, exec_lo, s10
                                        ; implicit-def: $vgpr30
                                        ; implicit-def: $vgpr10_vgpr11
                                        ; implicit-def: $vgpr2
.LBB4_11615:                            ;   in Loop: Header=BB4_9783 Depth=2
	s_and_not1_saveexec_b32 s10, s28
	s_cbranch_execz .LBB4_11621
; %bb.11616:                            ;   in Loop: Header=BB4_9783 Depth=2
	s_mov_b32 s28, exec_lo
                                        ; implicit-def: $vgpr126
	v_cmpx_ne_u64_e32 0, v[10:11]
	s_xor_b32 s28, exec_lo, s28
; %bb.11617:                            ;   in Loop: Header=BB4_9783 Depth=2
	v_or_b32_e32 v126, 0x7f, v2
                                        ; implicit-def: $vgpr30
; %bb.11618:                            ;   in Loop: Header=BB4_9783 Depth=2
	s_and_not1_saveexec_b32 s28, s28
; %bb.11619:                            ;   in Loop: Header=BB4_9783 Depth=2
	v_cmp_lt_i32_e32 vcc_lo, -1, v30
	v_cndmask_b32_e32 v126, 0xfc, v101, vcc_lo
; %bb.11620:                            ;   in Loop: Header=BB4_9783 Depth=2
	s_or_b32 exec_lo, exec_lo, s28
.LBB4_11621:                            ;   in Loop: Header=BB4_9783 Depth=2
	s_delay_alu instid0(SALU_CYCLE_1) | instskip(SKIP_3) | instid1(VALU_DEP_2)
	s_or_b32 exec_lo, exec_lo, s10
	v_lshrrev_b16 v10, 8, v14
	v_mov_b32_e32 v11, 0
	s_mov_b32 s10, exec_lo
	v_cmpx_ne_u16_e32 0, v10
	s_cbranch_execz .LBB4_11631
; %bb.11622:                            ;   in Loop: Header=BB4_9783 Depth=2
	v_bfrev_b32_e32 v11, 1
	s_mov_b32 s28, exec_lo
	v_cmpx_ne_u16_e32 0x80, v10
	s_cbranch_execz .LBB4_11630
; %bb.11623:                            ;   in Loop: Header=BB4_9783 Depth=2
	v_and_b32_e32 v20, 0xffff, v10
	s_delay_alu instid0(VALU_DEP_1) | instskip(SKIP_1) | instid1(VALU_DEP_2)
	v_and_b32_e32 v11, 0x7c, v20
	v_and_b32_e32 v2, 3, v20
	v_cmp_ne_u32_e32 vcc_lo, 0x7c, v11
                                        ; implicit-def: $vgpr11
	s_and_saveexec_b32 s29, vcc_lo
	s_delay_alu instid0(SALU_CYCLE_1)
	s_xor_b32 s29, exec_lo, s29
	s_cbranch_execz .LBB4_11627
; %bb.11624:                            ;   in Loop: Header=BB4_9783 Depth=2
	v_bfe_u32 v11, v20, 2, 5
	s_mov_b32 s40, exec_lo
	s_delay_alu instid0(VALU_DEP_1)
	v_cmpx_eq_u32_e32 0, v11
	s_cbranch_execz .LBB4_11626
; %bb.11625:                            ;   in Loop: Header=BB4_9783 Depth=2
	v_clz_i32_u32_e32 v2, v2
	v_mov_b32_e32 v11, v15
	s_delay_alu instid0(VALU_DEP_2) | instskip(NEXT) | instid1(VALU_DEP_1)
	v_min_u32_e32 v2, 32, v2
	v_subrev_nc_u32_e32 v20, 29, v2
	s_delay_alu instid0(VALU_DEP_1) | instskip(SKIP_1) | instid1(VALU_DEP_2)
	v_lshlrev_b64_e32 v[10:11], v20, v[10:11]
	v_sub_nc_u32_e32 v11, 30, v2
	v_and_b32_e32 v2, 3, v10
.LBB4_11626:                            ;   in Loop: Header=BB4_9783 Depth=2
	s_or_b32 exec_lo, exec_lo, s40
	v_lshlrev_b32_e32 v10, 16, v14
	s_delay_alu instid0(VALU_DEP_1) | instskip(NEXT) | instid1(VALU_DEP_1)
	v_and_b32_e32 v10, 0x80000000, v10
	v_lshl_add_u32 v10, v11, 23, v10
	s_delay_alu instid0(VALU_DEP_1) | instskip(NEXT) | instid1(VALU_DEP_1)
	v_lshl_or_b32 v2, v2, 21, v10
	v_add_nc_u32_e32 v11, 0x38000000, v2
                                        ; implicit-def: $vgpr2
.LBB4_11627:                            ;   in Loop: Header=BB4_9783 Depth=2
	s_and_not1_saveexec_b32 s29, s29
; %bb.11628:                            ;   in Loop: Header=BB4_9783 Depth=2
	v_cmp_lt_i16_e32 vcc_lo, -1, v14
	v_cndmask_b32_e32 v10, 0xff800000, v100, vcc_lo
	v_cmp_eq_u32_e32 vcc_lo, 0, v2
	s_delay_alu instid0(VALU_DEP_2)
	v_cndmask_b32_e32 v11, 0x7f800001, v10, vcc_lo
; %bb.11629:                            ;   in Loop: Header=BB4_9783 Depth=2
	s_or_b32 exec_lo, exec_lo, s29
.LBB4_11630:                            ;   in Loop: Header=BB4_9783 Depth=2
	s_delay_alu instid0(SALU_CYCLE_1)
	s_or_b32 exec_lo, exec_lo, s28
.LBB4_11631:                            ;   in Loop: Header=BB4_9783 Depth=2
	s_delay_alu instid0(SALU_CYCLE_1) | instskip(NEXT) | instid1(VALU_DEP_1)
	s_or_b32 exec_lo, exec_lo, s10
	v_dual_mul_f32 v10, s27, v11 :: v_dual_mov_b32 v21, v15
                                        ; implicit-def: $vgpr2
	s_mov_b32 s10, exec_lo
	s_delay_alu instid0(VALU_DEP_1) | instskip(SKIP_2) | instid1(VALU_DEP_3)
	v_and_b32_e32 v20, 0x7f800000, v10
	v_and_b32_e32 v14, 0x7fffff, v10
	v_lshrrev_b32_e32 v11, 24, v10
	v_cmpx_ne_u64_e32 0x7f800000, v[20:21]
	s_xor_b32 s28, exec_lo, s10
	s_cbranch_execz .LBB4_11645
; %bb.11632:                            ;   in Loop: Header=BB4_9783 Depth=2
	v_and_b32_e32 v20, 0x7fffffff, v10
	v_mov_b32_e32 v21, v15
	v_and_b32_e32 v98, 0x80, v11
                                        ; implicit-def: $vgpr2
	s_mov_b32 s10, exec_lo
	s_delay_alu instid0(VALU_DEP_2)
	v_cmpx_gt_u64_e32 0x47600001, v[20:21]
	s_xor_b32 s29, exec_lo, s10
	s_cbranch_execz .LBB4_11642
; %bb.11633:                            ;   in Loop: Header=BB4_9783 Depth=2
	v_mov_b32_e32 v2, 0
	s_mov_b32 s40, exec_lo
	v_cmpx_ne_u32_e32 0, v10
	s_cbranch_execz .LBB4_11641
; %bb.11634:                            ;   in Loop: Header=BB4_9783 Depth=2
	v_bfe_u32 v2, v10, 23, 8
	v_or_b32_e32 v11, 0x800000, v14
	s_delay_alu instid0(VALU_DEP_2) | instskip(SKIP_2) | instid1(VALU_DEP_2)
	v_cmp_gt_u32_e64 s10, 0x72, v2
	v_sub_nc_u32_e32 v10, 0x71, v2
	v_cmp_eq_u32_e32 vcc_lo, 0, v2
	v_cndmask_b32_e64 v10, 0, v10, s10
	s_delay_alu instid0(VALU_DEP_1) | instskip(SKIP_1) | instid1(VALU_DEP_2)
	v_cndmask_b32_e64 v30, v10, 0x70, vcc_lo
	v_cndmask_b32_e32 v10, v11, v14, vcc_lo
	v_dual_mov_b32 v11, v15 :: v_dual_add_nc_u32 v14, 21, v30
	s_delay_alu instid0(VALU_DEP_1) | instskip(SKIP_1) | instid1(VALU_DEP_1)
	v_lshlrev_b64_e64 v[20:21], v14, -1
	v_add_nc_u32_e32 v14, 20, v30
	v_lshlrev_b64_e64 v[84:85], v14, 1
	s_delay_alu instid0(VALU_DEP_3) | instskip(SKIP_2) | instid1(VALU_DEP_1)
	v_bfi_b32 v20, v20, 0, v10
	v_lshrrev_b64 v[10:11], v30, v[10:11]
	v_bfi_b32 v21, v21, 0, 0
	v_cmp_eq_u64_e64 s10, v[20:21], v[84:85]
	s_delay_alu instid0(VALU_DEP_3)
	v_mov_b64_e32 v[84:85], v[10:11]
	s_and_saveexec_b32 s41, s10
; %bb.11635:                            ;   in Loop: Header=BB4_9783 Depth=2
	v_bfe_u32 v20, v10, 21, 1
	v_mov_b32_e32 v21, v15
	s_delay_alu instid0(VALU_DEP_1) | instskip(NEXT) | instid1(VALU_DEP_1)
	v_add_nc_u64_e32 v[20:21], v[10:11], v[20:21]
	v_add_nc_u64_e32 v[84:85], -1, v[20:21]
; %bb.11636:                            ;   in Loop: Header=BB4_9783 Depth=2
	s_or_b32 exec_lo, exec_lo, s41
	v_add_nc_u32_e32 v2, 0xffffff81, v2
	v_lshrrev_b32_e32 v11, 23, v10
	s_mov_b32 s10, exec_lo
	s_delay_alu instid0(VALU_DEP_2) | instskip(NEXT) | instid1(VALU_DEP_1)
	v_cndmask_b32_e64 v2, v2, 0xffffff82, vcc_lo
	v_add3_u32 v21, v30, v2, v11
	v_and_b32_e32 v2, 0x1fffff, v84
	s_delay_alu instid0(VALU_DEP_1) | instskip(NEXT) | instid1(VALU_DEP_1)
	v_dual_add_nc_u32 v20, 14, v21 :: v_dual_add_nc_u32 v14, v2, v10
                                        ; implicit-def: $vgpr10_vgpr11
                                        ; implicit-def: $vgpr2
	v_cmpx_ne_u32_e32 0, v20
	s_xor_b32 s10, exec_lo, s10
; %bb.11637:                            ;   in Loop: Header=BB4_9783 Depth=2
	s_delay_alu instid0(VALU_DEP_2) | instskip(SKIP_2) | instid1(VALU_DEP_2)
	v_cmp_lt_u64_e32 vcc_lo, 0xffffff, v[14:15]
	v_add_nc_u32_e32 v2, 15, v21
	v_cndmask_b32_e64 v10, 0, 1, vcc_lo
	v_cndmask_b32_e32 v2, v20, v2, vcc_lo
	s_delay_alu instid0(VALU_DEP_2)
	v_lshrrev_b64 v[10:11], v10, v[14:15]
; %bb.11638:                            ;   in Loop: Header=BB4_9783 Depth=2
	s_and_not1_saveexec_b32 s10, s10
; %bb.11639:                            ;   in Loop: Header=BB4_9783 Depth=2
	v_mov_b64_e32 v[10:11], v[14:15]
	v_bfe_u32 v2, v14, 23, 1
; %bb.11640:                            ;   in Loop: Header=BB4_9783 Depth=2
	s_or_b32 exec_lo, exec_lo, s10
	s_delay_alu instid0(VALU_DEP_2) | instskip(NEXT) | instid1(VALU_DEP_2)
	v_lshrrev_b64 v[10:11], 21, v[10:11]
	v_cmp_gt_i32_e32 vcc_lo, 32, v2
	v_min_i32_e32 v14, 31, v2
	v_cmp_eq_u32_e64 s10, 0, v2
	s_delay_alu instid0(VALU_DEP_2) | instskip(SKIP_1) | instid1(VALU_DEP_2)
	v_dual_cndmask_b32 v11, 0, v11 :: v_dual_lshlrev_b32 v14, 2, v14
	v_cndmask_b32_e32 v10, 3, v10, vcc_lo
	v_and_b32_e32 v14, 0xfc, v14
	s_delay_alu instid0(VALU_DEP_2) | instskip(NEXT) | instid1(VALU_DEP_2)
	v_cmp_eq_u64_e32 vcc_lo, 0, v[10:11]
	v_and_or_b32 v2, v10, 3, v14
	s_and_b32 s10, s10, vcc_lo
	s_delay_alu instid0(VALU_DEP_1) | instid1(SALU_CYCLE_1)
	v_cndmask_b32_e64 v2, v2, 0, s10
	s_delay_alu instid0(VALU_DEP_1)
	v_or_b32_e32 v2, v2, v98
.LBB4_11641:                            ;   in Loop: Header=BB4_9783 Depth=2
	s_or_b32 exec_lo, exec_lo, s40
                                        ; implicit-def: $vgpr98
.LBB4_11642:                            ;   in Loop: Header=BB4_9783 Depth=2
	s_and_not1_saveexec_b32 s10, s29
; %bb.11643:                            ;   in Loop: Header=BB4_9783 Depth=2
	v_or_b32_e32 v2, 0x7b, v98
; %bb.11644:                            ;   in Loop: Header=BB4_9783 Depth=2
	s_or_b32 exec_lo, exec_lo, s10
                                        ; implicit-def: $vgpr10
                                        ; implicit-def: $vgpr11
.LBB4_11645:                            ;   in Loop: Header=BB4_9783 Depth=2
	s_and_not1_saveexec_b32 s10, s28
	s_cbranch_execz .LBB4_11651
; %bb.11646:                            ;   in Loop: Header=BB4_9783 Depth=2
	s_mov_b32 s28, exec_lo
                                        ; implicit-def: $vgpr2
	v_cmpx_ne_u64_e32 0, v[14:15]
	s_xor_b32 s28, exec_lo, s28
; %bb.11647:                            ;   in Loop: Header=BB4_9783 Depth=2
	v_or_b32_e32 v2, 0x7f, v11
                                        ; implicit-def: $vgpr10
; %bb.11648:                            ;   in Loop: Header=BB4_9783 Depth=2
	s_and_not1_saveexec_b32 s28, s28
; %bb.11649:                            ;   in Loop: Header=BB4_9783 Depth=2
	v_cmp_lt_i32_e32 vcc_lo, -1, v10
	v_cndmask_b32_e32 v2, 0xfc, v101, vcc_lo
; %bb.11650:                            ;   in Loop: Header=BB4_9783 Depth=2
	s_or_b32 exec_lo, exec_lo, s28
.LBB4_11651:                            ;   in Loop: Header=BB4_9783 Depth=2
	s_delay_alu instid0(SALU_CYCLE_1) | instskip(SKIP_2) | instid1(VALU_DEP_1)
	s_or_b32 exec_lo, exec_lo, s10
	v_dual_mov_b32 v11, 0 :: v_dual_lshrrev_b32 v10, 16, v13
	s_mov_b32 s28, exec_lo
	v_and_b32_e32 v14, 0xff, v10
	s_delay_alu instid0(VALU_DEP_1)
	v_cmpx_ne_u16_e32 0, v14
	s_cbranch_execz .LBB4_11661
; %bb.11652:                            ;   in Loop: Header=BB4_9783 Depth=2
	v_bfrev_b32_e32 v11, 1
	s_mov_b32 s29, exec_lo
	v_cmpx_ne_u16_e32 0x80, v14
	s_cbranch_execz .LBB4_11660
; %bb.11653:                            ;   in Loop: Header=BB4_9783 Depth=2
	v_and_b32_e32 v11, 0x7c0000, v13
	v_bfe_u32 v14, v13, 16, 2
	s_delay_alu instid0(VALU_DEP_2) | instskip(SKIP_1) | instid1(SALU_CYCLE_1)
	v_cmp_ne_u32_e32 vcc_lo, 0x7c0000, v11
                                        ; implicit-def: $vgpr11
	s_and_saveexec_b32 s10, vcc_lo
	s_xor_b32 s10, exec_lo, s10
	s_cbranch_execz .LBB4_11657
; %bb.11654:                            ;   in Loop: Header=BB4_9783 Depth=2
	v_bfe_u32 v11, v13, 18, 5
	s_mov_b32 s40, exec_lo
	s_delay_alu instid0(VALU_DEP_1)
	v_cmpx_eq_u32_e32 0, v11
; %bb.11655:                            ;   in Loop: Header=BB4_9783 Depth=2
	v_clz_i32_u32_e32 v11, v14
	s_delay_alu instid0(VALU_DEP_1) | instskip(NEXT) | instid1(VALU_DEP_1)
	v_min_u32_e32 v11, 32, v11
	v_subrev_nc_u32_e32 v14, 29, v11
	s_delay_alu instid0(VALU_DEP_1) | instskip(NEXT) | instid1(VALU_DEP_1)
	v_lshlrev_b64_e32 v[20:21], v14, v[10:11]
	v_dual_sub_nc_u32 v11, 30, v11 :: v_dual_bitop2_b32 v14, 3, v20 bitop3:0x40
; %bb.11656:                            ;   in Loop: Header=BB4_9783 Depth=2
	s_or_b32 exec_lo, exec_lo, s40
	v_lshlrev_b32_e32 v10, 24, v10
	s_delay_alu instid0(VALU_DEP_1) | instskip(NEXT) | instid1(VALU_DEP_1)
	v_and_b32_e32 v10, 0x80000000, v10
	v_lshl_add_u32 v10, v11, 23, v10
	s_delay_alu instid0(VALU_DEP_1) | instskip(NEXT) | instid1(VALU_DEP_1)
	v_lshl_or_b32 v10, v14, 21, v10
                                        ; implicit-def: $vgpr14
	v_add_nc_u32_e32 v11, 0x38000000, v10
                                        ; implicit-def: $vgpr10
.LBB4_11657:                            ;   in Loop: Header=BB4_9783 Depth=2
	s_and_not1_saveexec_b32 s40, s10
; %bb.11658:                            ;   in Loop: Header=BB4_9783 Depth=2
	v_bfe_i32 v10, v10, 0, 8
	v_cmp_eq_u32_e32 vcc_lo, 0, v14
	s_delay_alu instid0(VALU_DEP_2) | instskip(NEXT) | instid1(VALU_DEP_1)
	v_cmp_lt_i16_e64 s10, -1, v10
	v_cndmask_b32_e64 v10, 0xff800000, v100, s10
	s_delay_alu instid0(VALU_DEP_1)
	v_cndmask_b32_e32 v11, 0x7f800001, v10, vcc_lo
; %bb.11659:                            ;   in Loop: Header=BB4_9783 Depth=2
	s_or_b32 exec_lo, exec_lo, s40
.LBB4_11660:                            ;   in Loop: Header=BB4_9783 Depth=2
	s_delay_alu instid0(SALU_CYCLE_1)
	s_or_b32 exec_lo, exec_lo, s29
.LBB4_11661:                            ;   in Loop: Header=BB4_9783 Depth=2
	s_delay_alu instid0(SALU_CYCLE_1) | instskip(NEXT) | instid1(VALU_DEP_1)
	s_or_b32 exec_lo, exec_lo, s28
	v_dual_mul_f32 v10, s27, v11 :: v_dual_mov_b32 v21, v15
                                        ; implicit-def: $vgpr84
	s_mov_b32 s10, exec_lo
	s_delay_alu instid0(VALU_DEP_1) | instskip(SKIP_2) | instid1(VALU_DEP_3)
	v_and_b32_e32 v20, 0x7f800000, v10
	v_and_b32_e32 v14, 0x7fffff, v10
	v_lshrrev_b32_e32 v11, 24, v10
	v_cmpx_ne_u64_e32 0x7f800000, v[20:21]
	s_xor_b32 s28, exec_lo, s10
	s_cbranch_execz .LBB4_11675
; %bb.11662:                            ;   in Loop: Header=BB4_9783 Depth=2
	v_and_b32_e32 v20, 0x7fffffff, v10
	v_mov_b32_e32 v21, v15
	v_and_b32_e32 v98, 0x80, v11
                                        ; implicit-def: $vgpr84
	s_mov_b32 s10, exec_lo
	s_delay_alu instid0(VALU_DEP_2)
	v_cmpx_gt_u64_e32 0x47600001, v[20:21]
	s_xor_b32 s29, exec_lo, s10
	s_cbranch_execz .LBB4_11672
; %bb.11663:                            ;   in Loop: Header=BB4_9783 Depth=2
	v_mov_b32_e32 v84, 0
	s_mov_b32 s40, exec_lo
	v_cmpx_ne_u32_e32 0, v10
	s_cbranch_execz .LBB4_11671
; %bb.11664:                            ;   in Loop: Header=BB4_9783 Depth=2
	v_bfe_u32 v30, v10, 23, 8
	v_or_b32_e32 v11, 0x800000, v14
	s_delay_alu instid0(VALU_DEP_2) | instskip(SKIP_2) | instid1(VALU_DEP_2)
	v_cmp_gt_u32_e64 s10, 0x72, v30
	v_sub_nc_u32_e32 v10, 0x71, v30
	v_cmp_eq_u32_e32 vcc_lo, 0, v30
	v_cndmask_b32_e64 v10, 0, v10, s10
	s_delay_alu instid0(VALU_DEP_1) | instskip(SKIP_1) | instid1(VALU_DEP_2)
	v_cndmask_b32_e64 v20, v10, 0x70, vcc_lo
	v_cndmask_b32_e32 v10, v11, v14, vcc_lo
	v_dual_mov_b32 v11, v15 :: v_dual_add_nc_u32 v14, 21, v20
	s_delay_alu instid0(VALU_DEP_1) | instskip(SKIP_1) | instid1(VALU_DEP_1)
	v_lshlrev_b64_e64 v[84:85], v14, -1
	v_add_nc_u32_e32 v14, 20, v20
	v_lshlrev_b64_e64 v[24:25], v14, 1
	s_delay_alu instid0(VALU_DEP_3) | instskip(SKIP_2) | instid1(VALU_DEP_1)
	v_bfi_b32 v84, v84, 0, v10
	v_lshrrev_b64 v[10:11], v20, v[10:11]
	v_bfi_b32 v85, v85, 0, 0
	v_cmp_eq_u64_e64 s10, v[84:85], v[24:25]
	s_delay_alu instid0(VALU_DEP_3)
	v_mov_b64_e32 v[84:85], v[10:11]
	s_and_saveexec_b32 s41, s10
; %bb.11665:                            ;   in Loop: Header=BB4_9783 Depth=2
	v_bfe_u32 v24, v10, 21, 1
	v_mov_b32_e32 v25, v15
	s_delay_alu instid0(VALU_DEP_1) | instskip(NEXT) | instid1(VALU_DEP_1)
	v_add_nc_u64_e32 v[24:25], v[10:11], v[24:25]
	v_add_nc_u64_e32 v[84:85], -1, v[24:25]
; %bb.11666:                            ;   in Loop: Header=BB4_9783 Depth=2
	s_or_b32 exec_lo, exec_lo, s41
	v_add_nc_u32_e32 v11, 0xffffff81, v30
	v_lshrrev_b32_e32 v14, 23, v10
	s_mov_b32 s10, exec_lo
	s_delay_alu instid0(VALU_DEP_2) | instskip(NEXT) | instid1(VALU_DEP_1)
	v_cndmask_b32_e64 v11, v11, 0xffffff82, vcc_lo
	v_add3_u32 v30, v20, v11, v14
	v_and_b32_e32 v11, 0x1fffff, v84
                                        ; implicit-def: $vgpr20
	s_delay_alu instid0(VALU_DEP_2) | instskip(NEXT) | instid1(VALU_DEP_2)
	v_add_nc_u32_e32 v21, 14, v30
	v_add_nc_u32_e32 v14, v11, v10
                                        ; implicit-def: $vgpr10_vgpr11
	s_delay_alu instid0(VALU_DEP_2)
	v_cmpx_ne_u32_e32 0, v21
	s_xor_b32 s10, exec_lo, s10
; %bb.11667:                            ;   in Loop: Header=BB4_9783 Depth=2
	s_delay_alu instid0(VALU_DEP_2) | instskip(SKIP_1) | instid1(VALU_DEP_1)
	v_cmp_lt_u64_e32 vcc_lo, 0xffffff, v[14:15]
	v_add_nc_u32_e32 v10, 15, v30
	v_cndmask_b32_e32 v20, v21, v10, vcc_lo
	v_cndmask_b32_e64 v10, 0, 1, vcc_lo
	s_delay_alu instid0(VALU_DEP_1)
	v_lshrrev_b64 v[10:11], v10, v[14:15]
; %bb.11668:                            ;   in Loop: Header=BB4_9783 Depth=2
	s_and_not1_saveexec_b32 s10, s10
; %bb.11669:                            ;   in Loop: Header=BB4_9783 Depth=2
	v_mov_b64_e32 v[10:11], v[14:15]
	v_bfe_u32 v20, v14, 23, 1
; %bb.11670:                            ;   in Loop: Header=BB4_9783 Depth=2
	s_or_b32 exec_lo, exec_lo, s10
	s_delay_alu instid0(VALU_DEP_2) | instskip(NEXT) | instid1(VALU_DEP_2)
	v_lshrrev_b64 v[10:11], 21, v[10:11]
	v_cmp_gt_i32_e32 vcc_lo, 32, v20
	v_min_i32_e32 v14, 31, v20
	v_cmp_eq_u32_e64 s10, 0, v20
	s_delay_alu instid0(VALU_DEP_2) | instskip(SKIP_1) | instid1(VALU_DEP_2)
	v_dual_cndmask_b32 v11, 0, v11 :: v_dual_lshlrev_b32 v14, 2, v14
	v_cndmask_b32_e32 v10, 3, v10, vcc_lo
	v_and_b32_e32 v14, 0xfc, v14
	s_delay_alu instid0(VALU_DEP_2) | instskip(NEXT) | instid1(VALU_DEP_2)
	v_cmp_eq_u64_e32 vcc_lo, 0, v[10:11]
	v_and_or_b32 v10, v10, 3, v14
	s_and_b32 s10, s10, vcc_lo
	s_delay_alu instid0(VALU_DEP_1) | instid1(SALU_CYCLE_1)
	v_cndmask_b32_e64 v10, v10, 0, s10
	s_delay_alu instid0(VALU_DEP_1)
	v_or_b32_e32 v84, v10, v98
.LBB4_11671:                            ;   in Loop: Header=BB4_9783 Depth=2
	s_or_b32 exec_lo, exec_lo, s40
                                        ; implicit-def: $vgpr98
.LBB4_11672:                            ;   in Loop: Header=BB4_9783 Depth=2
	s_and_not1_saveexec_b32 s10, s29
; %bb.11673:                            ;   in Loop: Header=BB4_9783 Depth=2
	v_or_b32_e32 v84, 0x7b, v98
; %bb.11674:                            ;   in Loop: Header=BB4_9783 Depth=2
	s_or_b32 exec_lo, exec_lo, s10
                                        ; implicit-def: $vgpr10
                                        ; implicit-def: $vgpr11
.LBB4_11675:                            ;   in Loop: Header=BB4_9783 Depth=2
	s_and_not1_saveexec_b32 s10, s28
	s_cbranch_execz .LBB4_11681
; %bb.11676:                            ;   in Loop: Header=BB4_9783 Depth=2
	s_mov_b32 s28, exec_lo
                                        ; implicit-def: $vgpr84
	v_cmpx_ne_u64_e32 0, v[14:15]
	s_xor_b32 s28, exec_lo, s28
; %bb.11677:                            ;   in Loop: Header=BB4_9783 Depth=2
	v_or_b32_e32 v84, 0x7f, v11
                                        ; implicit-def: $vgpr10
; %bb.11678:                            ;   in Loop: Header=BB4_9783 Depth=2
	s_and_not1_saveexec_b32 s28, s28
; %bb.11679:                            ;   in Loop: Header=BB4_9783 Depth=2
	v_cmp_lt_i32_e32 vcc_lo, -1, v10
	v_cndmask_b32_e32 v84, 0xfc, v101, vcc_lo
; %bb.11680:                            ;   in Loop: Header=BB4_9783 Depth=2
	s_or_b32 exec_lo, exec_lo, s28
.LBB4_11681:                            ;   in Loop: Header=BB4_9783 Depth=2
	s_delay_alu instid0(SALU_CYCLE_1)
	s_or_b32 exec_lo, exec_lo, s10
	v_mov_b32_e32 v11, 0
	s_mov_b32 s28, exec_lo
	v_cmpx_lt_u64_e64 s[12:13], v[12:13]
	s_cbranch_execz .LBB4_11691
; %bb.11682:                            ;   in Loop: Header=BB4_9783 Depth=2
	v_lshrrev_b32_e32 v10, 24, v13
	v_bfrev_b32_e32 v11, 1
	s_mov_b32 s29, exec_lo
	s_delay_alu instid0(VALU_DEP_2)
	v_cmpx_ne_u32_e32 0x80, v10
	s_cbranch_execz .LBB4_11690
; %bb.11683:                            ;   in Loop: Header=BB4_9783 Depth=2
	v_and_b32_e32 v11, 0x7c000000, v13
	v_bfe_u32 v14, v13, 24, 2
	s_delay_alu instid0(VALU_DEP_2) | instskip(SKIP_1) | instid1(SALU_CYCLE_1)
	v_cmp_ne_u32_e32 vcc_lo, 0x7c000000, v11
                                        ; implicit-def: $vgpr11
	s_and_saveexec_b32 s10, vcc_lo
	s_xor_b32 s10, exec_lo, s10
	s_cbranch_execz .LBB4_11687
; %bb.11684:                            ;   in Loop: Header=BB4_9783 Depth=2
	v_bfe_u32 v11, v13, 26, 5
	s_mov_b32 s40, exec_lo
	s_delay_alu instid0(VALU_DEP_1)
	v_cmpx_eq_u32_e32 0, v11
; %bb.11685:                            ;   in Loop: Header=BB4_9783 Depth=2
	v_clz_i32_u32_e32 v11, v14
	s_delay_alu instid0(VALU_DEP_1) | instskip(NEXT) | instid1(VALU_DEP_1)
	v_min_u32_e32 v12, 32, v11
	v_subrev_nc_u32_e32 v11, 29, v12
	s_delay_alu instid0(VALU_DEP_1) | instskip(NEXT) | instid1(VALU_DEP_1)
	v_lshlrev_b64_e32 v[10:11], v11, v[10:11]
	v_dual_sub_nc_u32 v11, 30, v12 :: v_dual_bitop2_b32 v14, 3, v10 bitop3:0x40
; %bb.11686:                            ;   in Loop: Header=BB4_9783 Depth=2
	s_or_b32 exec_lo, exec_lo, s40
	v_and_b32_e32 v10, 0x80000000, v13
                                        ; implicit-def: $vgpr12_vgpr13
	s_delay_alu instid0(VALU_DEP_1) | instskip(NEXT) | instid1(VALU_DEP_1)
	v_lshl_add_u32 v10, v11, 23, v10
	v_lshl_or_b32 v10, v14, 21, v10
                                        ; implicit-def: $vgpr14
	s_delay_alu instid0(VALU_DEP_1)
	v_add_nc_u32_e32 v11, 0x38000000, v10
.LBB4_11687:                            ;   in Loop: Header=BB4_9783 Depth=2
	s_and_not1_saveexec_b32 s40, s10
; %bb.11688:                            ;   in Loop: Header=BB4_9783 Depth=2
	v_cmp_lt_i64_e64 s10, -1, v[12:13]
	v_cmp_eq_u32_e32 vcc_lo, 0, v14
	s_delay_alu instid0(VALU_DEP_2) | instskip(NEXT) | instid1(VALU_DEP_1)
	v_cndmask_b32_e64 v10, 0xff800000, v100, s10
	v_cndmask_b32_e32 v11, 0x7f800001, v10, vcc_lo
; %bb.11689:                            ;   in Loop: Header=BB4_9783 Depth=2
	s_or_b32 exec_lo, exec_lo, s40
.LBB4_11690:                            ;   in Loop: Header=BB4_9783 Depth=2
	s_delay_alu instid0(SALU_CYCLE_1)
	s_or_b32 exec_lo, exec_lo, s29
.LBB4_11691:                            ;   in Loop: Header=BB4_9783 Depth=2
	s_delay_alu instid0(SALU_CYCLE_1) | instskip(NEXT) | instid1(VALU_DEP_1)
	s_or_b32 exec_lo, exec_lo, s28
	v_dual_mul_f32 v11, s27, v11 :: v_dual_mov_b32 v13, v15
                                        ; implicit-def: $vgpr10
	s_delay_alu instid0(VALU_DEP_1) | instskip(SKIP_1) | instid1(VALU_DEP_2)
	v_and_b32_e32 v12, 0x7f800000, v11
	v_and_b32_e32 v14, 0x7fffff, v11
	v_cmp_ne_u64_e32 vcc_lo, 0x7f800000, v[12:13]
	v_lshrrev_b32_e32 v12, 24, v11
	s_and_saveexec_b32 s10, vcc_lo
	s_delay_alu instid0(SALU_CYCLE_1)
	s_xor_b32 s27, exec_lo, s10
	s_cbranch_execz .LBB4_11705
; %bb.11692:                            ;   in Loop: Header=BB4_9783 Depth=2
	v_and_b32_e32 v20, 0x7fffffff, v11
	v_mov_b32_e32 v21, v15
	v_and_b32_e32 v85, 0x80, v12
                                        ; implicit-def: $vgpr10
	s_mov_b32 s10, exec_lo
	s_delay_alu instid0(VALU_DEP_2)
	v_cmpx_gt_u64_e32 0x47600001, v[20:21]
	s_xor_b32 s28, exec_lo, s10
	s_cbranch_execz .LBB4_11702
; %bb.11693:                            ;   in Loop: Header=BB4_9783 Depth=2
	v_mov_b32_e32 v10, 0
	s_mov_b32 s29, exec_lo
	v_cmpx_ne_u32_e32 0, v11
	s_cbranch_execz .LBB4_11701
; %bb.11694:                            ;   in Loop: Header=BB4_9783 Depth=2
	v_bfe_u32 v30, v11, 23, 8
	v_or_b32_e32 v11, 0x800000, v14
	s_delay_alu instid0(VALU_DEP_2) | instskip(SKIP_2) | instid1(VALU_DEP_2)
	v_cmp_gt_u32_e64 s10, 0x72, v30
	v_sub_nc_u32_e32 v10, 0x71, v30
	v_cmp_eq_u32_e32 vcc_lo, 0, v30
	v_cndmask_b32_e64 v10, 0, v10, s10
	s_delay_alu instid0(VALU_DEP_1) | instskip(SKIP_1) | instid1(VALU_DEP_2)
	v_cndmask_b32_e64 v20, v10, 0x70, vcc_lo
	v_cndmask_b32_e32 v10, v11, v14, vcc_lo
	v_dual_mov_b32 v11, v15 :: v_dual_add_nc_u32 v12, 21, v20
	v_add_nc_u32_e32 v14, 20, v20
	s_delay_alu instid0(VALU_DEP_2) | instskip(NEXT) | instid1(VALU_DEP_2)
	v_lshlrev_b64_e64 v[12:13], v12, -1
	v_lshlrev_b64_e64 v[24:25], v14, 1
	s_delay_alu instid0(VALU_DEP_2) | instskip(SKIP_1) | instid1(VALU_DEP_4)
	v_bfi_b32 v12, v12, 0, v10
	v_lshrrev_b64 v[10:11], v20, v[10:11]
	v_bfi_b32 v13, v13, 0, 0
	s_delay_alu instid0(VALU_DEP_1) | instskip(NEXT) | instid1(VALU_DEP_3)
	v_cmp_eq_u64_e64 s10, v[12:13], v[24:25]
	v_mov_b64_e32 v[12:13], v[10:11]
	s_and_saveexec_b32 s40, s10
; %bb.11695:                            ;   in Loop: Header=BB4_9783 Depth=2
	v_bfe_u32 v12, v10, 21, 1
	v_mov_b32_e32 v13, v15
	s_delay_alu instid0(VALU_DEP_1) | instskip(NEXT) | instid1(VALU_DEP_1)
	v_add_nc_u64_e32 v[12:13], v[10:11], v[12:13]
	v_add_nc_u64_e32 v[12:13], -1, v[12:13]
; %bb.11696:                            ;   in Loop: Header=BB4_9783 Depth=2
	s_or_b32 exec_lo, exec_lo, s40
	v_add_nc_u32_e32 v11, 0xffffff81, v30
	v_lshrrev_b32_e32 v13, 23, v10
	s_mov_b32 s10, exec_lo
	s_delay_alu instid0(VALU_DEP_2) | instskip(NEXT) | instid1(VALU_DEP_1)
	v_cndmask_b32_e64 v11, v11, 0xffffff82, vcc_lo
	v_add3_u32 v20, v20, v11, v13
	v_and_b32_e32 v11, 0x1fffff, v12
                                        ; implicit-def: $vgpr12
	s_delay_alu instid0(VALU_DEP_1) | instskip(NEXT) | instid1(VALU_DEP_1)
	v_dual_add_nc_u32 v13, 14, v20 :: v_dual_add_nc_u32 v14, v11, v10
                                        ; implicit-def: $vgpr10_vgpr11
	v_cmpx_ne_u32_e32 0, v13
	s_xor_b32 s10, exec_lo, s10
; %bb.11697:                            ;   in Loop: Header=BB4_9783 Depth=2
	s_delay_alu instid0(VALU_DEP_2) | instskip(SKIP_1) | instid1(VALU_DEP_1)
	v_cmp_lt_u64_e32 vcc_lo, 0xffffff, v[14:15]
	v_add_nc_u32_e32 v10, 15, v20
	v_cndmask_b32_e32 v12, v13, v10, vcc_lo
	v_cndmask_b32_e64 v10, 0, 1, vcc_lo
	s_delay_alu instid0(VALU_DEP_1)
	v_lshrrev_b64 v[10:11], v10, v[14:15]
; %bb.11698:                            ;   in Loop: Header=BB4_9783 Depth=2
	s_and_not1_saveexec_b32 s10, s10
; %bb.11699:                            ;   in Loop: Header=BB4_9783 Depth=2
	v_mov_b64_e32 v[10:11], v[14:15]
	v_bfe_u32 v12, v14, 23, 1
; %bb.11700:                            ;   in Loop: Header=BB4_9783 Depth=2
	s_or_b32 exec_lo, exec_lo, s10
	s_delay_alu instid0(VALU_DEP_2) | instskip(NEXT) | instid1(VALU_DEP_2)
	v_lshrrev_b64 v[10:11], 21, v[10:11]
	v_cmp_gt_i32_e32 vcc_lo, 32, v12
	v_min_i32_e32 v13, 31, v12
	v_cmp_eq_u32_e64 s10, 0, v12
	s_delay_alu instid0(VALU_DEP_2) | instskip(SKIP_1) | instid1(VALU_DEP_2)
	v_dual_cndmask_b32 v11, 0, v11, vcc_lo :: v_dual_lshlrev_b32 v13, 2, v13
	v_cndmask_b32_e32 v10, 3, v10, vcc_lo
	v_and_b32_e32 v13, 0xfc, v13
	s_delay_alu instid0(VALU_DEP_2) | instskip(NEXT) | instid1(VALU_DEP_2)
	v_cmp_eq_u64_e32 vcc_lo, 0, v[10:11]
	v_and_or_b32 v10, v10, 3, v13
	s_and_b32 s10, s10, vcc_lo
	s_delay_alu instid0(VALU_DEP_1) | instid1(SALU_CYCLE_1)
	v_cndmask_b32_e64 v10, v10, 0, s10
	s_delay_alu instid0(VALU_DEP_1)
	v_or_b32_e32 v10, v10, v85
.LBB4_11701:                            ;   in Loop: Header=BB4_9783 Depth=2
	s_or_b32 exec_lo, exec_lo, s29
                                        ; implicit-def: $vgpr85
.LBB4_11702:                            ;   in Loop: Header=BB4_9783 Depth=2
	s_and_not1_saveexec_b32 s10, s28
; %bb.11703:                            ;   in Loop: Header=BB4_9783 Depth=2
	v_or_b32_e32 v10, 0x7b, v85
; %bb.11704:                            ;   in Loop: Header=BB4_9783 Depth=2
	s_or_b32 exec_lo, exec_lo, s10
                                        ; implicit-def: $vgpr11
                                        ; implicit-def: $vgpr12
.LBB4_11705:                            ;   in Loop: Header=BB4_9783 Depth=2
	s_and_not1_saveexec_b32 s10, s27
	s_cbranch_execz .LBB4_9782
; %bb.11706:                            ;   in Loop: Header=BB4_9783 Depth=2
	s_mov_b32 s27, exec_lo
                                        ; implicit-def: $vgpr10
	v_cmpx_ne_u64_e32 0, v[14:15]
	s_xor_b32 s27, exec_lo, s27
; %bb.11707:                            ;   in Loop: Header=BB4_9783 Depth=2
	v_or_b32_e32 v10, 0x7f, v12
                                        ; implicit-def: $vgpr11
; %bb.11708:                            ;   in Loop: Header=BB4_9783 Depth=2
	s_and_not1_saveexec_b32 s27, s27
	s_cbranch_execz .LBB4_9781
; %bb.11709:                            ;   in Loop: Header=BB4_9783 Depth=2
	v_cmp_lt_i32_e32 vcc_lo, -1, v11
	v_cndmask_b32_e32 v10, 0xfc, v101, vcc_lo
	s_branch .LBB4_9781
.LBB4_11710:                            ;   in Loop: Header=BB4_9707 Depth=1
	s_or_b32 exec_lo, exec_lo, s24
.LBB4_11711:                            ;   in Loop: Header=BB4_9707 Depth=1
	s_delay_alu instid0(SALU_CYCLE_1) | instskip(SKIP_4) | instid1(VALU_DEP_2)
	s_or_b32 exec_lo, exec_lo, s11
	v_and_b32_e32 v2, 0x3ffff800, v65
	v_mov_b32_e32 v0, 0
	s_mov_b32 s10, 0
	s_mov_b32 s23, exec_lo
                                        ; implicit-def: $vgpr3
                                        ; implicit-def: $vgpr84
	v_cmpx_ne_u32_e64 v65, v2
	s_cbranch_execz .LBB4_12205
; %bb.11712:                            ;   in Loop: Header=BB4_9707 Depth=1
	v_dual_lshlrev_b32 v0, 5, v67 :: v_dual_bitop2_b32 v3, 31, v121 bitop3:0x40
	v_and_b32_e32 v12, 0x7ff, v65
	v_bfe_u32 v13, v65, 9, 2
	s_mov_b32 s24, exec_lo
	s_delay_alu instid0(VALU_DEP_3) | instskip(NEXT) | instid1(VALU_DEP_1)
	v_sub_nc_u32_e32 v0, v3, v0
	v_ashrrev_i32_e32 v3, 31, v0
	s_delay_alu instid0(VALU_DEP_1) | instskip(NEXT) | instid1(VALU_DEP_1)
	v_lshrrev_b32_e32 v3, 27, v3
	v_add_nc_u32_e32 v3, v0, v3
	s_delay_alu instid0(VALU_DEP_1) | instskip(NEXT) | instid1(VALU_DEP_1)
	v_and_b32_e32 v10, 0xffffffe0, v3
	v_dual_ashrrev_i32 v11, 5, v3 :: v_dual_sub_nc_u32 v67, v0, v10
	v_and_b32_e32 v0, 0x1ff, v65
	s_delay_alu instid0(VALU_DEP_2) | instskip(NEXT) | instid1(VALU_DEP_2)
	v_lshlrev_b32_e32 v3, 4, v67
	v_cmp_lt_u32_e64 s10, 15, v0
	s_delay_alu instid0(VALU_DEP_2) | instskip(NEXT) | instid1(VALU_DEP_2)
	v_lshl_add_u32 v10, v11, 9, v3
	v_add_co_ci_u32_e64 v13, null, 0, v13, s10
	s_delay_alu instid0(VALU_DEP_1) | instskip(NEXT) | instid1(VALU_DEP_1)
	v_dual_sub_nc_u32 v3, v12, v10 :: v_dual_sub_nc_u32 v86, v13, v11
	v_cmpx_lt_i32_e32 15, v3
	s_cbranch_execz .LBB4_12204
; %bb.11713:                            ;   in Loop: Header=BB4_9707 Depth=1
	s_trap 2
	ds_load_b64 v[12:13], v0
	v_add_nc_u32_e32 v80, v10, v2
	s_delay_alu instid0(VALU_DEP_1)
	v_ashrrev_i32_e32 v81, 31, v80
	s_wait_dscnt 0x0
	v_readfirstlane_b32 s26, v12
	v_readfirstlane_b32 s27, v13
	s_and_b32 s25, s26, 3
	s_bfe_i32 s11, s26, 0x80000
	s_clz_i32_u32 s40, s25
	s_bfe_u32 s28, s26, 0x50002
	s_min_u32 s40, s40, 32
	s_and_b32 s29, s26, 0x7c
	s_sub_co_i32 s43, s40, 29
	s_lshl_b32 s41, s26, 24
	s_sext_i32_i8 s42, s26
	s_lshl_b64 s[26:27], s[26:27], s43
	s_and_b32 s41, s41, 0x80000000
	s_sub_co_i32 s27, 30, s40
	s_and_b32 s26, s26, 3
	s_cmp_gt_i32 s42, -1
	s_cselect_b32 s40, s20, 0xff800000
	s_cmp_eq_u32 s25, 0
	s_cselect_b32 s40, s40, 0x7f800001
	s_cmp_eq_u32 s28, 0
	s_cselect_b32 s27, s27, s28
	s_cselect_b32 s25, s26, s25
	s_lshl_b32 s26, s27, 23
	s_lshl_b32 s25, s25, 21
	s_add_co_i32 s26, s26, s41
	s_delay_alu instid0(SALU_CYCLE_1) | instskip(NEXT) | instid1(SALU_CYCLE_1)
	s_or_b32 s25, s26, s25
	s_add_co_i32 s26, s25, 0x38000000
	s_cmp_eq_u32 s29, 0x7c
	s_mov_b32 s25, 0
	s_cselect_b32 s26, s40, s26
	s_and_b32 s27, s11, 0xff
	s_branch .LBB4_11716
.LBB4_11714:                            ;   in Loop: Header=BB4_11716 Depth=2
	s_or_b32 exec_lo, exec_lo, s28
.LBB4_11715:                            ;   in Loop: Header=BB4_11716 Depth=2
	s_delay_alu instid0(SALU_CYCLE_1)
	s_or_b32 exec_lo, exec_lo, s11
	v_lshl_or_b32 v11, v112, 8, v103
	v_dual_lshlrev_b32 v12, 16, v84 :: v_dual_lshlrev_b32 v13, 24, v85
	v_dual_lshlrev_b32 v83, 24, v10 :: v_dual_sub_nc_u32 v3, v3, v48
	v_lshl_or_b32 v14, v96, 8, v87
	v_lshl_or_b32 v24, v114, 8, v113
	s_delay_alu instid0(VALU_DEP_4)
	v_or3_b32 v11, v11, v12, v13
	v_dual_lshlrev_b32 v12, 16, v97 :: v_dual_lshlrev_b32 v13, 24, v102
	v_dual_lshlrev_b32 v25, 16, v115 :: v_dual_lshlrev_b32 v30, 24, v116
	v_dual_lshlrev_b32 v82, 16, v82 :: v_dual_sub_nc_u32 v86, v86, v16
	v_lshl_or_b32 v2, v2, 8, v117
	v_add_nc_u64_e32 v[20:21], v[70:71], v[80:81]
	v_cmp_gt_i32_e32 vcc_lo, 16, v3
	v_add_nc_u64_e32 v[80:81], v[80:81], v[48:49]
	v_or3_b32 v10, v14, v12, v13
	v_or3_b32 v12, v24, v25, v30
	;; [unrolled: 1-line block ×3, first 2 shown]
	s_or_b32 s25, vcc_lo, s25
	global_store_b128 v[20:21], v[10:13], off th:TH_STORE_NT
	s_wait_xcnt 0x0
	s_and_not1_b32 exec_lo, exec_lo, s25
	s_cbranch_execz .LBB4_12203
.LBB4_11716:                            ;   Parent Loop BB4_9707 Depth=1
                                        ; =>  This Inner Loop Header: Depth=2
	s_cmp_lt_i32 s27, 0x80
	s_cbranch_scc1 .LBB4_11720
; %bb.11717:                            ;   in Loop: Header=BB4_11716 Depth=2
	s_and_b32 s11, 0xffff, s27
	s_delay_alu instid0(SALU_CYCLE_1)
	s_cmp_eq_u32 s11, 0x80
	s_mov_b32 s11, -1
	s_cbranch_scc0 .LBB4_11719
; %bb.11718:                            ;   in Loop: Header=BB4_11716 Depth=2
	s_mov_b32 s11, 0
.LBB4_11719:                            ;   in Loop: Header=BB4_11716 Depth=2
	s_brev_b32 s28, 1
	s_branch .LBB4_11722
.LBB4_11720:                            ;   in Loop: Header=BB4_11716 Depth=2
	s_mov_b32 s11, 0
	s_brev_b32 s28, 1
	s_cbranch_execz .LBB4_11722
; %bb.11721:                            ;   in Loop: Header=BB4_11716 Depth=2
	s_and_b32 s11, 0xffff, s27
	s_mov_b32 s28, 0
	s_cmp_lg_u32 s11, 0
	s_cselect_b32 s11, -1, 0
.LBB4_11722:                            ;   in Loop: Header=BB4_11716 Depth=2
	s_delay_alu instid0(SALU_CYCLE_1)
	s_and_not1_b32 vcc_lo, exec_lo, s11
	s_cbranch_vccnz .LBB4_11724
; %bb.11723:                            ;   in Loop: Header=BB4_11716 Depth=2
	s_mov_b32 s28, s26
.LBB4_11724:                            ;   in Loop: Header=BB4_11716 Depth=2
	v_add_nc_u64_e32 v[10:11], v[68:69], v[80:81]
	global_load_b128 v[10:13], v[10:11], off th:TH_LOAD_NT
	s_wait_loadcnt 0x0
	v_and_b32_e32 v2, 0xff, v10
	s_delay_alu instid0(VALU_DEP_1)
	v_cmp_ne_u16_e32 vcc_lo, 0, v2
	v_mov_b32_e32 v2, 0
	s_wait_xcnt 0x0
	s_and_saveexec_b32 s11, vcc_lo
	s_cbranch_execz .LBB4_11734
; %bb.11725:                            ;   in Loop: Header=BB4_11716 Depth=2
	v_bfe_i32 v20, v10, 0, 8
	v_bfrev_b32_e32 v2, 1
	s_mov_b32 s29, exec_lo
	s_delay_alu instid0(VALU_DEP_2)
	v_cmpx_ne_u16_e32 0xff80, v20
	s_cbranch_execz .LBB4_11733
; %bb.11726:                            ;   in Loop: Header=BB4_11716 Depth=2
	v_and_b32_e32 v2, 0x7c, v10
	v_and_b32_e32 v14, 3, v10
	s_delay_alu instid0(VALU_DEP_2) | instskip(SKIP_1) | instid1(SALU_CYCLE_1)
	v_cmp_ne_u32_e32 vcc_lo, 0x7c, v2
                                        ; implicit-def: $vgpr2
	s_and_saveexec_b32 s40, vcc_lo
	s_xor_b32 s40, exec_lo, s40
	s_cbranch_execz .LBB4_11730
; %bb.11727:                            ;   in Loop: Header=BB4_11716 Depth=2
	v_bfe_u32 v2, v10, 2, 5
	s_mov_b32 s41, exec_lo
	s_delay_alu instid0(VALU_DEP_1)
	v_cmpx_eq_u32_e32 0, v2
; %bb.11728:                            ;   in Loop: Header=BB4_11716 Depth=2
	v_clz_i32_u32_e32 v2, v14
	s_delay_alu instid0(VALU_DEP_1) | instskip(NEXT) | instid1(VALU_DEP_1)
	v_min_u32_e32 v2, 32, v2
	v_subrev_nc_u32_e32 v14, 29, v2
	s_delay_alu instid0(VALU_DEP_1) | instskip(NEXT) | instid1(VALU_DEP_1)
	v_lshlrev_b64_e32 v[20:21], v14, v[10:11]
	v_dual_sub_nc_u32 v2, 30, v2 :: v_dual_bitop2_b32 v14, 3, v20 bitop3:0x40
; %bb.11729:                            ;   in Loop: Header=BB4_11716 Depth=2
	s_or_b32 exec_lo, exec_lo, s41
	v_lshlrev_b32_e32 v20, 24, v10
	s_delay_alu instid0(VALU_DEP_1) | instskip(NEXT) | instid1(VALU_DEP_1)
	v_and_b32_e32 v20, 0x80000000, v20
	v_lshl_add_u32 v2, v2, 23, v20
                                        ; implicit-def: $vgpr20
	s_delay_alu instid0(VALU_DEP_1) | instskip(NEXT) | instid1(VALU_DEP_1)
	v_lshl_or_b32 v2, v14, 21, v2
                                        ; implicit-def: $vgpr14
	v_add_nc_u32_e32 v2, 0x38000000, v2
.LBB4_11730:                            ;   in Loop: Header=BB4_11716 Depth=2
	s_and_not1_saveexec_b32 s40, s40
; %bb.11731:                            ;   in Loop: Header=BB4_11716 Depth=2
	v_cmp_lt_i16_e32 vcc_lo, -1, v20
	v_cndmask_b32_e32 v2, 0xff800000, v100, vcc_lo
	v_cmp_eq_u32_e32 vcc_lo, 0, v14
	s_delay_alu instid0(VALU_DEP_2)
	v_cndmask_b32_e32 v2, 0x7f800001, v2, vcc_lo
; %bb.11732:                            ;   in Loop: Header=BB4_11716 Depth=2
	s_or_b32 exec_lo, exec_lo, s40
.LBB4_11733:                            ;   in Loop: Header=BB4_11716 Depth=2
	s_delay_alu instid0(SALU_CYCLE_1)
	s_or_b32 exec_lo, exec_lo, s29
.LBB4_11734:                            ;   in Loop: Header=BB4_11716 Depth=2
	s_delay_alu instid0(SALU_CYCLE_1) | instskip(NEXT) | instid1(VALU_DEP_1)
	s_or_b32 exec_lo, exec_lo, s11
	v_dual_mul_f32 v30, s28, v2 :: v_dual_mov_b32 v21, v15
                                        ; implicit-def: $vgpr87
	s_mov_b32 s11, exec_lo
	s_delay_alu instid0(VALU_DEP_1) | instskip(SKIP_2) | instid1(VALU_DEP_3)
	v_and_b32_e32 v20, 0x7f800000, v30
	v_and_b32_e32 v14, 0x7fffff, v30
	v_lshrrev_b32_e32 v2, 24, v30
	v_cmpx_ne_u64_e32 0x7f800000, v[20:21]
	s_xor_b32 s29, exec_lo, s11
	s_cbranch_execz .LBB4_11748
; %bb.11735:                            ;   in Loop: Header=BB4_11716 Depth=2
	v_and_b32_e32 v20, 0x7fffffff, v30
	v_mov_b32_e32 v21, v15
	v_and_b32_e32 v2, 0x80, v2
                                        ; implicit-def: $vgpr87
	s_mov_b32 s11, exec_lo
	s_delay_alu instid0(VALU_DEP_2)
	v_cmpx_gt_u64_e32 0x47600001, v[20:21]
	s_xor_b32 s40, exec_lo, s11
	s_cbranch_execz .LBB4_11745
; %bb.11736:                            ;   in Loop: Header=BB4_11716 Depth=2
	v_mov_b32_e32 v87, 0
	s_mov_b32 s41, exec_lo
	v_cmpx_ne_u32_e32 0, v30
	s_cbranch_execz .LBB4_11744
; %bb.11737:                            ;   in Loop: Header=BB4_11716 Depth=2
	v_bfe_u32 v20, v30, 23, 8
	v_or_b32_e32 v30, 0x800000, v14
	v_mov_b32_e32 v83, v15
	s_delay_alu instid0(VALU_DEP_3) | instskip(SKIP_1) | instid1(VALU_DEP_2)
	v_sub_nc_u32_e32 v21, 0x71, v20
	v_cmp_gt_u32_e32 vcc_lo, 0x72, v20
	v_cndmask_b32_e32 v21, 0, v21, vcc_lo
	v_cmp_eq_u32_e32 vcc_lo, 0, v20
	s_delay_alu instid0(VALU_DEP_2) | instskip(NEXT) | instid1(VALU_DEP_1)
	v_cndmask_b32_e64 v21, v21, 0x70, vcc_lo
	v_dual_cndmask_b32 v82, v30, v14, vcc_lo :: v_dual_add_nc_u32 v24, 21, v21
	v_add_nc_u32_e32 v84, 20, v21
	s_delay_alu instid0(VALU_DEP_2) | instskip(NEXT) | instid1(VALU_DEP_2)
	v_lshlrev_b64_e64 v[24:25], v24, -1
	v_lshlrev_b64_e64 v[84:85], v84, 1
	s_delay_alu instid0(VALU_DEP_2) | instskip(SKIP_1) | instid1(VALU_DEP_4)
	v_bfi_b32 v24, v24, 0, v82
	v_lshrrev_b64 v[82:83], v21, v[82:83]
	v_bfi_b32 v25, v25, 0, 0
	s_delay_alu instid0(VALU_DEP_1) | instskip(NEXT) | instid1(VALU_DEP_3)
	v_cmp_eq_u64_e64 s11, v[24:25], v[84:85]
	v_mov_b64_e32 v[84:85], v[82:83]
	s_and_saveexec_b32 s42, s11
; %bb.11738:                            ;   in Loop: Header=BB4_11716 Depth=2
	v_bfe_u32 v24, v82, 21, 1
	v_mov_b32_e32 v25, v15
	s_delay_alu instid0(VALU_DEP_1) | instskip(NEXT) | instid1(VALU_DEP_1)
	v_add_nc_u64_e32 v[24:25], v[82:83], v[24:25]
	v_add_nc_u64_e32 v[84:85], -1, v[24:25]
; %bb.11739:                            ;   in Loop: Header=BB4_11716 Depth=2
	s_or_b32 exec_lo, exec_lo, s42
	v_add_nc_u32_e32 v14, 0xffffff81, v20
	v_lshrrev_b32_e32 v20, 23, v82
	s_mov_b32 s11, exec_lo
	s_delay_alu instid0(VALU_DEP_2) | instskip(NEXT) | instid1(VALU_DEP_1)
	v_cndmask_b32_e64 v14, v14, 0xffffff82, vcc_lo
	v_add3_u32 v21, v21, v14, v20
	v_and_b32_e32 v14, 0x1fffff, v84
                                        ; implicit-def: $vgpr20
	s_delay_alu instid0(VALU_DEP_1) | instskip(NEXT) | instid1(VALU_DEP_1)
	v_dual_add_nc_u32 v30, 14, v21 :: v_dual_add_nc_u32 v14, v14, v82
                                        ; implicit-def: $vgpr82_vgpr83
	v_cmpx_ne_u32_e32 0, v30
	s_xor_b32 s11, exec_lo, s11
; %bb.11740:                            ;   in Loop: Header=BB4_11716 Depth=2
	s_delay_alu instid0(VALU_DEP_2) | instskip(SKIP_2) | instid1(VALU_DEP_2)
	v_cmp_lt_u64_e32 vcc_lo, 0xffffff, v[14:15]
	v_add_nc_u32_e32 v20, 15, v21
	v_cndmask_b32_e64 v21, 0, 1, vcc_lo
	v_cndmask_b32_e32 v20, v30, v20, vcc_lo
	s_delay_alu instid0(VALU_DEP_2)
	v_lshrrev_b64 v[82:83], v21, v[14:15]
; %bb.11741:                            ;   in Loop: Header=BB4_11716 Depth=2
	s_and_not1_saveexec_b32 s11, s11
; %bb.11742:                            ;   in Loop: Header=BB4_11716 Depth=2
	v_mov_b64_e32 v[82:83], v[14:15]
	v_bfe_u32 v20, v14, 23, 1
; %bb.11743:                            ;   in Loop: Header=BB4_11716 Depth=2
	s_or_b32 exec_lo, exec_lo, s11
	s_delay_alu instid0(VALU_DEP_2) | instskip(NEXT) | instid1(VALU_DEP_2)
	v_lshrrev_b64 v[24:25], 21, v[82:83]
	v_cmp_gt_i32_e32 vcc_lo, 32, v20
	v_min_i32_e32 v14, 31, v20
	v_cmp_eq_u32_e64 s11, 0, v20
	s_delay_alu instid0(VALU_DEP_2) | instskip(SKIP_1) | instid1(VALU_DEP_2)
	v_dual_cndmask_b32 v25, 0, v25 :: v_dual_lshlrev_b32 v14, 2, v14
	v_cndmask_b32_e32 v24, 3, v24, vcc_lo
	v_and_b32_e32 v14, 0xfc, v14
	s_delay_alu instid0(VALU_DEP_2) | instskip(NEXT) | instid1(VALU_DEP_2)
	v_cmp_eq_u64_e32 vcc_lo, 0, v[24:25]
	v_and_or_b32 v14, v24, 3, v14
	s_and_b32 s11, s11, vcc_lo
	s_delay_alu instid0(VALU_DEP_1) | instid1(SALU_CYCLE_1)
	v_cndmask_b32_e64 v14, v14, 0, s11
	s_delay_alu instid0(VALU_DEP_1)
	v_or_b32_e32 v87, v14, v2
.LBB4_11744:                            ;   in Loop: Header=BB4_11716 Depth=2
	s_or_b32 exec_lo, exec_lo, s41
                                        ; implicit-def: $vgpr2
.LBB4_11745:                            ;   in Loop: Header=BB4_11716 Depth=2
	s_and_not1_saveexec_b32 s11, s40
; %bb.11746:                            ;   in Loop: Header=BB4_11716 Depth=2
	v_or_b32_e32 v87, 0x7b, v2
; %bb.11747:                            ;   in Loop: Header=BB4_11716 Depth=2
	s_or_b32 exec_lo, exec_lo, s11
                                        ; implicit-def: $vgpr30
                                        ; implicit-def: $vgpr2
.LBB4_11748:                            ;   in Loop: Header=BB4_11716 Depth=2
	s_and_not1_saveexec_b32 s11, s29
	s_cbranch_execz .LBB4_11754
; %bb.11749:                            ;   in Loop: Header=BB4_11716 Depth=2
	s_mov_b32 s29, exec_lo
                                        ; implicit-def: $vgpr87
	v_cmpx_ne_u64_e32 0, v[14:15]
	s_xor_b32 s29, exec_lo, s29
; %bb.11750:                            ;   in Loop: Header=BB4_11716 Depth=2
	v_or_b32_e32 v87, 0x7f, v2
                                        ; implicit-def: $vgpr30
; %bb.11751:                            ;   in Loop: Header=BB4_11716 Depth=2
	s_and_not1_saveexec_b32 s29, s29
; %bb.11752:                            ;   in Loop: Header=BB4_11716 Depth=2
	v_cmp_lt_i32_e32 vcc_lo, -1, v30
	v_cndmask_b32_e32 v87, 0xfc, v101, vcc_lo
; %bb.11753:                            ;   in Loop: Header=BB4_11716 Depth=2
	s_or_b32 exec_lo, exec_lo, s29
.LBB4_11754:                            ;   in Loop: Header=BB4_11716 Depth=2
	s_delay_alu instid0(SALU_CYCLE_1) | instskip(SKIP_3) | instid1(VALU_DEP_2)
	s_or_b32 exec_lo, exec_lo, s11
	v_lshrrev_b16 v82, 8, v10
	v_mov_b32_e32 v14, 0
	s_mov_b32 s11, exec_lo
	v_cmpx_ne_u16_e32 0, v82
	s_cbranch_execz .LBB4_11764
; %bb.11755:                            ;   in Loop: Header=BB4_11716 Depth=2
	v_bfrev_b32_e32 v14, 1
	s_mov_b32 s29, exec_lo
	v_cmpx_ne_u16_e32 0x80, v82
	s_cbranch_execz .LBB4_11763
; %bb.11756:                            ;   in Loop: Header=BB4_11716 Depth=2
	v_and_b32_e32 v20, 0xffff, v82
	s_delay_alu instid0(VALU_DEP_1) | instskip(SKIP_1) | instid1(VALU_DEP_2)
	v_and_b32_e32 v14, 0x7c, v20
	v_and_b32_e32 v2, 3, v20
	v_cmp_ne_u32_e32 vcc_lo, 0x7c, v14
                                        ; implicit-def: $vgpr14
	s_and_saveexec_b32 s40, vcc_lo
	s_delay_alu instid0(SALU_CYCLE_1)
	s_xor_b32 s40, exec_lo, s40
	s_cbranch_execz .LBB4_11760
; %bb.11757:                            ;   in Loop: Header=BB4_11716 Depth=2
	v_bfe_u32 v14, v20, 2, 5
	s_mov_b32 s41, exec_lo
	s_delay_alu instid0(VALU_DEP_1)
	v_cmpx_eq_u32_e32 0, v14
; %bb.11758:                            ;   in Loop: Header=BB4_11716 Depth=2
	v_clz_i32_u32_e32 v2, v2
	s_delay_alu instid0(VALU_DEP_1) | instskip(SKIP_1) | instid1(VALU_DEP_2)
	v_min_u32_e32 v2, 32, v2
	v_mov_b32_e32 v83, v15
	v_subrev_nc_u32_e32 v14, 29, v2
	s_delay_alu instid0(VALU_DEP_1) | instskip(NEXT) | instid1(VALU_DEP_1)
	v_lshlrev_b64_e32 v[20:21], v14, v[82:83]
	v_dual_sub_nc_u32 v14, 30, v2 :: v_dual_bitop2_b32 v2, 3, v20 bitop3:0x40
; %bb.11759:                            ;   in Loop: Header=BB4_11716 Depth=2
	s_or_b32 exec_lo, exec_lo, s41
	v_lshlrev_b32_e32 v20, 16, v10
	s_delay_alu instid0(VALU_DEP_1) | instskip(NEXT) | instid1(VALU_DEP_1)
	v_and_b32_e32 v20, 0x80000000, v20
	v_lshl_add_u32 v14, v14, 23, v20
	s_delay_alu instid0(VALU_DEP_1) | instskip(NEXT) | instid1(VALU_DEP_1)
	v_lshl_or_b32 v2, v2, 21, v14
	v_add_nc_u32_e32 v14, 0x38000000, v2
                                        ; implicit-def: $vgpr2
.LBB4_11760:                            ;   in Loop: Header=BB4_11716 Depth=2
	s_and_not1_saveexec_b32 s40, s40
; %bb.11761:                            ;   in Loop: Header=BB4_11716 Depth=2
	v_cmp_lt_i16_e32 vcc_lo, -1, v10
	v_cndmask_b32_e32 v14, 0xff800000, v100, vcc_lo
	v_cmp_eq_u32_e32 vcc_lo, 0, v2
	s_delay_alu instid0(VALU_DEP_2)
	v_cndmask_b32_e32 v14, 0x7f800001, v14, vcc_lo
; %bb.11762:                            ;   in Loop: Header=BB4_11716 Depth=2
	s_or_b32 exec_lo, exec_lo, s40
.LBB4_11763:                            ;   in Loop: Header=BB4_11716 Depth=2
	s_delay_alu instid0(SALU_CYCLE_1)
	s_or_b32 exec_lo, exec_lo, s29
.LBB4_11764:                            ;   in Loop: Header=BB4_11716 Depth=2
	s_delay_alu instid0(SALU_CYCLE_1) | instskip(NEXT) | instid1(VALU_DEP_1)
	s_or_b32 exec_lo, exec_lo, s11
	v_dual_mul_f32 v30, s28, v14 :: v_dual_mov_b32 v21, v15
                                        ; implicit-def: $vgpr96
	s_mov_b32 s11, exec_lo
	s_delay_alu instid0(VALU_DEP_1) | instskip(SKIP_2) | instid1(VALU_DEP_3)
	v_and_b32_e32 v20, 0x7f800000, v30
	v_and_b32_e32 v14, 0x7fffff, v30
	v_lshrrev_b32_e32 v2, 24, v30
	v_cmpx_ne_u64_e32 0x7f800000, v[20:21]
	s_xor_b32 s29, exec_lo, s11
	s_cbranch_execz .LBB4_11778
; %bb.11765:                            ;   in Loop: Header=BB4_11716 Depth=2
	v_and_b32_e32 v20, 0x7fffffff, v30
	v_mov_b32_e32 v21, v15
	v_and_b32_e32 v2, 0x80, v2
                                        ; implicit-def: $vgpr96
	s_mov_b32 s11, exec_lo
	s_delay_alu instid0(VALU_DEP_2)
	v_cmpx_gt_u64_e32 0x47600001, v[20:21]
	s_xor_b32 s40, exec_lo, s11
	s_cbranch_execz .LBB4_11775
; %bb.11766:                            ;   in Loop: Header=BB4_11716 Depth=2
	v_mov_b32_e32 v96, 0
	s_mov_b32 s41, exec_lo
	v_cmpx_ne_u32_e32 0, v30
	s_cbranch_execz .LBB4_11774
; %bb.11767:                            ;   in Loop: Header=BB4_11716 Depth=2
	v_bfe_u32 v20, v30, 23, 8
	v_or_b32_e32 v30, 0x800000, v14
	v_mov_b32_e32 v83, v15
	s_delay_alu instid0(VALU_DEP_3) | instskip(SKIP_1) | instid1(VALU_DEP_2)
	v_sub_nc_u32_e32 v21, 0x71, v20
	v_cmp_gt_u32_e32 vcc_lo, 0x72, v20
	v_cndmask_b32_e32 v21, 0, v21, vcc_lo
	v_cmp_eq_u32_e32 vcc_lo, 0, v20
	s_delay_alu instid0(VALU_DEP_2) | instskip(NEXT) | instid1(VALU_DEP_1)
	v_cndmask_b32_e64 v21, v21, 0x70, vcc_lo
	v_dual_cndmask_b32 v82, v30, v14, vcc_lo :: v_dual_add_nc_u32 v24, 21, v21
	v_add_nc_u32_e32 v84, 20, v21
	s_delay_alu instid0(VALU_DEP_2) | instskip(NEXT) | instid1(VALU_DEP_2)
	v_lshlrev_b64_e64 v[24:25], v24, -1
	v_lshlrev_b64_e64 v[84:85], v84, 1
	s_delay_alu instid0(VALU_DEP_2) | instskip(SKIP_1) | instid1(VALU_DEP_4)
	v_bfi_b32 v24, v24, 0, v82
	v_lshrrev_b64 v[82:83], v21, v[82:83]
	v_bfi_b32 v25, v25, 0, 0
	s_delay_alu instid0(VALU_DEP_1) | instskip(NEXT) | instid1(VALU_DEP_3)
	v_cmp_eq_u64_e64 s11, v[24:25], v[84:85]
	v_mov_b64_e32 v[84:85], v[82:83]
	s_and_saveexec_b32 s42, s11
; %bb.11768:                            ;   in Loop: Header=BB4_11716 Depth=2
	v_bfe_u32 v24, v82, 21, 1
	v_mov_b32_e32 v25, v15
	s_delay_alu instid0(VALU_DEP_1) | instskip(NEXT) | instid1(VALU_DEP_1)
	v_add_nc_u64_e32 v[24:25], v[82:83], v[24:25]
	v_add_nc_u64_e32 v[84:85], -1, v[24:25]
; %bb.11769:                            ;   in Loop: Header=BB4_11716 Depth=2
	s_or_b32 exec_lo, exec_lo, s42
	v_add_nc_u32_e32 v14, 0xffffff81, v20
	v_lshrrev_b32_e32 v20, 23, v82
	s_mov_b32 s11, exec_lo
	s_delay_alu instid0(VALU_DEP_2) | instskip(NEXT) | instid1(VALU_DEP_1)
	v_cndmask_b32_e64 v14, v14, 0xffffff82, vcc_lo
	v_add3_u32 v21, v21, v14, v20
	v_and_b32_e32 v14, 0x1fffff, v84
                                        ; implicit-def: $vgpr20
	s_delay_alu instid0(VALU_DEP_1) | instskip(NEXT) | instid1(VALU_DEP_1)
	v_dual_add_nc_u32 v30, 14, v21 :: v_dual_add_nc_u32 v14, v14, v82
                                        ; implicit-def: $vgpr82_vgpr83
	v_cmpx_ne_u32_e32 0, v30
	s_xor_b32 s11, exec_lo, s11
; %bb.11770:                            ;   in Loop: Header=BB4_11716 Depth=2
	s_delay_alu instid0(VALU_DEP_2) | instskip(SKIP_2) | instid1(VALU_DEP_2)
	v_cmp_lt_u64_e32 vcc_lo, 0xffffff, v[14:15]
	v_add_nc_u32_e32 v20, 15, v21
	v_cndmask_b32_e64 v21, 0, 1, vcc_lo
	v_cndmask_b32_e32 v20, v30, v20, vcc_lo
	s_delay_alu instid0(VALU_DEP_2)
	v_lshrrev_b64 v[82:83], v21, v[14:15]
; %bb.11771:                            ;   in Loop: Header=BB4_11716 Depth=2
	s_and_not1_saveexec_b32 s11, s11
; %bb.11772:                            ;   in Loop: Header=BB4_11716 Depth=2
	v_mov_b64_e32 v[82:83], v[14:15]
	v_bfe_u32 v20, v14, 23, 1
; %bb.11773:                            ;   in Loop: Header=BB4_11716 Depth=2
	s_or_b32 exec_lo, exec_lo, s11
	s_delay_alu instid0(VALU_DEP_2) | instskip(NEXT) | instid1(VALU_DEP_2)
	v_lshrrev_b64 v[24:25], 21, v[82:83]
	v_cmp_gt_i32_e32 vcc_lo, 32, v20
	v_min_i32_e32 v14, 31, v20
	v_cmp_eq_u32_e64 s11, 0, v20
	s_delay_alu instid0(VALU_DEP_2) | instskip(SKIP_1) | instid1(VALU_DEP_2)
	v_dual_cndmask_b32 v25, 0, v25 :: v_dual_lshlrev_b32 v14, 2, v14
	v_cndmask_b32_e32 v24, 3, v24, vcc_lo
	v_and_b32_e32 v14, 0xfc, v14
	s_delay_alu instid0(VALU_DEP_2) | instskip(NEXT) | instid1(VALU_DEP_2)
	v_cmp_eq_u64_e32 vcc_lo, 0, v[24:25]
	v_and_or_b32 v14, v24, 3, v14
	s_and_b32 s11, s11, vcc_lo
	s_delay_alu instid0(VALU_DEP_1) | instid1(SALU_CYCLE_1)
	v_cndmask_b32_e64 v14, v14, 0, s11
	s_delay_alu instid0(VALU_DEP_1)
	v_or_b32_e32 v96, v14, v2
.LBB4_11774:                            ;   in Loop: Header=BB4_11716 Depth=2
	s_or_b32 exec_lo, exec_lo, s41
                                        ; implicit-def: $vgpr2
.LBB4_11775:                            ;   in Loop: Header=BB4_11716 Depth=2
	s_and_not1_saveexec_b32 s11, s40
; %bb.11776:                            ;   in Loop: Header=BB4_11716 Depth=2
	v_or_b32_e32 v96, 0x7b, v2
; %bb.11777:                            ;   in Loop: Header=BB4_11716 Depth=2
	s_or_b32 exec_lo, exec_lo, s11
                                        ; implicit-def: $vgpr30
                                        ; implicit-def: $vgpr2
.LBB4_11778:                            ;   in Loop: Header=BB4_11716 Depth=2
	s_and_not1_saveexec_b32 s11, s29
	s_cbranch_execz .LBB4_11784
; %bb.11779:                            ;   in Loop: Header=BB4_11716 Depth=2
	s_mov_b32 s29, exec_lo
                                        ; implicit-def: $vgpr96
	v_cmpx_ne_u64_e32 0, v[14:15]
	s_xor_b32 s29, exec_lo, s29
; %bb.11780:                            ;   in Loop: Header=BB4_11716 Depth=2
	v_or_b32_e32 v96, 0x7f, v2
                                        ; implicit-def: $vgpr30
; %bb.11781:                            ;   in Loop: Header=BB4_11716 Depth=2
	s_and_not1_saveexec_b32 s29, s29
; %bb.11782:                            ;   in Loop: Header=BB4_11716 Depth=2
	v_cmp_lt_i32_e32 vcc_lo, -1, v30
	v_cndmask_b32_e32 v96, 0xfc, v101, vcc_lo
; %bb.11783:                            ;   in Loop: Header=BB4_11716 Depth=2
	s_or_b32 exec_lo, exec_lo, s29
.LBB4_11784:                            ;   in Loop: Header=BB4_11716 Depth=2
	s_delay_alu instid0(SALU_CYCLE_1) | instskip(SKIP_2) | instid1(VALU_DEP_1)
	s_or_b32 exec_lo, exec_lo, s11
	v_dual_lshrrev_b32 v14, 16, v10 :: v_dual_mov_b32 v2, 0
	s_mov_b32 s11, exec_lo
	v_and_b32_e32 v20, 0xff, v14
	s_delay_alu instid0(VALU_DEP_1)
	v_cmpx_ne_u16_e32 0, v20
	s_cbranch_execz .LBB4_11794
; %bb.11785:                            ;   in Loop: Header=BB4_11716 Depth=2
	v_bfrev_b32_e32 v2, 1
	s_mov_b32 s29, exec_lo
	v_cmpx_ne_u16_e32 0x80, v20
	s_cbranch_execz .LBB4_11793
; %bb.11786:                            ;   in Loop: Header=BB4_11716 Depth=2
	v_and_b32_e32 v2, 0x7c0000, v10
	v_bfe_u32 v20, v10, 16, 2
	s_delay_alu instid0(VALU_DEP_2) | instskip(SKIP_1) | instid1(SALU_CYCLE_1)
	v_cmp_ne_u32_e32 vcc_lo, 0x7c0000, v2
                                        ; implicit-def: $vgpr2
	s_and_saveexec_b32 s40, vcc_lo
	s_xor_b32 s40, exec_lo, s40
	s_cbranch_execz .LBB4_11790
; %bb.11787:                            ;   in Loop: Header=BB4_11716 Depth=2
	v_bfe_u32 v2, v10, 18, 5
	s_mov_b32 s41, exec_lo
	s_delay_alu instid0(VALU_DEP_1)
	v_cmpx_eq_u32_e32 0, v2
; %bb.11788:                            ;   in Loop: Header=BB4_11716 Depth=2
	v_clz_i32_u32_e32 v2, v20
	s_delay_alu instid0(VALU_DEP_1) | instskip(NEXT) | instid1(VALU_DEP_1)
	v_min_u32_e32 v2, 32, v2
	v_subrev_nc_u32_e32 v20, 29, v2
	s_delay_alu instid0(VALU_DEP_1) | instskip(NEXT) | instid1(VALU_DEP_1)
	v_lshlrev_b64_e32 v[20:21], v20, v[14:15]
	v_dual_sub_nc_u32 v2, 30, v2 :: v_dual_bitop2_b32 v20, 3, v20 bitop3:0x40
; %bb.11789:                            ;   in Loop: Header=BB4_11716 Depth=2
	s_or_b32 exec_lo, exec_lo, s41
	v_lshlrev_b32_e32 v14, 24, v14
	s_delay_alu instid0(VALU_DEP_1) | instskip(NEXT) | instid1(VALU_DEP_1)
	v_and_b32_e32 v14, 0x80000000, v14
	v_lshl_add_u32 v2, v2, 23, v14
                                        ; implicit-def: $vgpr14
	s_delay_alu instid0(VALU_DEP_1) | instskip(NEXT) | instid1(VALU_DEP_1)
	v_lshl_or_b32 v2, v20, 21, v2
                                        ; implicit-def: $vgpr20
	v_add_nc_u32_e32 v2, 0x38000000, v2
.LBB4_11790:                            ;   in Loop: Header=BB4_11716 Depth=2
	s_and_not1_saveexec_b32 s40, s40
; %bb.11791:                            ;   in Loop: Header=BB4_11716 Depth=2
	v_bfe_i32 v2, v14, 0, 8
	s_delay_alu instid0(VALU_DEP_1) | instskip(SKIP_2) | instid1(VALU_DEP_2)
	v_cmp_lt_i16_e32 vcc_lo, -1, v2
	v_cndmask_b32_e32 v2, 0xff800000, v100, vcc_lo
	v_cmp_eq_u32_e32 vcc_lo, 0, v20
	v_cndmask_b32_e32 v2, 0x7f800001, v2, vcc_lo
; %bb.11792:                            ;   in Loop: Header=BB4_11716 Depth=2
	s_or_b32 exec_lo, exec_lo, s40
.LBB4_11793:                            ;   in Loop: Header=BB4_11716 Depth=2
	s_delay_alu instid0(SALU_CYCLE_1)
	s_or_b32 exec_lo, exec_lo, s29
.LBB4_11794:                            ;   in Loop: Header=BB4_11716 Depth=2
	s_delay_alu instid0(SALU_CYCLE_1) | instskip(NEXT) | instid1(VALU_DEP_1)
	s_or_b32 exec_lo, exec_lo, s11
	v_dual_mul_f32 v30, s28, v2 :: v_dual_mov_b32 v21, v15
                                        ; implicit-def: $vgpr97
	s_mov_b32 s11, exec_lo
	s_delay_alu instid0(VALU_DEP_1) | instskip(SKIP_2) | instid1(VALU_DEP_3)
	v_and_b32_e32 v20, 0x7f800000, v30
	v_and_b32_e32 v14, 0x7fffff, v30
	v_lshrrev_b32_e32 v2, 24, v30
	v_cmpx_ne_u64_e32 0x7f800000, v[20:21]
	s_xor_b32 s29, exec_lo, s11
	s_cbranch_execz .LBB4_11808
; %bb.11795:                            ;   in Loop: Header=BB4_11716 Depth=2
	v_and_b32_e32 v20, 0x7fffffff, v30
	v_mov_b32_e32 v21, v15
	v_and_b32_e32 v2, 0x80, v2
                                        ; implicit-def: $vgpr97
	s_mov_b32 s11, exec_lo
	s_delay_alu instid0(VALU_DEP_2)
	v_cmpx_gt_u64_e32 0x47600001, v[20:21]
	s_xor_b32 s40, exec_lo, s11
	s_cbranch_execz .LBB4_11805
; %bb.11796:                            ;   in Loop: Header=BB4_11716 Depth=2
	v_mov_b32_e32 v97, 0
	s_mov_b32 s41, exec_lo
	v_cmpx_ne_u32_e32 0, v30
	s_cbranch_execz .LBB4_11804
; %bb.11797:                            ;   in Loop: Header=BB4_11716 Depth=2
	v_bfe_u32 v20, v30, 23, 8
	v_or_b32_e32 v30, 0x800000, v14
	v_mov_b32_e32 v83, v15
	s_delay_alu instid0(VALU_DEP_3) | instskip(SKIP_1) | instid1(VALU_DEP_2)
	v_sub_nc_u32_e32 v21, 0x71, v20
	v_cmp_gt_u32_e32 vcc_lo, 0x72, v20
	v_cndmask_b32_e32 v21, 0, v21, vcc_lo
	v_cmp_eq_u32_e32 vcc_lo, 0, v20
	s_delay_alu instid0(VALU_DEP_2) | instskip(NEXT) | instid1(VALU_DEP_1)
	v_cndmask_b32_e64 v21, v21, 0x70, vcc_lo
	v_dual_cndmask_b32 v82, v30, v14, vcc_lo :: v_dual_add_nc_u32 v24, 21, v21
	v_add_nc_u32_e32 v84, 20, v21
	s_delay_alu instid0(VALU_DEP_2) | instskip(NEXT) | instid1(VALU_DEP_2)
	v_lshlrev_b64_e64 v[24:25], v24, -1
	v_lshlrev_b64_e64 v[84:85], v84, 1
	s_delay_alu instid0(VALU_DEP_2) | instskip(SKIP_1) | instid1(VALU_DEP_4)
	v_bfi_b32 v24, v24, 0, v82
	v_lshrrev_b64 v[82:83], v21, v[82:83]
	v_bfi_b32 v25, v25, 0, 0
	s_delay_alu instid0(VALU_DEP_1) | instskip(NEXT) | instid1(VALU_DEP_3)
	v_cmp_eq_u64_e64 s11, v[24:25], v[84:85]
	v_mov_b64_e32 v[84:85], v[82:83]
	s_and_saveexec_b32 s42, s11
; %bb.11798:                            ;   in Loop: Header=BB4_11716 Depth=2
	v_bfe_u32 v24, v82, 21, 1
	v_mov_b32_e32 v25, v15
	s_delay_alu instid0(VALU_DEP_1) | instskip(NEXT) | instid1(VALU_DEP_1)
	v_add_nc_u64_e32 v[24:25], v[82:83], v[24:25]
	v_add_nc_u64_e32 v[84:85], -1, v[24:25]
; %bb.11799:                            ;   in Loop: Header=BB4_11716 Depth=2
	s_or_b32 exec_lo, exec_lo, s42
	v_add_nc_u32_e32 v14, 0xffffff81, v20
	v_lshrrev_b32_e32 v20, 23, v82
	s_mov_b32 s11, exec_lo
	s_delay_alu instid0(VALU_DEP_2) | instskip(NEXT) | instid1(VALU_DEP_1)
	v_cndmask_b32_e64 v14, v14, 0xffffff82, vcc_lo
	v_add3_u32 v21, v21, v14, v20
	v_and_b32_e32 v14, 0x1fffff, v84
                                        ; implicit-def: $vgpr20
	s_delay_alu instid0(VALU_DEP_1) | instskip(NEXT) | instid1(VALU_DEP_1)
	v_dual_add_nc_u32 v30, 14, v21 :: v_dual_add_nc_u32 v14, v14, v82
                                        ; implicit-def: $vgpr82_vgpr83
	v_cmpx_ne_u32_e32 0, v30
	s_xor_b32 s11, exec_lo, s11
; %bb.11800:                            ;   in Loop: Header=BB4_11716 Depth=2
	s_delay_alu instid0(VALU_DEP_2) | instskip(SKIP_2) | instid1(VALU_DEP_2)
	v_cmp_lt_u64_e32 vcc_lo, 0xffffff, v[14:15]
	v_add_nc_u32_e32 v20, 15, v21
	v_cndmask_b32_e64 v21, 0, 1, vcc_lo
	v_cndmask_b32_e32 v20, v30, v20, vcc_lo
	s_delay_alu instid0(VALU_DEP_2)
	v_lshrrev_b64 v[82:83], v21, v[14:15]
; %bb.11801:                            ;   in Loop: Header=BB4_11716 Depth=2
	s_and_not1_saveexec_b32 s11, s11
; %bb.11802:                            ;   in Loop: Header=BB4_11716 Depth=2
	v_mov_b64_e32 v[82:83], v[14:15]
	v_bfe_u32 v20, v14, 23, 1
; %bb.11803:                            ;   in Loop: Header=BB4_11716 Depth=2
	s_or_b32 exec_lo, exec_lo, s11
	s_delay_alu instid0(VALU_DEP_2) | instskip(NEXT) | instid1(VALU_DEP_2)
	v_lshrrev_b64 v[24:25], 21, v[82:83]
	v_cmp_gt_i32_e32 vcc_lo, 32, v20
	v_min_i32_e32 v14, 31, v20
	v_cmp_eq_u32_e64 s11, 0, v20
	s_delay_alu instid0(VALU_DEP_2) | instskip(SKIP_1) | instid1(VALU_DEP_2)
	v_dual_cndmask_b32 v25, 0, v25 :: v_dual_lshlrev_b32 v14, 2, v14
	v_cndmask_b32_e32 v24, 3, v24, vcc_lo
	v_and_b32_e32 v14, 0xfc, v14
	s_delay_alu instid0(VALU_DEP_2) | instskip(NEXT) | instid1(VALU_DEP_2)
	v_cmp_eq_u64_e32 vcc_lo, 0, v[24:25]
	v_and_or_b32 v14, v24, 3, v14
	s_and_b32 s11, s11, vcc_lo
	s_delay_alu instid0(VALU_DEP_1) | instid1(SALU_CYCLE_1)
	v_cndmask_b32_e64 v14, v14, 0, s11
	s_delay_alu instid0(VALU_DEP_1)
	v_or_b32_e32 v97, v14, v2
.LBB4_11804:                            ;   in Loop: Header=BB4_11716 Depth=2
	s_or_b32 exec_lo, exec_lo, s41
                                        ; implicit-def: $vgpr2
.LBB4_11805:                            ;   in Loop: Header=BB4_11716 Depth=2
	s_and_not1_saveexec_b32 s11, s40
; %bb.11806:                            ;   in Loop: Header=BB4_11716 Depth=2
	v_or_b32_e32 v97, 0x7b, v2
; %bb.11807:                            ;   in Loop: Header=BB4_11716 Depth=2
	s_or_b32 exec_lo, exec_lo, s11
                                        ; implicit-def: $vgpr30
                                        ; implicit-def: $vgpr2
.LBB4_11808:                            ;   in Loop: Header=BB4_11716 Depth=2
	s_and_not1_saveexec_b32 s11, s29
	s_cbranch_execz .LBB4_11814
; %bb.11809:                            ;   in Loop: Header=BB4_11716 Depth=2
	s_mov_b32 s29, exec_lo
                                        ; implicit-def: $vgpr97
	v_cmpx_ne_u64_e32 0, v[14:15]
	s_xor_b32 s29, exec_lo, s29
; %bb.11810:                            ;   in Loop: Header=BB4_11716 Depth=2
	v_or_b32_e32 v97, 0x7f, v2
                                        ; implicit-def: $vgpr30
; %bb.11811:                            ;   in Loop: Header=BB4_11716 Depth=2
	s_and_not1_saveexec_b32 s29, s29
; %bb.11812:                            ;   in Loop: Header=BB4_11716 Depth=2
	v_cmp_lt_i32_e32 vcc_lo, -1, v30
	v_cndmask_b32_e32 v97, 0xfc, v101, vcc_lo
; %bb.11813:                            ;   in Loop: Header=BB4_11716 Depth=2
	s_or_b32 exec_lo, exec_lo, s29
.LBB4_11814:                            ;   in Loop: Header=BB4_11716 Depth=2
	s_delay_alu instid0(SALU_CYCLE_1)
	s_or_b32 exec_lo, exec_lo, s11
	v_mov_b32_e32 v2, 0
	s_mov_b32 s11, exec_lo
	v_cmpx_lt_u32_e32 0xffffff, v10
	s_cbranch_execz .LBB4_11824
; %bb.11815:                            ;   in Loop: Header=BB4_11716 Depth=2
	v_lshrrev_b32_e32 v14, 24, v10
	v_bfrev_b32_e32 v2, 1
	s_mov_b32 s29, exec_lo
	s_delay_alu instid0(VALU_DEP_2)
	v_cmpx_ne_u32_e32 0x80, v14
	s_cbranch_execz .LBB4_11823
; %bb.11816:                            ;   in Loop: Header=BB4_11716 Depth=2
	v_and_b32_e32 v2, 0x7c000000, v10
	v_bfe_u32 v20, v10, 24, 2
	s_delay_alu instid0(VALU_DEP_2) | instskip(SKIP_1) | instid1(SALU_CYCLE_1)
	v_cmp_ne_u32_e32 vcc_lo, 0x7c000000, v2
                                        ; implicit-def: $vgpr2
	s_and_saveexec_b32 s40, vcc_lo
	s_xor_b32 s40, exec_lo, s40
	s_cbranch_execz .LBB4_11820
; %bb.11817:                            ;   in Loop: Header=BB4_11716 Depth=2
	v_bfe_u32 v2, v10, 26, 5
	s_mov_b32 s41, exec_lo
	s_delay_alu instid0(VALU_DEP_1)
	v_cmpx_eq_u32_e32 0, v2
; %bb.11818:                            ;   in Loop: Header=BB4_11716 Depth=2
	v_clz_i32_u32_e32 v2, v20
	s_delay_alu instid0(VALU_DEP_1) | instskip(NEXT) | instid1(VALU_DEP_1)
	v_min_u32_e32 v2, 32, v2
	v_subrev_nc_u32_e32 v20, 29, v2
	s_delay_alu instid0(VALU_DEP_1) | instskip(NEXT) | instid1(VALU_DEP_1)
	v_lshlrev_b64_e32 v[20:21], v20, v[14:15]
	v_dual_sub_nc_u32 v2, 30, v2 :: v_dual_bitop2_b32 v20, 3, v20 bitop3:0x40
; %bb.11819:                            ;   in Loop: Header=BB4_11716 Depth=2
	s_or_b32 exec_lo, exec_lo, s41
	v_and_b32_e32 v14, 0x80000000, v10
	s_delay_alu instid0(VALU_DEP_1) | instskip(NEXT) | instid1(VALU_DEP_1)
	v_lshl_add_u32 v2, v2, 23, v14
	v_lshl_or_b32 v2, v20, 21, v2
                                        ; implicit-def: $vgpr20
	s_delay_alu instid0(VALU_DEP_1)
	v_add_nc_u32_e32 v2, 0x38000000, v2
.LBB4_11820:                            ;   in Loop: Header=BB4_11716 Depth=2
	s_and_not1_saveexec_b32 s40, s40
; %bb.11821:                            ;   in Loop: Header=BB4_11716 Depth=2
	v_cmp_lt_i32_e32 vcc_lo, -1, v10
	v_cndmask_b32_e32 v2, 0xff800000, v100, vcc_lo
	v_cmp_eq_u32_e32 vcc_lo, 0, v20
	s_delay_alu instid0(VALU_DEP_2)
	v_cndmask_b32_e32 v2, 0x7f800001, v2, vcc_lo
; %bb.11822:                            ;   in Loop: Header=BB4_11716 Depth=2
	s_or_b32 exec_lo, exec_lo, s40
.LBB4_11823:                            ;   in Loop: Header=BB4_11716 Depth=2
	s_delay_alu instid0(SALU_CYCLE_1)
	s_or_b32 exec_lo, exec_lo, s29
.LBB4_11824:                            ;   in Loop: Header=BB4_11716 Depth=2
	s_delay_alu instid0(SALU_CYCLE_1) | instskip(NEXT) | instid1(VALU_DEP_1)
	s_or_b32 exec_lo, exec_lo, s11
	v_dual_mul_f32 v30, s28, v2 :: v_dual_mov_b32 v21, v15
                                        ; implicit-def: $vgpr102
	s_mov_b32 s11, exec_lo
	s_delay_alu instid0(VALU_DEP_1) | instskip(SKIP_2) | instid1(VALU_DEP_3)
	v_and_b32_e32 v20, 0x7f800000, v30
	v_and_b32_e32 v14, 0x7fffff, v30
	v_lshrrev_b32_e32 v2, 24, v30
	v_cmpx_ne_u64_e32 0x7f800000, v[20:21]
	s_xor_b32 s29, exec_lo, s11
	s_cbranch_execz .LBB4_11838
; %bb.11825:                            ;   in Loop: Header=BB4_11716 Depth=2
	v_and_b32_e32 v20, 0x7fffffff, v30
	v_mov_b32_e32 v21, v15
	v_and_b32_e32 v2, 0x80, v2
                                        ; implicit-def: $vgpr102
	s_mov_b32 s11, exec_lo
	s_delay_alu instid0(VALU_DEP_2)
	v_cmpx_gt_u64_e32 0x47600001, v[20:21]
	s_xor_b32 s40, exec_lo, s11
	s_cbranch_execz .LBB4_11835
; %bb.11826:                            ;   in Loop: Header=BB4_11716 Depth=2
	v_mov_b32_e32 v102, 0
	s_mov_b32 s41, exec_lo
	v_cmpx_ne_u32_e32 0, v30
	s_cbranch_execz .LBB4_11834
; %bb.11827:                            ;   in Loop: Header=BB4_11716 Depth=2
	v_bfe_u32 v20, v30, 23, 8
	v_or_b32_e32 v30, 0x800000, v14
	v_mov_b32_e32 v83, v15
	s_delay_alu instid0(VALU_DEP_3) | instskip(SKIP_1) | instid1(VALU_DEP_2)
	v_sub_nc_u32_e32 v21, 0x71, v20
	v_cmp_gt_u32_e32 vcc_lo, 0x72, v20
	v_cndmask_b32_e32 v21, 0, v21, vcc_lo
	v_cmp_eq_u32_e32 vcc_lo, 0, v20
	s_delay_alu instid0(VALU_DEP_2) | instskip(NEXT) | instid1(VALU_DEP_1)
	v_cndmask_b32_e64 v21, v21, 0x70, vcc_lo
	v_dual_cndmask_b32 v82, v30, v14, vcc_lo :: v_dual_add_nc_u32 v24, 21, v21
	v_add_nc_u32_e32 v84, 20, v21
	s_delay_alu instid0(VALU_DEP_2) | instskip(NEXT) | instid1(VALU_DEP_2)
	v_lshlrev_b64_e64 v[24:25], v24, -1
	v_lshlrev_b64_e64 v[84:85], v84, 1
	s_delay_alu instid0(VALU_DEP_2) | instskip(SKIP_1) | instid1(VALU_DEP_4)
	v_bfi_b32 v24, v24, 0, v82
	v_lshrrev_b64 v[82:83], v21, v[82:83]
	v_bfi_b32 v25, v25, 0, 0
	s_delay_alu instid0(VALU_DEP_1) | instskip(NEXT) | instid1(VALU_DEP_3)
	v_cmp_eq_u64_e64 s11, v[24:25], v[84:85]
	v_mov_b64_e32 v[84:85], v[82:83]
	s_and_saveexec_b32 s42, s11
; %bb.11828:                            ;   in Loop: Header=BB4_11716 Depth=2
	v_bfe_u32 v24, v82, 21, 1
	v_mov_b32_e32 v25, v15
	s_delay_alu instid0(VALU_DEP_1) | instskip(NEXT) | instid1(VALU_DEP_1)
	v_add_nc_u64_e32 v[24:25], v[82:83], v[24:25]
	v_add_nc_u64_e32 v[84:85], -1, v[24:25]
; %bb.11829:                            ;   in Loop: Header=BB4_11716 Depth=2
	s_or_b32 exec_lo, exec_lo, s42
	v_add_nc_u32_e32 v14, 0xffffff81, v20
	v_lshrrev_b32_e32 v20, 23, v82
	s_mov_b32 s11, exec_lo
	s_delay_alu instid0(VALU_DEP_2) | instskip(NEXT) | instid1(VALU_DEP_1)
	v_cndmask_b32_e64 v14, v14, 0xffffff82, vcc_lo
	v_add3_u32 v21, v21, v14, v20
	v_and_b32_e32 v14, 0x1fffff, v84
                                        ; implicit-def: $vgpr20
	s_delay_alu instid0(VALU_DEP_1) | instskip(NEXT) | instid1(VALU_DEP_1)
	v_dual_add_nc_u32 v30, 14, v21 :: v_dual_add_nc_u32 v14, v14, v82
                                        ; implicit-def: $vgpr82_vgpr83
	v_cmpx_ne_u32_e32 0, v30
	s_xor_b32 s11, exec_lo, s11
; %bb.11830:                            ;   in Loop: Header=BB4_11716 Depth=2
	s_delay_alu instid0(VALU_DEP_2) | instskip(SKIP_2) | instid1(VALU_DEP_2)
	v_cmp_lt_u64_e32 vcc_lo, 0xffffff, v[14:15]
	v_add_nc_u32_e32 v20, 15, v21
	v_cndmask_b32_e64 v21, 0, 1, vcc_lo
	v_cndmask_b32_e32 v20, v30, v20, vcc_lo
	s_delay_alu instid0(VALU_DEP_2)
	v_lshrrev_b64 v[82:83], v21, v[14:15]
; %bb.11831:                            ;   in Loop: Header=BB4_11716 Depth=2
	s_and_not1_saveexec_b32 s11, s11
; %bb.11832:                            ;   in Loop: Header=BB4_11716 Depth=2
	v_mov_b64_e32 v[82:83], v[14:15]
	v_bfe_u32 v20, v14, 23, 1
; %bb.11833:                            ;   in Loop: Header=BB4_11716 Depth=2
	s_or_b32 exec_lo, exec_lo, s11
	s_delay_alu instid0(VALU_DEP_2) | instskip(NEXT) | instid1(VALU_DEP_2)
	v_lshrrev_b64 v[24:25], 21, v[82:83]
	v_cmp_gt_i32_e32 vcc_lo, 32, v20
	v_min_i32_e32 v14, 31, v20
	v_cmp_eq_u32_e64 s11, 0, v20
	s_delay_alu instid0(VALU_DEP_2) | instskip(SKIP_1) | instid1(VALU_DEP_2)
	v_dual_cndmask_b32 v25, 0, v25 :: v_dual_lshlrev_b32 v14, 2, v14
	v_cndmask_b32_e32 v24, 3, v24, vcc_lo
	v_and_b32_e32 v14, 0xfc, v14
	s_delay_alu instid0(VALU_DEP_2) | instskip(NEXT) | instid1(VALU_DEP_2)
	v_cmp_eq_u64_e32 vcc_lo, 0, v[24:25]
	v_and_or_b32 v14, v24, 3, v14
	s_and_b32 s11, s11, vcc_lo
	s_delay_alu instid0(VALU_DEP_1) | instid1(SALU_CYCLE_1)
	v_cndmask_b32_e64 v14, v14, 0, s11
	s_delay_alu instid0(VALU_DEP_1)
	v_or_b32_e32 v102, v14, v2
.LBB4_11834:                            ;   in Loop: Header=BB4_11716 Depth=2
	s_or_b32 exec_lo, exec_lo, s41
                                        ; implicit-def: $vgpr2
.LBB4_11835:                            ;   in Loop: Header=BB4_11716 Depth=2
	s_and_not1_saveexec_b32 s11, s40
; %bb.11836:                            ;   in Loop: Header=BB4_11716 Depth=2
	v_or_b32_e32 v102, 0x7b, v2
; %bb.11837:                            ;   in Loop: Header=BB4_11716 Depth=2
	s_or_b32 exec_lo, exec_lo, s11
                                        ; implicit-def: $vgpr30
                                        ; implicit-def: $vgpr2
.LBB4_11838:                            ;   in Loop: Header=BB4_11716 Depth=2
	s_and_not1_saveexec_b32 s11, s29
	s_cbranch_execz .LBB4_11844
; %bb.11839:                            ;   in Loop: Header=BB4_11716 Depth=2
	s_mov_b32 s29, exec_lo
                                        ; implicit-def: $vgpr102
	v_cmpx_ne_u64_e32 0, v[14:15]
	s_xor_b32 s29, exec_lo, s29
; %bb.11840:                            ;   in Loop: Header=BB4_11716 Depth=2
	v_or_b32_e32 v102, 0x7f, v2
                                        ; implicit-def: $vgpr30
; %bb.11841:                            ;   in Loop: Header=BB4_11716 Depth=2
	s_and_not1_saveexec_b32 s29, s29
; %bb.11842:                            ;   in Loop: Header=BB4_11716 Depth=2
	v_cmp_lt_i32_e32 vcc_lo, -1, v30
	v_cndmask_b32_e32 v102, 0xfc, v101, vcc_lo
; %bb.11843:                            ;   in Loop: Header=BB4_11716 Depth=2
	s_or_b32 exec_lo, exec_lo, s29
.LBB4_11844:                            ;   in Loop: Header=BB4_11716 Depth=2
	s_delay_alu instid0(SALU_CYCLE_1) | instskip(SKIP_3) | instid1(VALU_DEP_2)
	s_or_b32 exec_lo, exec_lo, s11
	v_and_b32_e32 v20, 0xff, v11
	v_dual_mov_b32 v14, v11 :: v_dual_mov_b32 v2, 0
	s_mov_b32 s11, exec_lo
	v_cmpx_ne_u16_e32 0, v20
	s_cbranch_execz .LBB4_11854
; %bb.11845:                            ;   in Loop: Header=BB4_11716 Depth=2
	v_bfrev_b32_e32 v2, 1
	s_mov_b32 s29, exec_lo
	v_cmpx_ne_u16_e32 0x80, v20
	s_cbranch_execz .LBB4_11853
; %bb.11846:                            ;   in Loop: Header=BB4_11716 Depth=2
	v_and_b32_e32 v2, 0x7c, v11
	v_and_b32_e32 v20, 3, v11
	s_delay_alu instid0(VALU_DEP_2) | instskip(SKIP_1) | instid1(SALU_CYCLE_1)
	v_cmp_ne_u32_e32 vcc_lo, 0x7c, v2
                                        ; implicit-def: $vgpr2
	s_and_saveexec_b32 s40, vcc_lo
	s_xor_b32 s40, exec_lo, s40
	s_cbranch_execz .LBB4_11850
; %bb.11847:                            ;   in Loop: Header=BB4_11716 Depth=2
	v_bfe_u32 v2, v11, 2, 5
	s_mov_b32 s41, exec_lo
	s_delay_alu instid0(VALU_DEP_1)
	v_cmpx_eq_u32_e32 0, v2
; %bb.11848:                            ;   in Loop: Header=BB4_11716 Depth=2
	v_clz_i32_u32_e32 v2, v20
	s_delay_alu instid0(VALU_DEP_1) | instskip(NEXT) | instid1(VALU_DEP_1)
	v_min_u32_e32 v2, 32, v2
	v_subrev_nc_u32_e32 v20, 29, v2
	s_delay_alu instid0(VALU_DEP_1) | instskip(NEXT) | instid1(VALU_DEP_1)
	v_lshlrev_b64_e32 v[20:21], v20, v[14:15]
	v_dual_sub_nc_u32 v2, 30, v2 :: v_dual_bitop2_b32 v20, 3, v20 bitop3:0x40
; %bb.11849:                            ;   in Loop: Header=BB4_11716 Depth=2
	s_or_b32 exec_lo, exec_lo, s41
	v_lshlrev_b32_e32 v21, 24, v11
	s_delay_alu instid0(VALU_DEP_1) | instskip(NEXT) | instid1(VALU_DEP_1)
	v_and_b32_e32 v21, 0x80000000, v21
	v_lshl_add_u32 v2, v2, 23, v21
	s_delay_alu instid0(VALU_DEP_1) | instskip(NEXT) | instid1(VALU_DEP_1)
	v_lshl_or_b32 v2, v20, 21, v2
                                        ; implicit-def: $vgpr20
	v_add_nc_u32_e32 v2, 0x38000000, v2
.LBB4_11850:                            ;   in Loop: Header=BB4_11716 Depth=2
	s_and_not1_saveexec_b32 s40, s40
; %bb.11851:                            ;   in Loop: Header=BB4_11716 Depth=2
	v_bfe_i32 v2, v11, 0, 8
	s_delay_alu instid0(VALU_DEP_1) | instskip(SKIP_2) | instid1(VALU_DEP_2)
	v_cmp_lt_i16_e32 vcc_lo, -1, v2
	v_cndmask_b32_e32 v2, 0xff800000, v100, vcc_lo
	v_cmp_eq_u32_e32 vcc_lo, 0, v20
	v_cndmask_b32_e32 v2, 0x7f800001, v2, vcc_lo
; %bb.11852:                            ;   in Loop: Header=BB4_11716 Depth=2
	s_or_b32 exec_lo, exec_lo, s40
.LBB4_11853:                            ;   in Loop: Header=BB4_11716 Depth=2
	s_delay_alu instid0(SALU_CYCLE_1)
	s_or_b32 exec_lo, exec_lo, s29
.LBB4_11854:                            ;   in Loop: Header=BB4_11716 Depth=2
	s_delay_alu instid0(SALU_CYCLE_1) | instskip(NEXT) | instid1(VALU_DEP_1)
	s_or_b32 exec_lo, exec_lo, s11
	v_dual_mul_f32 v30, s28, v2 :: v_dual_mov_b32 v21, v15
	v_mov_b32_e32 v83, v15
                                        ; implicit-def: $vgpr103
	s_mov_b32 s11, exec_lo
	s_delay_alu instid0(VALU_DEP_2) | instskip(SKIP_2) | instid1(VALU_DEP_3)
	v_and_b32_e32 v20, 0x7f800000, v30
	v_and_b32_e32 v82, 0x7fffff, v30
	v_lshrrev_b32_e32 v2, 24, v30
	v_cmpx_ne_u64_e32 0x7f800000, v[20:21]
	s_xor_b32 s29, exec_lo, s11
	s_cbranch_execz .LBB4_11868
; %bb.11855:                            ;   in Loop: Header=BB4_11716 Depth=2
	v_and_b32_e32 v20, 0x7fffffff, v30
	v_mov_b32_e32 v21, v15
	v_and_b32_e32 v2, 0x80, v2
                                        ; implicit-def: $vgpr103
	s_mov_b32 s11, exec_lo
	s_delay_alu instid0(VALU_DEP_2)
	v_cmpx_gt_u64_e32 0x47600001, v[20:21]
	s_xor_b32 s40, exec_lo, s11
	s_cbranch_execz .LBB4_11865
; %bb.11856:                            ;   in Loop: Header=BB4_11716 Depth=2
	v_mov_b32_e32 v103, 0
	s_mov_b32 s41, exec_lo
	v_cmpx_ne_u32_e32 0, v30
	s_cbranch_execz .LBB4_11864
; %bb.11857:                            ;   in Loop: Header=BB4_11716 Depth=2
	v_bfe_u32 v20, v30, 23, 8
	v_or_b32_e32 v30, 0x800000, v82
	s_delay_alu instid0(VALU_DEP_2) | instskip(SKIP_1) | instid1(VALU_DEP_2)
	v_sub_nc_u32_e32 v21, 0x71, v20
	v_cmp_gt_u32_e32 vcc_lo, 0x72, v20
	v_cndmask_b32_e32 v21, 0, v21, vcc_lo
	v_cmp_eq_u32_e32 vcc_lo, 0, v20
	s_delay_alu instid0(VALU_DEP_2) | instskip(NEXT) | instid1(VALU_DEP_1)
	v_cndmask_b32_e64 v21, v21, 0x70, vcc_lo
	v_dual_cndmask_b32 v82, v30, v82, vcc_lo :: v_dual_add_nc_u32 v24, 21, v21
	v_add_nc_u32_e32 v84, 20, v21
	s_delay_alu instid0(VALU_DEP_2) | instskip(NEXT) | instid1(VALU_DEP_2)
	v_lshlrev_b64_e64 v[24:25], v24, -1
	v_lshlrev_b64_e64 v[84:85], v84, 1
	s_delay_alu instid0(VALU_DEP_2) | instskip(SKIP_1) | instid1(VALU_DEP_4)
	v_bfi_b32 v24, v24, 0, v82
	v_lshrrev_b64 v[82:83], v21, v[82:83]
	v_bfi_b32 v25, v25, 0, 0
	s_delay_alu instid0(VALU_DEP_1) | instskip(NEXT) | instid1(VALU_DEP_3)
	v_cmp_eq_u64_e64 s11, v[24:25], v[84:85]
	v_mov_b64_e32 v[84:85], v[82:83]
	s_and_saveexec_b32 s42, s11
; %bb.11858:                            ;   in Loop: Header=BB4_11716 Depth=2
	v_bfe_u32 v24, v82, 21, 1
	v_mov_b32_e32 v25, v15
	s_delay_alu instid0(VALU_DEP_1) | instskip(NEXT) | instid1(VALU_DEP_1)
	v_add_nc_u64_e32 v[24:25], v[82:83], v[24:25]
	v_add_nc_u64_e32 v[84:85], -1, v[24:25]
; %bb.11859:                            ;   in Loop: Header=BB4_11716 Depth=2
	s_or_b32 exec_lo, exec_lo, s42
	v_dual_mov_b32 v83, v15 :: v_dual_add_nc_u32 v20, 0xffffff81, v20
	v_lshrrev_b32_e32 v24, 23, v82
	s_mov_b32 s11, exec_lo
	s_delay_alu instid0(VALU_DEP_2) | instskip(NEXT) | instid1(VALU_DEP_1)
	v_cndmask_b32_e64 v20, v20, 0xffffff82, vcc_lo
	v_add3_u32 v21, v21, v20, v24
	v_and_b32_e32 v20, 0x1fffff, v84
	s_delay_alu instid0(VALU_DEP_1) | instskip(NEXT) | instid1(VALU_DEP_1)
	v_dual_add_nc_u32 v30, 14, v21 :: v_dual_add_nc_u32 v82, v20, v82
                                        ; implicit-def: $vgpr20
	v_cmpx_ne_u32_e32 0, v30
	s_xor_b32 s11, exec_lo, s11
; %bb.11860:                            ;   in Loop: Header=BB4_11716 Depth=2
	s_delay_alu instid0(VALU_DEP_2) | instskip(SKIP_2) | instid1(VALU_DEP_2)
	v_cmp_lt_u64_e32 vcc_lo, 0xffffff, v[82:83]
	v_add_nc_u32_e32 v20, 15, v21
	v_cndmask_b32_e64 v21, 0, 1, vcc_lo
	v_cndmask_b32_e32 v20, v30, v20, vcc_lo
	s_delay_alu instid0(VALU_DEP_2)
	v_lshrrev_b64 v[82:83], v21, v[82:83]
; %bb.11861:                            ;   in Loop: Header=BB4_11716 Depth=2
	s_and_not1_saveexec_b32 s11, s11
; %bb.11862:                            ;   in Loop: Header=BB4_11716 Depth=2
	s_delay_alu instid0(VALU_DEP_1)
	v_bfe_u32 v20, v82, 23, 1
; %bb.11863:                            ;   in Loop: Header=BB4_11716 Depth=2
	s_or_b32 exec_lo, exec_lo, s11
	s_delay_alu instid0(VALU_DEP_2) | instskip(NEXT) | instid1(VALU_DEP_2)
	v_lshrrev_b64 v[24:25], 21, v[82:83]
	v_cmp_gt_i32_e32 vcc_lo, 32, v20
	v_min_i32_e32 v21, 31, v20
	v_cmp_eq_u32_e64 s11, 0, v20
	s_delay_alu instid0(VALU_DEP_4) | instskip(NEXT) | instid1(VALU_DEP_3)
	v_cndmask_b32_e32 v25, 0, v25, vcc_lo
	v_dual_cndmask_b32 v24, 3, v24 :: v_dual_lshlrev_b32 v21, 2, v21
	s_delay_alu instid0(VALU_DEP_1) | instskip(NEXT) | instid1(VALU_DEP_2)
	v_and_b32_e32 v21, 0xfc, v21
	v_cmp_eq_u64_e32 vcc_lo, 0, v[24:25]
	s_delay_alu instid0(VALU_DEP_2)
	v_and_or_b32 v20, v24, 3, v21
	s_and_b32 s11, s11, vcc_lo
	s_delay_alu instid0(VALU_DEP_1) | instid1(SALU_CYCLE_1)
	v_cndmask_b32_e64 v20, v20, 0, s11
	s_delay_alu instid0(VALU_DEP_1)
	v_or_b32_e32 v103, v20, v2
.LBB4_11864:                            ;   in Loop: Header=BB4_11716 Depth=2
	s_or_b32 exec_lo, exec_lo, s41
                                        ; implicit-def: $vgpr2
.LBB4_11865:                            ;   in Loop: Header=BB4_11716 Depth=2
	s_and_not1_saveexec_b32 s11, s40
; %bb.11866:                            ;   in Loop: Header=BB4_11716 Depth=2
	v_or_b32_e32 v103, 0x7b, v2
; %bb.11867:                            ;   in Loop: Header=BB4_11716 Depth=2
	s_or_b32 exec_lo, exec_lo, s11
                                        ; implicit-def: $vgpr30
                                        ; implicit-def: $vgpr82_vgpr83
                                        ; implicit-def: $vgpr2
.LBB4_11868:                            ;   in Loop: Header=BB4_11716 Depth=2
	s_and_not1_saveexec_b32 s11, s29
	s_cbranch_execz .LBB4_11874
; %bb.11869:                            ;   in Loop: Header=BB4_11716 Depth=2
	s_mov_b32 s29, exec_lo
                                        ; implicit-def: $vgpr103
	v_cmpx_ne_u64_e32 0, v[82:83]
	s_xor_b32 s29, exec_lo, s29
; %bb.11870:                            ;   in Loop: Header=BB4_11716 Depth=2
	v_or_b32_e32 v103, 0x7f, v2
                                        ; implicit-def: $vgpr30
; %bb.11871:                            ;   in Loop: Header=BB4_11716 Depth=2
	s_and_not1_saveexec_b32 s29, s29
; %bb.11872:                            ;   in Loop: Header=BB4_11716 Depth=2
	v_cmp_lt_i32_e32 vcc_lo, -1, v30
	v_cndmask_b32_e32 v103, 0xfc, v101, vcc_lo
; %bb.11873:                            ;   in Loop: Header=BB4_11716 Depth=2
	s_or_b32 exec_lo, exec_lo, s29
.LBB4_11874:                            ;   in Loop: Header=BB4_11716 Depth=2
	s_delay_alu instid0(SALU_CYCLE_1) | instskip(SKIP_3) | instid1(VALU_DEP_2)
	s_or_b32 exec_lo, exec_lo, s11
	v_lshrrev_b16 v82, 8, v14
	v_mov_b32_e32 v20, 0
	s_mov_b32 s11, exec_lo
	v_cmpx_ne_u16_e32 0, v82
	s_cbranch_execz .LBB4_11884
; %bb.11875:                            ;   in Loop: Header=BB4_11716 Depth=2
	v_bfrev_b32_e32 v20, 1
	s_mov_b32 s29, exec_lo
	v_cmpx_ne_u16_e32 0x80, v82
	s_cbranch_execz .LBB4_11883
; %bb.11876:                            ;   in Loop: Header=BB4_11716 Depth=2
	v_and_b32_e32 v21, 0xffff, v82
	s_delay_alu instid0(VALU_DEP_1) | instskip(SKIP_1) | instid1(VALU_DEP_2)
	v_and_b32_e32 v20, 0x7c, v21
	v_and_b32_e32 v2, 3, v21
	v_cmp_ne_u32_e32 vcc_lo, 0x7c, v20
                                        ; implicit-def: $vgpr20
	s_and_saveexec_b32 s40, vcc_lo
	s_delay_alu instid0(SALU_CYCLE_1)
	s_xor_b32 s40, exec_lo, s40
	s_cbranch_execz .LBB4_11880
; %bb.11877:                            ;   in Loop: Header=BB4_11716 Depth=2
	v_bfe_u32 v20, v21, 2, 5
	s_mov_b32 s41, exec_lo
	s_delay_alu instid0(VALU_DEP_1)
	v_cmpx_eq_u32_e32 0, v20
; %bb.11878:                            ;   in Loop: Header=BB4_11716 Depth=2
	v_clz_i32_u32_e32 v2, v2
	s_delay_alu instid0(VALU_DEP_1) | instskip(SKIP_1) | instid1(VALU_DEP_2)
	v_min_u32_e32 v2, 32, v2
	v_mov_b32_e32 v83, v15
	v_subrev_nc_u32_e32 v20, 29, v2
	s_delay_alu instid0(VALU_DEP_1) | instskip(NEXT) | instid1(VALU_DEP_1)
	v_lshlrev_b64_e32 v[24:25], v20, v[82:83]
	v_dual_sub_nc_u32 v20, 30, v2 :: v_dual_bitop2_b32 v2, 3, v24 bitop3:0x40
; %bb.11879:                            ;   in Loop: Header=BB4_11716 Depth=2
	s_or_b32 exec_lo, exec_lo, s41
	v_lshlrev_b32_e32 v14, 16, v14
	s_delay_alu instid0(VALU_DEP_1) | instskip(NEXT) | instid1(VALU_DEP_1)
	v_and_b32_e32 v14, 0x80000000, v14
	v_lshl_add_u32 v14, v20, 23, v14
	s_delay_alu instid0(VALU_DEP_1) | instskip(NEXT) | instid1(VALU_DEP_1)
	v_lshl_or_b32 v2, v2, 21, v14
	v_add_nc_u32_e32 v20, 0x38000000, v2
                                        ; implicit-def: $vgpr2
.LBB4_11880:                            ;   in Loop: Header=BB4_11716 Depth=2
	s_and_not1_saveexec_b32 s40, s40
; %bb.11881:                            ;   in Loop: Header=BB4_11716 Depth=2
	v_cmp_lt_i16_e32 vcc_lo, -1, v14
	v_cndmask_b32_e32 v14, 0xff800000, v100, vcc_lo
	v_cmp_eq_u32_e32 vcc_lo, 0, v2
	s_delay_alu instid0(VALU_DEP_2)
	v_cndmask_b32_e32 v20, 0x7f800001, v14, vcc_lo
; %bb.11882:                            ;   in Loop: Header=BB4_11716 Depth=2
	s_or_b32 exec_lo, exec_lo, s40
.LBB4_11883:                            ;   in Loop: Header=BB4_11716 Depth=2
	s_delay_alu instid0(SALU_CYCLE_1)
	s_or_b32 exec_lo, exec_lo, s29
.LBB4_11884:                            ;   in Loop: Header=BB4_11716 Depth=2
	s_delay_alu instid0(SALU_CYCLE_1) | instskip(NEXT) | instid1(VALU_DEP_1)
	s_or_b32 exec_lo, exec_lo, s11
	v_dual_mul_f32 v30, s28, v20 :: v_dual_mov_b32 v21, v15
                                        ; implicit-def: $vgpr112
	s_mov_b32 s11, exec_lo
	s_delay_alu instid0(VALU_DEP_1) | instskip(SKIP_2) | instid1(VALU_DEP_3)
	v_and_b32_e32 v20, 0x7f800000, v30
	v_and_b32_e32 v14, 0x7fffff, v30
	v_lshrrev_b32_e32 v2, 24, v30
	v_cmpx_ne_u64_e32 0x7f800000, v[20:21]
	s_xor_b32 s29, exec_lo, s11
	s_cbranch_execz .LBB4_11898
; %bb.11885:                            ;   in Loop: Header=BB4_11716 Depth=2
	v_and_b32_e32 v20, 0x7fffffff, v30
	v_mov_b32_e32 v21, v15
	v_and_b32_e32 v2, 0x80, v2
                                        ; implicit-def: $vgpr112
	s_mov_b32 s11, exec_lo
	s_delay_alu instid0(VALU_DEP_2)
	v_cmpx_gt_u64_e32 0x47600001, v[20:21]
	s_xor_b32 s40, exec_lo, s11
	s_cbranch_execz .LBB4_11895
; %bb.11886:                            ;   in Loop: Header=BB4_11716 Depth=2
	v_mov_b32_e32 v112, 0
	s_mov_b32 s41, exec_lo
	v_cmpx_ne_u32_e32 0, v30
	s_cbranch_execz .LBB4_11894
; %bb.11887:                            ;   in Loop: Header=BB4_11716 Depth=2
	v_bfe_u32 v20, v30, 23, 8
	v_or_b32_e32 v30, 0x800000, v14
	v_mov_b32_e32 v83, v15
	s_delay_alu instid0(VALU_DEP_3) | instskip(SKIP_1) | instid1(VALU_DEP_2)
	v_sub_nc_u32_e32 v21, 0x71, v20
	v_cmp_gt_u32_e32 vcc_lo, 0x72, v20
	v_cndmask_b32_e32 v21, 0, v21, vcc_lo
	v_cmp_eq_u32_e32 vcc_lo, 0, v20
	s_delay_alu instid0(VALU_DEP_2) | instskip(NEXT) | instid1(VALU_DEP_1)
	v_cndmask_b32_e64 v21, v21, 0x70, vcc_lo
	v_dual_cndmask_b32 v82, v30, v14, vcc_lo :: v_dual_add_nc_u32 v24, 21, v21
	v_add_nc_u32_e32 v84, 20, v21
	s_delay_alu instid0(VALU_DEP_2) | instskip(NEXT) | instid1(VALU_DEP_2)
	v_lshlrev_b64_e64 v[24:25], v24, -1
	v_lshlrev_b64_e64 v[84:85], v84, 1
	s_delay_alu instid0(VALU_DEP_2) | instskip(SKIP_1) | instid1(VALU_DEP_4)
	v_bfi_b32 v24, v24, 0, v82
	v_lshrrev_b64 v[82:83], v21, v[82:83]
	v_bfi_b32 v25, v25, 0, 0
	s_delay_alu instid0(VALU_DEP_1) | instskip(NEXT) | instid1(VALU_DEP_3)
	v_cmp_eq_u64_e64 s11, v[24:25], v[84:85]
	v_mov_b64_e32 v[84:85], v[82:83]
	s_and_saveexec_b32 s42, s11
; %bb.11888:                            ;   in Loop: Header=BB4_11716 Depth=2
	v_bfe_u32 v24, v82, 21, 1
	v_mov_b32_e32 v25, v15
	s_delay_alu instid0(VALU_DEP_1) | instskip(NEXT) | instid1(VALU_DEP_1)
	v_add_nc_u64_e32 v[24:25], v[82:83], v[24:25]
	v_add_nc_u64_e32 v[84:85], -1, v[24:25]
; %bb.11889:                            ;   in Loop: Header=BB4_11716 Depth=2
	s_or_b32 exec_lo, exec_lo, s42
	v_add_nc_u32_e32 v14, 0xffffff81, v20
	v_lshrrev_b32_e32 v20, 23, v82
	s_mov_b32 s11, exec_lo
	s_delay_alu instid0(VALU_DEP_2) | instskip(NEXT) | instid1(VALU_DEP_1)
	v_cndmask_b32_e64 v14, v14, 0xffffff82, vcc_lo
	v_add3_u32 v21, v21, v14, v20
	v_and_b32_e32 v14, 0x1fffff, v84
                                        ; implicit-def: $vgpr20
	s_delay_alu instid0(VALU_DEP_1) | instskip(NEXT) | instid1(VALU_DEP_1)
	v_dual_add_nc_u32 v30, 14, v21 :: v_dual_add_nc_u32 v14, v14, v82
                                        ; implicit-def: $vgpr82_vgpr83
	v_cmpx_ne_u32_e32 0, v30
	s_xor_b32 s11, exec_lo, s11
; %bb.11890:                            ;   in Loop: Header=BB4_11716 Depth=2
	s_delay_alu instid0(VALU_DEP_2) | instskip(SKIP_2) | instid1(VALU_DEP_2)
	v_cmp_lt_u64_e32 vcc_lo, 0xffffff, v[14:15]
	v_add_nc_u32_e32 v20, 15, v21
	v_cndmask_b32_e64 v21, 0, 1, vcc_lo
	v_cndmask_b32_e32 v20, v30, v20, vcc_lo
	s_delay_alu instid0(VALU_DEP_2)
	v_lshrrev_b64 v[82:83], v21, v[14:15]
; %bb.11891:                            ;   in Loop: Header=BB4_11716 Depth=2
	s_and_not1_saveexec_b32 s11, s11
; %bb.11892:                            ;   in Loop: Header=BB4_11716 Depth=2
	v_mov_b64_e32 v[82:83], v[14:15]
	v_bfe_u32 v20, v14, 23, 1
; %bb.11893:                            ;   in Loop: Header=BB4_11716 Depth=2
	s_or_b32 exec_lo, exec_lo, s11
	s_delay_alu instid0(VALU_DEP_2) | instskip(NEXT) | instid1(VALU_DEP_2)
	v_lshrrev_b64 v[24:25], 21, v[82:83]
	v_cmp_gt_i32_e32 vcc_lo, 32, v20
	v_min_i32_e32 v14, 31, v20
	v_cmp_eq_u32_e64 s11, 0, v20
	s_delay_alu instid0(VALU_DEP_2) | instskip(SKIP_1) | instid1(VALU_DEP_2)
	v_dual_cndmask_b32 v25, 0, v25 :: v_dual_lshlrev_b32 v14, 2, v14
	v_cndmask_b32_e32 v24, 3, v24, vcc_lo
	v_and_b32_e32 v14, 0xfc, v14
	s_delay_alu instid0(VALU_DEP_2) | instskip(NEXT) | instid1(VALU_DEP_2)
	v_cmp_eq_u64_e32 vcc_lo, 0, v[24:25]
	v_and_or_b32 v14, v24, 3, v14
	s_and_b32 s11, s11, vcc_lo
	s_delay_alu instid0(VALU_DEP_1) | instid1(SALU_CYCLE_1)
	v_cndmask_b32_e64 v14, v14, 0, s11
	s_delay_alu instid0(VALU_DEP_1)
	v_or_b32_e32 v112, v14, v2
.LBB4_11894:                            ;   in Loop: Header=BB4_11716 Depth=2
	s_or_b32 exec_lo, exec_lo, s41
                                        ; implicit-def: $vgpr2
.LBB4_11895:                            ;   in Loop: Header=BB4_11716 Depth=2
	s_and_not1_saveexec_b32 s11, s40
; %bb.11896:                            ;   in Loop: Header=BB4_11716 Depth=2
	v_or_b32_e32 v112, 0x7b, v2
; %bb.11897:                            ;   in Loop: Header=BB4_11716 Depth=2
	s_or_b32 exec_lo, exec_lo, s11
                                        ; implicit-def: $vgpr30
                                        ; implicit-def: $vgpr2
.LBB4_11898:                            ;   in Loop: Header=BB4_11716 Depth=2
	s_and_not1_saveexec_b32 s11, s29
	s_cbranch_execz .LBB4_11904
; %bb.11899:                            ;   in Loop: Header=BB4_11716 Depth=2
	s_mov_b32 s29, exec_lo
                                        ; implicit-def: $vgpr112
	v_cmpx_ne_u64_e32 0, v[14:15]
	s_xor_b32 s29, exec_lo, s29
; %bb.11900:                            ;   in Loop: Header=BB4_11716 Depth=2
	v_or_b32_e32 v112, 0x7f, v2
                                        ; implicit-def: $vgpr30
; %bb.11901:                            ;   in Loop: Header=BB4_11716 Depth=2
	s_and_not1_saveexec_b32 s29, s29
; %bb.11902:                            ;   in Loop: Header=BB4_11716 Depth=2
	v_cmp_lt_i32_e32 vcc_lo, -1, v30
	v_cndmask_b32_e32 v112, 0xfc, v101, vcc_lo
; %bb.11903:                            ;   in Loop: Header=BB4_11716 Depth=2
	s_or_b32 exec_lo, exec_lo, s29
.LBB4_11904:                            ;   in Loop: Header=BB4_11716 Depth=2
	s_delay_alu instid0(SALU_CYCLE_1) | instskip(SKIP_2) | instid1(VALU_DEP_1)
	s_or_b32 exec_lo, exec_lo, s11
	v_dual_lshrrev_b32 v14, 16, v11 :: v_dual_mov_b32 v2, 0
	s_mov_b32 s11, exec_lo
	v_and_b32_e32 v20, 0xff, v14
	s_delay_alu instid0(VALU_DEP_1)
	v_cmpx_ne_u16_e32 0, v20
	s_cbranch_execz .LBB4_11914
; %bb.11905:                            ;   in Loop: Header=BB4_11716 Depth=2
	v_bfrev_b32_e32 v2, 1
	s_mov_b32 s29, exec_lo
	v_cmpx_ne_u16_e32 0x80, v20
	s_cbranch_execz .LBB4_11913
; %bb.11906:                            ;   in Loop: Header=BB4_11716 Depth=2
	v_and_b32_e32 v2, 0x7c0000, v11
	v_bfe_u32 v20, v11, 16, 2
	s_delay_alu instid0(VALU_DEP_2) | instskip(SKIP_1) | instid1(SALU_CYCLE_1)
	v_cmp_ne_u32_e32 vcc_lo, 0x7c0000, v2
                                        ; implicit-def: $vgpr2
	s_and_saveexec_b32 s40, vcc_lo
	s_xor_b32 s40, exec_lo, s40
	s_cbranch_execz .LBB4_11910
; %bb.11907:                            ;   in Loop: Header=BB4_11716 Depth=2
	v_bfe_u32 v2, v11, 18, 5
	s_mov_b32 s41, exec_lo
	s_delay_alu instid0(VALU_DEP_1)
	v_cmpx_eq_u32_e32 0, v2
; %bb.11908:                            ;   in Loop: Header=BB4_11716 Depth=2
	v_clz_i32_u32_e32 v2, v20
	s_delay_alu instid0(VALU_DEP_1) | instskip(NEXT) | instid1(VALU_DEP_1)
	v_min_u32_e32 v2, 32, v2
	v_subrev_nc_u32_e32 v20, 29, v2
	s_delay_alu instid0(VALU_DEP_1) | instskip(NEXT) | instid1(VALU_DEP_1)
	v_lshlrev_b64_e32 v[20:21], v20, v[14:15]
	v_dual_sub_nc_u32 v2, 30, v2 :: v_dual_bitop2_b32 v20, 3, v20 bitop3:0x40
; %bb.11909:                            ;   in Loop: Header=BB4_11716 Depth=2
	s_or_b32 exec_lo, exec_lo, s41
	v_lshlrev_b32_e32 v14, 24, v14
	s_delay_alu instid0(VALU_DEP_1) | instskip(NEXT) | instid1(VALU_DEP_1)
	v_and_b32_e32 v14, 0x80000000, v14
	v_lshl_add_u32 v2, v2, 23, v14
                                        ; implicit-def: $vgpr14
	s_delay_alu instid0(VALU_DEP_1) | instskip(NEXT) | instid1(VALU_DEP_1)
	v_lshl_or_b32 v2, v20, 21, v2
                                        ; implicit-def: $vgpr20
	v_add_nc_u32_e32 v2, 0x38000000, v2
.LBB4_11910:                            ;   in Loop: Header=BB4_11716 Depth=2
	s_and_not1_saveexec_b32 s40, s40
; %bb.11911:                            ;   in Loop: Header=BB4_11716 Depth=2
	v_bfe_i32 v2, v14, 0, 8
	s_delay_alu instid0(VALU_DEP_1) | instskip(SKIP_2) | instid1(VALU_DEP_2)
	v_cmp_lt_i16_e32 vcc_lo, -1, v2
	v_cndmask_b32_e32 v2, 0xff800000, v100, vcc_lo
	v_cmp_eq_u32_e32 vcc_lo, 0, v20
	v_cndmask_b32_e32 v2, 0x7f800001, v2, vcc_lo
; %bb.11912:                            ;   in Loop: Header=BB4_11716 Depth=2
	s_or_b32 exec_lo, exec_lo, s40
.LBB4_11913:                            ;   in Loop: Header=BB4_11716 Depth=2
	s_delay_alu instid0(SALU_CYCLE_1)
	s_or_b32 exec_lo, exec_lo, s29
.LBB4_11914:                            ;   in Loop: Header=BB4_11716 Depth=2
	s_delay_alu instid0(SALU_CYCLE_1) | instskip(NEXT) | instid1(VALU_DEP_1)
	s_or_b32 exec_lo, exec_lo, s11
	v_dual_mul_f32 v30, s28, v2 :: v_dual_mov_b32 v21, v15
                                        ; implicit-def: $vgpr84
	s_mov_b32 s11, exec_lo
	s_delay_alu instid0(VALU_DEP_1) | instskip(SKIP_2) | instid1(VALU_DEP_3)
	v_and_b32_e32 v20, 0x7f800000, v30
	v_and_b32_e32 v14, 0x7fffff, v30
	v_lshrrev_b32_e32 v2, 24, v30
	v_cmpx_ne_u64_e32 0x7f800000, v[20:21]
	s_xor_b32 s29, exec_lo, s11
	s_cbranch_execz .LBB4_11928
; %bb.11915:                            ;   in Loop: Header=BB4_11716 Depth=2
	v_and_b32_e32 v20, 0x7fffffff, v30
	v_mov_b32_e32 v21, v15
	v_and_b32_e32 v2, 0x80, v2
                                        ; implicit-def: $vgpr84
	s_mov_b32 s11, exec_lo
	s_delay_alu instid0(VALU_DEP_2)
	v_cmpx_gt_u64_e32 0x47600001, v[20:21]
	s_xor_b32 s40, exec_lo, s11
	s_cbranch_execz .LBB4_11925
; %bb.11916:                            ;   in Loop: Header=BB4_11716 Depth=2
	v_mov_b32_e32 v84, 0
	s_mov_b32 s41, exec_lo
	v_cmpx_ne_u32_e32 0, v30
	s_cbranch_execz .LBB4_11924
; %bb.11917:                            ;   in Loop: Header=BB4_11716 Depth=2
	v_bfe_u32 v20, v30, 23, 8
	v_or_b32_e32 v30, 0x800000, v14
	v_mov_b32_e32 v83, v15
	s_delay_alu instid0(VALU_DEP_3) | instskip(SKIP_1) | instid1(VALU_DEP_2)
	v_sub_nc_u32_e32 v21, 0x71, v20
	v_cmp_gt_u32_e32 vcc_lo, 0x72, v20
	v_cndmask_b32_e32 v21, 0, v21, vcc_lo
	v_cmp_eq_u32_e32 vcc_lo, 0, v20
	s_delay_alu instid0(VALU_DEP_2) | instskip(NEXT) | instid1(VALU_DEP_1)
	v_cndmask_b32_e64 v21, v21, 0x70, vcc_lo
	v_dual_cndmask_b32 v82, v30, v14, vcc_lo :: v_dual_add_nc_u32 v24, 21, v21
	v_add_nc_u32_e32 v84, 20, v21
	s_delay_alu instid0(VALU_DEP_2) | instskip(NEXT) | instid1(VALU_DEP_2)
	v_lshlrev_b64_e64 v[24:25], v24, -1
	v_lshlrev_b64_e64 v[84:85], v84, 1
	s_delay_alu instid0(VALU_DEP_2) | instskip(SKIP_1) | instid1(VALU_DEP_4)
	v_bfi_b32 v24, v24, 0, v82
	v_lshrrev_b64 v[82:83], v21, v[82:83]
	v_bfi_b32 v25, v25, 0, 0
	s_delay_alu instid0(VALU_DEP_1) | instskip(NEXT) | instid1(VALU_DEP_3)
	v_cmp_eq_u64_e64 s11, v[24:25], v[84:85]
	v_mov_b64_e32 v[84:85], v[82:83]
	s_and_saveexec_b32 s42, s11
; %bb.11918:                            ;   in Loop: Header=BB4_11716 Depth=2
	v_bfe_u32 v24, v82, 21, 1
	v_mov_b32_e32 v25, v15
	s_delay_alu instid0(VALU_DEP_1) | instskip(NEXT) | instid1(VALU_DEP_1)
	v_add_nc_u64_e32 v[24:25], v[82:83], v[24:25]
	v_add_nc_u64_e32 v[84:85], -1, v[24:25]
; %bb.11919:                            ;   in Loop: Header=BB4_11716 Depth=2
	s_or_b32 exec_lo, exec_lo, s42
	v_add_nc_u32_e32 v14, 0xffffff81, v20
	v_lshrrev_b32_e32 v20, 23, v82
	s_mov_b32 s11, exec_lo
	s_delay_alu instid0(VALU_DEP_2) | instskip(NEXT) | instid1(VALU_DEP_1)
	v_cndmask_b32_e64 v14, v14, 0xffffff82, vcc_lo
	v_add3_u32 v21, v21, v14, v20
	v_and_b32_e32 v14, 0x1fffff, v84
                                        ; implicit-def: $vgpr20
	s_delay_alu instid0(VALU_DEP_1) | instskip(NEXT) | instid1(VALU_DEP_1)
	v_dual_add_nc_u32 v30, 14, v21 :: v_dual_add_nc_u32 v14, v14, v82
                                        ; implicit-def: $vgpr82_vgpr83
	v_cmpx_ne_u32_e32 0, v30
	s_xor_b32 s11, exec_lo, s11
; %bb.11920:                            ;   in Loop: Header=BB4_11716 Depth=2
	s_delay_alu instid0(VALU_DEP_2) | instskip(SKIP_2) | instid1(VALU_DEP_2)
	v_cmp_lt_u64_e32 vcc_lo, 0xffffff, v[14:15]
	v_add_nc_u32_e32 v20, 15, v21
	v_cndmask_b32_e64 v21, 0, 1, vcc_lo
	v_cndmask_b32_e32 v20, v30, v20, vcc_lo
	s_delay_alu instid0(VALU_DEP_2)
	v_lshrrev_b64 v[82:83], v21, v[14:15]
; %bb.11921:                            ;   in Loop: Header=BB4_11716 Depth=2
	s_and_not1_saveexec_b32 s11, s11
; %bb.11922:                            ;   in Loop: Header=BB4_11716 Depth=2
	v_mov_b64_e32 v[82:83], v[14:15]
	v_bfe_u32 v20, v14, 23, 1
; %bb.11923:                            ;   in Loop: Header=BB4_11716 Depth=2
	s_or_b32 exec_lo, exec_lo, s11
	s_delay_alu instid0(VALU_DEP_2) | instskip(NEXT) | instid1(VALU_DEP_2)
	v_lshrrev_b64 v[24:25], 21, v[82:83]
	v_cmp_gt_i32_e32 vcc_lo, 32, v20
	v_min_i32_e32 v14, 31, v20
	v_cmp_eq_u32_e64 s11, 0, v20
	s_delay_alu instid0(VALU_DEP_2) | instskip(SKIP_1) | instid1(VALU_DEP_2)
	v_dual_cndmask_b32 v25, 0, v25 :: v_dual_lshlrev_b32 v14, 2, v14
	v_cndmask_b32_e32 v24, 3, v24, vcc_lo
	v_and_b32_e32 v14, 0xfc, v14
	s_delay_alu instid0(VALU_DEP_2) | instskip(NEXT) | instid1(VALU_DEP_2)
	v_cmp_eq_u64_e32 vcc_lo, 0, v[24:25]
	v_and_or_b32 v14, v24, 3, v14
	s_and_b32 s11, s11, vcc_lo
	s_delay_alu instid0(VALU_DEP_1) | instid1(SALU_CYCLE_1)
	v_cndmask_b32_e64 v14, v14, 0, s11
	s_delay_alu instid0(VALU_DEP_1)
	v_or_b32_e32 v84, v14, v2
.LBB4_11924:                            ;   in Loop: Header=BB4_11716 Depth=2
	s_or_b32 exec_lo, exec_lo, s41
                                        ; implicit-def: $vgpr2
.LBB4_11925:                            ;   in Loop: Header=BB4_11716 Depth=2
	s_and_not1_saveexec_b32 s11, s40
; %bb.11926:                            ;   in Loop: Header=BB4_11716 Depth=2
	v_or_b32_e32 v84, 0x7b, v2
; %bb.11927:                            ;   in Loop: Header=BB4_11716 Depth=2
	s_or_b32 exec_lo, exec_lo, s11
                                        ; implicit-def: $vgpr30
                                        ; implicit-def: $vgpr2
.LBB4_11928:                            ;   in Loop: Header=BB4_11716 Depth=2
	s_and_not1_saveexec_b32 s11, s29
	s_cbranch_execz .LBB4_11934
; %bb.11929:                            ;   in Loop: Header=BB4_11716 Depth=2
	s_mov_b32 s29, exec_lo
                                        ; implicit-def: $vgpr84
	v_cmpx_ne_u64_e32 0, v[14:15]
	s_xor_b32 s29, exec_lo, s29
; %bb.11930:                            ;   in Loop: Header=BB4_11716 Depth=2
	v_or_b32_e32 v84, 0x7f, v2
                                        ; implicit-def: $vgpr30
; %bb.11931:                            ;   in Loop: Header=BB4_11716 Depth=2
	s_and_not1_saveexec_b32 s29, s29
; %bb.11932:                            ;   in Loop: Header=BB4_11716 Depth=2
	v_cmp_lt_i32_e32 vcc_lo, -1, v30
	v_cndmask_b32_e32 v84, 0xfc, v101, vcc_lo
; %bb.11933:                            ;   in Loop: Header=BB4_11716 Depth=2
	s_or_b32 exec_lo, exec_lo, s29
.LBB4_11934:                            ;   in Loop: Header=BB4_11716 Depth=2
	s_delay_alu instid0(SALU_CYCLE_1)
	s_or_b32 exec_lo, exec_lo, s11
	v_mov_b32_e32 v2, 0
	s_mov_b32 s11, exec_lo
	v_cmpx_lt_u64_e64 s[12:13], v[10:11]
	s_cbranch_execz .LBB4_11944
; %bb.11935:                            ;   in Loop: Header=BB4_11716 Depth=2
	v_lshrrev_b32_e32 v14, 24, v11
	v_bfrev_b32_e32 v2, 1
	s_mov_b32 s29, exec_lo
	s_delay_alu instid0(VALU_DEP_2)
	v_cmpx_ne_u32_e32 0x80, v14
	s_cbranch_execz .LBB4_11943
; %bb.11936:                            ;   in Loop: Header=BB4_11716 Depth=2
	v_and_b32_e32 v2, 0x7c000000, v11
	v_bfe_u32 v20, v11, 24, 2
	s_delay_alu instid0(VALU_DEP_2) | instskip(SKIP_1) | instid1(SALU_CYCLE_1)
	v_cmp_ne_u32_e32 vcc_lo, 0x7c000000, v2
                                        ; implicit-def: $vgpr2
	s_and_saveexec_b32 s40, vcc_lo
	s_xor_b32 s40, exec_lo, s40
	s_cbranch_execz .LBB4_11940
; %bb.11937:                            ;   in Loop: Header=BB4_11716 Depth=2
	v_bfe_u32 v2, v11, 26, 5
	s_mov_b32 s41, exec_lo
	s_delay_alu instid0(VALU_DEP_1)
	v_cmpx_eq_u32_e32 0, v2
; %bb.11938:                            ;   in Loop: Header=BB4_11716 Depth=2
	v_clz_i32_u32_e32 v2, v20
	s_delay_alu instid0(VALU_DEP_1) | instskip(NEXT) | instid1(VALU_DEP_1)
	v_min_u32_e32 v2, 32, v2
	v_subrev_nc_u32_e32 v20, 29, v2
	s_delay_alu instid0(VALU_DEP_1) | instskip(NEXT) | instid1(VALU_DEP_1)
	v_lshlrev_b64_e32 v[20:21], v20, v[14:15]
	v_dual_sub_nc_u32 v2, 30, v2 :: v_dual_bitop2_b32 v20, 3, v20 bitop3:0x40
; %bb.11939:                            ;   in Loop: Header=BB4_11716 Depth=2
	s_or_b32 exec_lo, exec_lo, s41
	v_and_b32_e32 v14, 0x80000000, v11
	s_delay_alu instid0(VALU_DEP_1) | instskip(NEXT) | instid1(VALU_DEP_1)
	v_lshl_add_u32 v2, v2, 23, v14
	v_lshl_or_b32 v2, v20, 21, v2
                                        ; implicit-def: $vgpr20
	s_delay_alu instid0(VALU_DEP_1)
	v_add_nc_u32_e32 v2, 0x38000000, v2
.LBB4_11940:                            ;   in Loop: Header=BB4_11716 Depth=2
	s_and_not1_saveexec_b32 s40, s40
; %bb.11941:                            ;   in Loop: Header=BB4_11716 Depth=2
	v_cmp_lt_i64_e32 vcc_lo, -1, v[10:11]
	v_cndmask_b32_e32 v2, 0xff800000, v100, vcc_lo
	v_cmp_eq_u32_e32 vcc_lo, 0, v20
	s_delay_alu instid0(VALU_DEP_2)
	v_cndmask_b32_e32 v2, 0x7f800001, v2, vcc_lo
; %bb.11942:                            ;   in Loop: Header=BB4_11716 Depth=2
	s_or_b32 exec_lo, exec_lo, s40
.LBB4_11943:                            ;   in Loop: Header=BB4_11716 Depth=2
	s_delay_alu instid0(SALU_CYCLE_1)
	s_or_b32 exec_lo, exec_lo, s29
.LBB4_11944:                            ;   in Loop: Header=BB4_11716 Depth=2
	s_delay_alu instid0(SALU_CYCLE_1) | instskip(NEXT) | instid1(VALU_DEP_1)
	s_or_b32 exec_lo, exec_lo, s11
	v_dual_mul_f32 v10, s28, v2 :: v_dual_mov_b32 v21, v15
                                        ; implicit-def: $vgpr85
	s_mov_b32 s11, exec_lo
	s_delay_alu instid0(VALU_DEP_1) | instskip(SKIP_2) | instid1(VALU_DEP_3)
	v_and_b32_e32 v20, 0x7f800000, v10
	v_and_b32_e32 v14, 0x7fffff, v10
	v_lshrrev_b32_e32 v2, 24, v10
	v_cmpx_ne_u64_e32 0x7f800000, v[20:21]
	s_xor_b32 s29, exec_lo, s11
	s_cbranch_execz .LBB4_11958
; %bb.11945:                            ;   in Loop: Header=BB4_11716 Depth=2
	v_and_b32_e32 v20, 0x7fffffff, v10
	v_mov_b32_e32 v21, v15
	v_and_b32_e32 v2, 0x80, v2
                                        ; implicit-def: $vgpr85
	s_mov_b32 s11, exec_lo
	s_delay_alu instid0(VALU_DEP_2)
	v_cmpx_gt_u64_e32 0x47600001, v[20:21]
	s_xor_b32 s40, exec_lo, s11
	s_cbranch_execz .LBB4_11955
; %bb.11946:                            ;   in Loop: Header=BB4_11716 Depth=2
	v_mov_b32_e32 v85, 0
	s_mov_b32 s41, exec_lo
	v_cmpx_ne_u32_e32 0, v10
	s_cbranch_execz .LBB4_11954
; %bb.11947:                            ;   in Loop: Header=BB4_11716 Depth=2
	v_bfe_u32 v20, v10, 23, 8
	v_or_b32_e32 v24, 0x800000, v14
	s_delay_alu instid0(VALU_DEP_2) | instskip(SKIP_1) | instid1(VALU_DEP_2)
	v_dual_mov_b32 v25, v15 :: v_dual_sub_nc_u32 v10, 0x71, v20
	v_cmp_gt_u32_e32 vcc_lo, 0x72, v20
	v_cndmask_b32_e32 v10, 0, v10, vcc_lo
	v_cmp_eq_u32_e32 vcc_lo, 0, v20
	s_delay_alu instid0(VALU_DEP_2) | instskip(NEXT) | instid1(VALU_DEP_1)
	v_cndmask_b32_e64 v21, v10, 0x70, vcc_lo
	v_dual_cndmask_b32 v24, v24, v14, vcc_lo :: v_dual_add_nc_u32 v10, 21, v21
	v_add_nc_u32_e32 v30, 20, v21
	s_delay_alu instid0(VALU_DEP_2) | instskip(NEXT) | instid1(VALU_DEP_2)
	v_lshlrev_b64_e64 v[10:11], v10, -1
	v_lshlrev_b64_e64 v[82:83], v30, 1
	s_delay_alu instid0(VALU_DEP_2) | instskip(NEXT) | instid1(VALU_DEP_3)
	v_bfi_b32 v99, v11, 0, 0
	v_bfi_b32 v98, v10, 0, v24
	v_lshrrev_b64 v[10:11], v21, v[24:25]
	s_delay_alu instid0(VALU_DEP_2) | instskip(NEXT) | instid1(VALU_DEP_2)
	v_cmp_eq_u64_e64 s11, v[98:99], v[82:83]
	v_mov_b64_e32 v[82:83], v[10:11]
	s_and_saveexec_b32 s42, s11
; %bb.11948:                            ;   in Loop: Header=BB4_11716 Depth=2
	v_bfe_u32 v24, v10, 21, 1
	v_mov_b32_e32 v25, v15
	s_delay_alu instid0(VALU_DEP_1) | instskip(NEXT) | instid1(VALU_DEP_1)
	v_add_nc_u64_e32 v[24:25], v[10:11], v[24:25]
	v_add_nc_u64_e32 v[82:83], -1, v[24:25]
; %bb.11949:                            ;   in Loop: Header=BB4_11716 Depth=2
	s_or_b32 exec_lo, exec_lo, s42
	v_add_nc_u32_e32 v11, 0xffffff81, v20
	v_lshrrev_b32_e32 v14, 23, v10
	s_mov_b32 s11, exec_lo
                                        ; implicit-def: $vgpr20
	s_delay_alu instid0(VALU_DEP_2) | instskip(NEXT) | instid1(VALU_DEP_1)
	v_cndmask_b32_e64 v11, v11, 0xffffff82, vcc_lo
	v_add3_u32 v21, v21, v11, v14
	v_and_b32_e32 v11, 0x1fffff, v82
	s_delay_alu instid0(VALU_DEP_1) | instskip(NEXT) | instid1(VALU_DEP_1)
	v_dual_add_nc_u32 v30, 14, v21 :: v_dual_add_nc_u32 v14, v11, v10
                                        ; implicit-def: $vgpr10_vgpr11
	v_cmpx_ne_u32_e32 0, v30
	s_xor_b32 s11, exec_lo, s11
; %bb.11950:                            ;   in Loop: Header=BB4_11716 Depth=2
	s_delay_alu instid0(VALU_DEP_2) | instskip(SKIP_1) | instid1(VALU_DEP_1)
	v_cmp_lt_u64_e32 vcc_lo, 0xffffff, v[14:15]
	v_add_nc_u32_e32 v10, 15, v21
	v_cndmask_b32_e32 v20, v30, v10, vcc_lo
	v_cndmask_b32_e64 v10, 0, 1, vcc_lo
	s_delay_alu instid0(VALU_DEP_1)
	v_lshrrev_b64 v[10:11], v10, v[14:15]
; %bb.11951:                            ;   in Loop: Header=BB4_11716 Depth=2
	s_and_not1_saveexec_b32 s11, s11
; %bb.11952:                            ;   in Loop: Header=BB4_11716 Depth=2
	v_mov_b64_e32 v[10:11], v[14:15]
	v_bfe_u32 v20, v14, 23, 1
; %bb.11953:                            ;   in Loop: Header=BB4_11716 Depth=2
	s_or_b32 exec_lo, exec_lo, s11
	s_delay_alu instid0(VALU_DEP_2) | instskip(NEXT) | instid1(VALU_DEP_2)
	v_lshrrev_b64 v[10:11], 21, v[10:11]
	v_cmp_gt_i32_e32 vcc_lo, 32, v20
	v_min_i32_e32 v14, 31, v20
	v_cmp_eq_u32_e64 s11, 0, v20
	s_delay_alu instid0(VALU_DEP_2) | instskip(SKIP_1) | instid1(VALU_DEP_2)
	v_dual_cndmask_b32 v11, 0, v11 :: v_dual_lshlrev_b32 v14, 2, v14
	v_cndmask_b32_e32 v10, 3, v10, vcc_lo
	v_and_b32_e32 v14, 0xfc, v14
	s_delay_alu instid0(VALU_DEP_2) | instskip(NEXT) | instid1(VALU_DEP_2)
	v_cmp_eq_u64_e32 vcc_lo, 0, v[10:11]
	v_and_or_b32 v10, v10, 3, v14
	s_and_b32 s11, s11, vcc_lo
	s_delay_alu instid0(VALU_DEP_1) | instid1(SALU_CYCLE_1)
	v_cndmask_b32_e64 v10, v10, 0, s11
	s_delay_alu instid0(VALU_DEP_1)
	v_or_b32_e32 v85, v10, v2
.LBB4_11954:                            ;   in Loop: Header=BB4_11716 Depth=2
	s_or_b32 exec_lo, exec_lo, s41
                                        ; implicit-def: $vgpr2
.LBB4_11955:                            ;   in Loop: Header=BB4_11716 Depth=2
	s_and_not1_saveexec_b32 s11, s40
; %bb.11956:                            ;   in Loop: Header=BB4_11716 Depth=2
	v_or_b32_e32 v85, 0x7b, v2
; %bb.11957:                            ;   in Loop: Header=BB4_11716 Depth=2
	s_or_b32 exec_lo, exec_lo, s11
                                        ; implicit-def: $vgpr10
                                        ; implicit-def: $vgpr2
.LBB4_11958:                            ;   in Loop: Header=BB4_11716 Depth=2
	s_and_not1_saveexec_b32 s11, s29
	s_cbranch_execz .LBB4_11964
; %bb.11959:                            ;   in Loop: Header=BB4_11716 Depth=2
	s_mov_b32 s29, exec_lo
                                        ; implicit-def: $vgpr85
	v_cmpx_ne_u64_e32 0, v[14:15]
	s_xor_b32 s29, exec_lo, s29
; %bb.11960:                            ;   in Loop: Header=BB4_11716 Depth=2
	v_or_b32_e32 v85, 0x7f, v2
                                        ; implicit-def: $vgpr10
; %bb.11961:                            ;   in Loop: Header=BB4_11716 Depth=2
	s_and_not1_saveexec_b32 s29, s29
; %bb.11962:                            ;   in Loop: Header=BB4_11716 Depth=2
	v_cmp_lt_i32_e32 vcc_lo, -1, v10
	v_cndmask_b32_e32 v85, 0xfc, v101, vcc_lo
; %bb.11963:                            ;   in Loop: Header=BB4_11716 Depth=2
	s_or_b32 exec_lo, exec_lo, s29
.LBB4_11964:                            ;   in Loop: Header=BB4_11716 Depth=2
	s_delay_alu instid0(SALU_CYCLE_1) | instskip(SKIP_1) | instid1(VALU_DEP_1)
	s_or_b32 exec_lo, exec_lo, s11
	v_and_b32_e32 v2, 0xff, v12
	v_cmp_ne_u16_e32 vcc_lo, 0, v2
	v_mov_b32_e32 v2, 0
	s_and_saveexec_b32 s11, vcc_lo
	s_cbranch_execz .LBB4_11974
; %bb.11965:                            ;   in Loop: Header=BB4_11716 Depth=2
	v_bfe_i32 v11, v12, 0, 8
	v_bfrev_b32_e32 v2, 1
	s_mov_b32 s29, exec_lo
	s_delay_alu instid0(VALU_DEP_2)
	v_cmpx_ne_u16_e32 0xff80, v11
	s_cbranch_execz .LBB4_11973
; %bb.11966:                            ;   in Loop: Header=BB4_11716 Depth=2
	v_and_b32_e32 v2, 0x7c, v12
	v_and_b32_e32 v10, 3, v12
	s_delay_alu instid0(VALU_DEP_2) | instskip(SKIP_1) | instid1(SALU_CYCLE_1)
	v_cmp_ne_u32_e32 vcc_lo, 0x7c, v2
                                        ; implicit-def: $vgpr2
	s_and_saveexec_b32 s40, vcc_lo
	s_xor_b32 s40, exec_lo, s40
	s_cbranch_execz .LBB4_11970
; %bb.11967:                            ;   in Loop: Header=BB4_11716 Depth=2
	v_bfe_u32 v2, v12, 2, 5
	s_mov_b32 s41, exec_lo
	s_delay_alu instid0(VALU_DEP_1)
	v_cmpx_eq_u32_e32 0, v2
; %bb.11968:                            ;   in Loop: Header=BB4_11716 Depth=2
	v_clz_i32_u32_e32 v2, v10
	s_delay_alu instid0(VALU_DEP_1) | instskip(NEXT) | instid1(VALU_DEP_1)
	v_min_u32_e32 v2, 32, v2
	v_subrev_nc_u32_e32 v10, 29, v2
	v_sub_nc_u32_e32 v2, 30, v2
	s_delay_alu instid0(VALU_DEP_2) | instskip(NEXT) | instid1(VALU_DEP_1)
	v_lshlrev_b64_e32 v[10:11], v10, v[12:13]
	v_and_b32_e32 v10, 3, v10
; %bb.11969:                            ;   in Loop: Header=BB4_11716 Depth=2
	s_or_b32 exec_lo, exec_lo, s41
	v_lshlrev_b32_e32 v11, 24, v12
	s_delay_alu instid0(VALU_DEP_1) | instskip(NEXT) | instid1(VALU_DEP_1)
	v_and_b32_e32 v11, 0x80000000, v11
	v_lshl_add_u32 v2, v2, 23, v11
                                        ; implicit-def: $vgpr11
	s_delay_alu instid0(VALU_DEP_1) | instskip(NEXT) | instid1(VALU_DEP_1)
	v_lshl_or_b32 v2, v10, 21, v2
                                        ; implicit-def: $vgpr10
	v_add_nc_u32_e32 v2, 0x38000000, v2
.LBB4_11970:                            ;   in Loop: Header=BB4_11716 Depth=2
	s_and_not1_saveexec_b32 s40, s40
; %bb.11971:                            ;   in Loop: Header=BB4_11716 Depth=2
	v_cmp_lt_i16_e32 vcc_lo, -1, v11
	v_cndmask_b32_e32 v2, 0xff800000, v100, vcc_lo
	v_cmp_eq_u32_e32 vcc_lo, 0, v10
	s_delay_alu instid0(VALU_DEP_2)
	v_cndmask_b32_e32 v2, 0x7f800001, v2, vcc_lo
; %bb.11972:                            ;   in Loop: Header=BB4_11716 Depth=2
	s_or_b32 exec_lo, exec_lo, s40
.LBB4_11973:                            ;   in Loop: Header=BB4_11716 Depth=2
	s_delay_alu instid0(SALU_CYCLE_1)
	s_or_b32 exec_lo, exec_lo, s29
.LBB4_11974:                            ;   in Loop: Header=BB4_11716 Depth=2
	s_delay_alu instid0(SALU_CYCLE_1) | instskip(NEXT) | instid1(VALU_DEP_1)
	s_or_b32 exec_lo, exec_lo, s11
	v_dual_mul_f32 v10, s28, v2 :: v_dual_mov_b32 v21, v15
                                        ; implicit-def: $vgpr113
	s_mov_b32 s11, exec_lo
	s_delay_alu instid0(VALU_DEP_1) | instskip(SKIP_2) | instid1(VALU_DEP_3)
	v_and_b32_e32 v20, 0x7f800000, v10
	v_and_b32_e32 v14, 0x7fffff, v10
	v_lshrrev_b32_e32 v2, 24, v10
	v_cmpx_ne_u64_e32 0x7f800000, v[20:21]
	s_xor_b32 s29, exec_lo, s11
	s_cbranch_execz .LBB4_11988
; %bb.11975:                            ;   in Loop: Header=BB4_11716 Depth=2
	v_and_b32_e32 v20, 0x7fffffff, v10
	v_mov_b32_e32 v21, v15
	v_and_b32_e32 v2, 0x80, v2
                                        ; implicit-def: $vgpr113
	s_mov_b32 s11, exec_lo
	s_delay_alu instid0(VALU_DEP_2)
	v_cmpx_gt_u64_e32 0x47600001, v[20:21]
	s_xor_b32 s40, exec_lo, s11
	s_cbranch_execz .LBB4_11985
; %bb.11976:                            ;   in Loop: Header=BB4_11716 Depth=2
	v_mov_b32_e32 v113, 0
	s_mov_b32 s41, exec_lo
	v_cmpx_ne_u32_e32 0, v10
	s_cbranch_execz .LBB4_11984
; %bb.11977:                            ;   in Loop: Header=BB4_11716 Depth=2
	v_bfe_u32 v20, v10, 23, 8
	v_or_b32_e32 v24, 0x800000, v14
	s_delay_alu instid0(VALU_DEP_2) | instskip(SKIP_1) | instid1(VALU_DEP_2)
	v_dual_mov_b32 v25, v15 :: v_dual_sub_nc_u32 v10, 0x71, v20
	v_cmp_gt_u32_e32 vcc_lo, 0x72, v20
	v_cndmask_b32_e32 v10, 0, v10, vcc_lo
	v_cmp_eq_u32_e32 vcc_lo, 0, v20
	s_delay_alu instid0(VALU_DEP_2) | instskip(NEXT) | instid1(VALU_DEP_1)
	v_cndmask_b32_e64 v21, v10, 0x70, vcc_lo
	v_dual_cndmask_b32 v24, v24, v14, vcc_lo :: v_dual_add_nc_u32 v10, 21, v21
	v_add_nc_u32_e32 v30, 20, v21
	s_delay_alu instid0(VALU_DEP_2) | instskip(NEXT) | instid1(VALU_DEP_2)
	v_lshlrev_b64_e64 v[10:11], v10, -1
	v_lshlrev_b64_e64 v[82:83], v30, 1
	s_delay_alu instid0(VALU_DEP_2) | instskip(NEXT) | instid1(VALU_DEP_3)
	v_bfi_b32 v99, v11, 0, 0
	v_bfi_b32 v98, v10, 0, v24
	v_lshrrev_b64 v[10:11], v21, v[24:25]
	s_delay_alu instid0(VALU_DEP_2) | instskip(NEXT) | instid1(VALU_DEP_2)
	v_cmp_eq_u64_e64 s11, v[98:99], v[82:83]
	v_mov_b64_e32 v[82:83], v[10:11]
	s_and_saveexec_b32 s42, s11
; %bb.11978:                            ;   in Loop: Header=BB4_11716 Depth=2
	v_bfe_u32 v24, v10, 21, 1
	v_mov_b32_e32 v25, v15
	s_delay_alu instid0(VALU_DEP_1) | instskip(NEXT) | instid1(VALU_DEP_1)
	v_add_nc_u64_e32 v[24:25], v[10:11], v[24:25]
	v_add_nc_u64_e32 v[82:83], -1, v[24:25]
; %bb.11979:                            ;   in Loop: Header=BB4_11716 Depth=2
	s_or_b32 exec_lo, exec_lo, s42
	v_add_nc_u32_e32 v11, 0xffffff81, v20
	v_lshrrev_b32_e32 v14, 23, v10
	s_mov_b32 s11, exec_lo
                                        ; implicit-def: $vgpr20
	s_delay_alu instid0(VALU_DEP_2) | instskip(NEXT) | instid1(VALU_DEP_1)
	v_cndmask_b32_e64 v11, v11, 0xffffff82, vcc_lo
	v_add3_u32 v21, v21, v11, v14
	v_and_b32_e32 v11, 0x1fffff, v82
	s_delay_alu instid0(VALU_DEP_1) | instskip(NEXT) | instid1(VALU_DEP_1)
	v_dual_add_nc_u32 v30, 14, v21 :: v_dual_add_nc_u32 v14, v11, v10
                                        ; implicit-def: $vgpr10_vgpr11
	v_cmpx_ne_u32_e32 0, v30
	s_xor_b32 s11, exec_lo, s11
; %bb.11980:                            ;   in Loop: Header=BB4_11716 Depth=2
	s_delay_alu instid0(VALU_DEP_2) | instskip(SKIP_1) | instid1(VALU_DEP_1)
	v_cmp_lt_u64_e32 vcc_lo, 0xffffff, v[14:15]
	v_add_nc_u32_e32 v10, 15, v21
	v_cndmask_b32_e32 v20, v30, v10, vcc_lo
	v_cndmask_b32_e64 v10, 0, 1, vcc_lo
	s_delay_alu instid0(VALU_DEP_1)
	v_lshrrev_b64 v[10:11], v10, v[14:15]
; %bb.11981:                            ;   in Loop: Header=BB4_11716 Depth=2
	s_and_not1_saveexec_b32 s11, s11
; %bb.11982:                            ;   in Loop: Header=BB4_11716 Depth=2
	v_mov_b64_e32 v[10:11], v[14:15]
	v_bfe_u32 v20, v14, 23, 1
; %bb.11983:                            ;   in Loop: Header=BB4_11716 Depth=2
	s_or_b32 exec_lo, exec_lo, s11
	s_delay_alu instid0(VALU_DEP_2) | instskip(NEXT) | instid1(VALU_DEP_2)
	v_lshrrev_b64 v[10:11], 21, v[10:11]
	v_cmp_gt_i32_e32 vcc_lo, 32, v20
	v_min_i32_e32 v14, 31, v20
	v_cmp_eq_u32_e64 s11, 0, v20
	s_delay_alu instid0(VALU_DEP_2) | instskip(SKIP_1) | instid1(VALU_DEP_2)
	v_dual_cndmask_b32 v11, 0, v11 :: v_dual_lshlrev_b32 v14, 2, v14
	v_cndmask_b32_e32 v10, 3, v10, vcc_lo
	v_and_b32_e32 v14, 0xfc, v14
	s_delay_alu instid0(VALU_DEP_2) | instskip(NEXT) | instid1(VALU_DEP_2)
	v_cmp_eq_u64_e32 vcc_lo, 0, v[10:11]
	v_and_or_b32 v10, v10, 3, v14
	s_and_b32 s11, s11, vcc_lo
	s_delay_alu instid0(VALU_DEP_1) | instid1(SALU_CYCLE_1)
	v_cndmask_b32_e64 v10, v10, 0, s11
	s_delay_alu instid0(VALU_DEP_1)
	v_or_b32_e32 v113, v10, v2
.LBB4_11984:                            ;   in Loop: Header=BB4_11716 Depth=2
	s_or_b32 exec_lo, exec_lo, s41
                                        ; implicit-def: $vgpr2
.LBB4_11985:                            ;   in Loop: Header=BB4_11716 Depth=2
	s_and_not1_saveexec_b32 s11, s40
; %bb.11986:                            ;   in Loop: Header=BB4_11716 Depth=2
	v_or_b32_e32 v113, 0x7b, v2
; %bb.11987:                            ;   in Loop: Header=BB4_11716 Depth=2
	s_or_b32 exec_lo, exec_lo, s11
                                        ; implicit-def: $vgpr10
                                        ; implicit-def: $vgpr2
.LBB4_11988:                            ;   in Loop: Header=BB4_11716 Depth=2
	s_and_not1_saveexec_b32 s11, s29
	s_cbranch_execz .LBB4_11994
; %bb.11989:                            ;   in Loop: Header=BB4_11716 Depth=2
	s_mov_b32 s29, exec_lo
                                        ; implicit-def: $vgpr113
	v_cmpx_ne_u64_e32 0, v[14:15]
	s_xor_b32 s29, exec_lo, s29
; %bb.11990:                            ;   in Loop: Header=BB4_11716 Depth=2
	v_or_b32_e32 v113, 0x7f, v2
                                        ; implicit-def: $vgpr10
; %bb.11991:                            ;   in Loop: Header=BB4_11716 Depth=2
	s_and_not1_saveexec_b32 s29, s29
; %bb.11992:                            ;   in Loop: Header=BB4_11716 Depth=2
	v_cmp_lt_i32_e32 vcc_lo, -1, v10
	v_cndmask_b32_e32 v113, 0xfc, v101, vcc_lo
; %bb.11993:                            ;   in Loop: Header=BB4_11716 Depth=2
	s_or_b32 exec_lo, exec_lo, s29
.LBB4_11994:                            ;   in Loop: Header=BB4_11716 Depth=2
	s_delay_alu instid0(SALU_CYCLE_1) | instskip(SKIP_3) | instid1(VALU_DEP_2)
	s_or_b32 exec_lo, exec_lo, s11
	v_lshrrev_b16 v10, 8, v12
	v_mov_b32_e32 v11, 0
	s_mov_b32 s11, exec_lo
	v_cmpx_ne_u16_e32 0, v10
	s_cbranch_execz .LBB4_12004
; %bb.11995:                            ;   in Loop: Header=BB4_11716 Depth=2
	v_bfrev_b32_e32 v11, 1
	s_mov_b32 s29, exec_lo
	v_cmpx_ne_u16_e32 0x80, v10
	s_cbranch_execz .LBB4_12003
; %bb.11996:                            ;   in Loop: Header=BB4_11716 Depth=2
	v_and_b32_e32 v14, 0xffff, v10
	s_delay_alu instid0(VALU_DEP_1) | instskip(SKIP_1) | instid1(VALU_DEP_2)
	v_and_b32_e32 v11, 0x7c, v14
	v_and_b32_e32 v2, 3, v14
	v_cmp_ne_u32_e32 vcc_lo, 0x7c, v11
                                        ; implicit-def: $vgpr11
	s_and_saveexec_b32 s40, vcc_lo
	s_delay_alu instid0(SALU_CYCLE_1)
	s_xor_b32 s40, exec_lo, s40
	s_cbranch_execz .LBB4_12000
; %bb.11997:                            ;   in Loop: Header=BB4_11716 Depth=2
	v_bfe_u32 v11, v14, 2, 5
	s_mov_b32 s41, exec_lo
	s_delay_alu instid0(VALU_DEP_1)
	v_cmpx_eq_u32_e32 0, v11
	s_cbranch_execz .LBB4_11999
; %bb.11998:                            ;   in Loop: Header=BB4_11716 Depth=2
	v_clz_i32_u32_e32 v2, v2
	v_mov_b32_e32 v11, v15
	s_delay_alu instid0(VALU_DEP_2) | instskip(NEXT) | instid1(VALU_DEP_1)
	v_min_u32_e32 v2, 32, v2
	v_subrev_nc_u32_e32 v14, 29, v2
	s_delay_alu instid0(VALU_DEP_1) | instskip(SKIP_1) | instid1(VALU_DEP_2)
	v_lshlrev_b64_e32 v[10:11], v14, v[10:11]
	v_sub_nc_u32_e32 v11, 30, v2
	v_and_b32_e32 v2, 3, v10
.LBB4_11999:                            ;   in Loop: Header=BB4_11716 Depth=2
	s_or_b32 exec_lo, exec_lo, s41
	v_lshlrev_b32_e32 v10, 16, v12
	s_delay_alu instid0(VALU_DEP_1) | instskip(NEXT) | instid1(VALU_DEP_1)
	v_and_b32_e32 v10, 0x80000000, v10
	v_lshl_add_u32 v10, v11, 23, v10
	s_delay_alu instid0(VALU_DEP_1) | instskip(NEXT) | instid1(VALU_DEP_1)
	v_lshl_or_b32 v2, v2, 21, v10
	v_add_nc_u32_e32 v11, 0x38000000, v2
                                        ; implicit-def: $vgpr2
.LBB4_12000:                            ;   in Loop: Header=BB4_11716 Depth=2
	s_and_not1_saveexec_b32 s40, s40
; %bb.12001:                            ;   in Loop: Header=BB4_11716 Depth=2
	v_cmp_lt_i16_e32 vcc_lo, -1, v12
	v_cndmask_b32_e32 v10, 0xff800000, v100, vcc_lo
	v_cmp_eq_u32_e32 vcc_lo, 0, v2
	s_delay_alu instid0(VALU_DEP_2)
	v_cndmask_b32_e32 v11, 0x7f800001, v10, vcc_lo
; %bb.12002:                            ;   in Loop: Header=BB4_11716 Depth=2
	s_or_b32 exec_lo, exec_lo, s40
.LBB4_12003:                            ;   in Loop: Header=BB4_11716 Depth=2
	s_delay_alu instid0(SALU_CYCLE_1)
	s_or_b32 exec_lo, exec_lo, s29
.LBB4_12004:                            ;   in Loop: Header=BB4_11716 Depth=2
	s_delay_alu instid0(SALU_CYCLE_1) | instskip(NEXT) | instid1(VALU_DEP_1)
	s_or_b32 exec_lo, exec_lo, s11
	v_dual_mul_f32 v10, s28, v11 :: v_dual_mov_b32 v21, v15
                                        ; implicit-def: $vgpr114
	s_mov_b32 s11, exec_lo
	s_delay_alu instid0(VALU_DEP_1) | instskip(SKIP_2) | instid1(VALU_DEP_3)
	v_and_b32_e32 v20, 0x7f800000, v10
	v_and_b32_e32 v14, 0x7fffff, v10
	v_lshrrev_b32_e32 v2, 24, v10
	v_cmpx_ne_u64_e32 0x7f800000, v[20:21]
	s_xor_b32 s29, exec_lo, s11
	s_cbranch_execz .LBB4_12018
; %bb.12005:                            ;   in Loop: Header=BB4_11716 Depth=2
	v_and_b32_e32 v20, 0x7fffffff, v10
	v_mov_b32_e32 v21, v15
	v_and_b32_e32 v2, 0x80, v2
                                        ; implicit-def: $vgpr114
	s_mov_b32 s11, exec_lo
	s_delay_alu instid0(VALU_DEP_2)
	v_cmpx_gt_u64_e32 0x47600001, v[20:21]
	s_xor_b32 s40, exec_lo, s11
	s_cbranch_execz .LBB4_12015
; %bb.12006:                            ;   in Loop: Header=BB4_11716 Depth=2
	v_mov_b32_e32 v114, 0
	s_mov_b32 s41, exec_lo
	v_cmpx_ne_u32_e32 0, v10
	s_cbranch_execz .LBB4_12014
; %bb.12007:                            ;   in Loop: Header=BB4_11716 Depth=2
	v_bfe_u32 v20, v10, 23, 8
	v_or_b32_e32 v24, 0x800000, v14
	s_delay_alu instid0(VALU_DEP_2) | instskip(SKIP_1) | instid1(VALU_DEP_2)
	v_dual_mov_b32 v25, v15 :: v_dual_sub_nc_u32 v10, 0x71, v20
	v_cmp_gt_u32_e32 vcc_lo, 0x72, v20
	v_cndmask_b32_e32 v10, 0, v10, vcc_lo
	v_cmp_eq_u32_e32 vcc_lo, 0, v20
	s_delay_alu instid0(VALU_DEP_2) | instskip(NEXT) | instid1(VALU_DEP_1)
	v_cndmask_b32_e64 v21, v10, 0x70, vcc_lo
	v_dual_cndmask_b32 v24, v24, v14, vcc_lo :: v_dual_add_nc_u32 v10, 21, v21
	v_add_nc_u32_e32 v30, 20, v21
	s_delay_alu instid0(VALU_DEP_2) | instskip(NEXT) | instid1(VALU_DEP_2)
	v_lshlrev_b64_e64 v[10:11], v10, -1
	v_lshlrev_b64_e64 v[82:83], v30, 1
	s_delay_alu instid0(VALU_DEP_2) | instskip(NEXT) | instid1(VALU_DEP_3)
	v_bfi_b32 v99, v11, 0, 0
	v_bfi_b32 v98, v10, 0, v24
	v_lshrrev_b64 v[10:11], v21, v[24:25]
	s_delay_alu instid0(VALU_DEP_2) | instskip(NEXT) | instid1(VALU_DEP_2)
	v_cmp_eq_u64_e64 s11, v[98:99], v[82:83]
	v_mov_b64_e32 v[82:83], v[10:11]
	s_and_saveexec_b32 s42, s11
; %bb.12008:                            ;   in Loop: Header=BB4_11716 Depth=2
	v_bfe_u32 v24, v10, 21, 1
	v_mov_b32_e32 v25, v15
	s_delay_alu instid0(VALU_DEP_1) | instskip(NEXT) | instid1(VALU_DEP_1)
	v_add_nc_u64_e32 v[24:25], v[10:11], v[24:25]
	v_add_nc_u64_e32 v[82:83], -1, v[24:25]
; %bb.12009:                            ;   in Loop: Header=BB4_11716 Depth=2
	s_or_b32 exec_lo, exec_lo, s42
	v_add_nc_u32_e32 v11, 0xffffff81, v20
	v_lshrrev_b32_e32 v14, 23, v10
	s_mov_b32 s11, exec_lo
                                        ; implicit-def: $vgpr20
	s_delay_alu instid0(VALU_DEP_2) | instskip(NEXT) | instid1(VALU_DEP_1)
	v_cndmask_b32_e64 v11, v11, 0xffffff82, vcc_lo
	v_add3_u32 v21, v21, v11, v14
	v_and_b32_e32 v11, 0x1fffff, v82
	s_delay_alu instid0(VALU_DEP_1) | instskip(NEXT) | instid1(VALU_DEP_1)
	v_dual_add_nc_u32 v30, 14, v21 :: v_dual_add_nc_u32 v14, v11, v10
                                        ; implicit-def: $vgpr10_vgpr11
	v_cmpx_ne_u32_e32 0, v30
	s_xor_b32 s11, exec_lo, s11
; %bb.12010:                            ;   in Loop: Header=BB4_11716 Depth=2
	s_delay_alu instid0(VALU_DEP_2) | instskip(SKIP_1) | instid1(VALU_DEP_1)
	v_cmp_lt_u64_e32 vcc_lo, 0xffffff, v[14:15]
	v_add_nc_u32_e32 v10, 15, v21
	v_cndmask_b32_e32 v20, v30, v10, vcc_lo
	v_cndmask_b32_e64 v10, 0, 1, vcc_lo
	s_delay_alu instid0(VALU_DEP_1)
	v_lshrrev_b64 v[10:11], v10, v[14:15]
; %bb.12011:                            ;   in Loop: Header=BB4_11716 Depth=2
	s_and_not1_saveexec_b32 s11, s11
; %bb.12012:                            ;   in Loop: Header=BB4_11716 Depth=2
	v_mov_b64_e32 v[10:11], v[14:15]
	v_bfe_u32 v20, v14, 23, 1
; %bb.12013:                            ;   in Loop: Header=BB4_11716 Depth=2
	s_or_b32 exec_lo, exec_lo, s11
	s_delay_alu instid0(VALU_DEP_2) | instskip(NEXT) | instid1(VALU_DEP_2)
	v_lshrrev_b64 v[10:11], 21, v[10:11]
	v_cmp_gt_i32_e32 vcc_lo, 32, v20
	v_min_i32_e32 v14, 31, v20
	v_cmp_eq_u32_e64 s11, 0, v20
	s_delay_alu instid0(VALU_DEP_2) | instskip(SKIP_1) | instid1(VALU_DEP_2)
	v_dual_cndmask_b32 v11, 0, v11 :: v_dual_lshlrev_b32 v14, 2, v14
	v_cndmask_b32_e32 v10, 3, v10, vcc_lo
	v_and_b32_e32 v14, 0xfc, v14
	s_delay_alu instid0(VALU_DEP_2) | instskip(NEXT) | instid1(VALU_DEP_2)
	v_cmp_eq_u64_e32 vcc_lo, 0, v[10:11]
	v_and_or_b32 v10, v10, 3, v14
	s_and_b32 s11, s11, vcc_lo
	s_delay_alu instid0(VALU_DEP_1) | instid1(SALU_CYCLE_1)
	v_cndmask_b32_e64 v10, v10, 0, s11
	s_delay_alu instid0(VALU_DEP_1)
	v_or_b32_e32 v114, v10, v2
.LBB4_12014:                            ;   in Loop: Header=BB4_11716 Depth=2
	s_or_b32 exec_lo, exec_lo, s41
                                        ; implicit-def: $vgpr2
.LBB4_12015:                            ;   in Loop: Header=BB4_11716 Depth=2
	s_and_not1_saveexec_b32 s11, s40
; %bb.12016:                            ;   in Loop: Header=BB4_11716 Depth=2
	v_or_b32_e32 v114, 0x7b, v2
; %bb.12017:                            ;   in Loop: Header=BB4_11716 Depth=2
	s_or_b32 exec_lo, exec_lo, s11
                                        ; implicit-def: $vgpr10
                                        ; implicit-def: $vgpr2
.LBB4_12018:                            ;   in Loop: Header=BB4_11716 Depth=2
	s_and_not1_saveexec_b32 s11, s29
	s_cbranch_execz .LBB4_12024
; %bb.12019:                            ;   in Loop: Header=BB4_11716 Depth=2
	s_mov_b32 s29, exec_lo
                                        ; implicit-def: $vgpr114
	v_cmpx_ne_u64_e32 0, v[14:15]
	s_xor_b32 s29, exec_lo, s29
; %bb.12020:                            ;   in Loop: Header=BB4_11716 Depth=2
	v_or_b32_e32 v114, 0x7f, v2
                                        ; implicit-def: $vgpr10
; %bb.12021:                            ;   in Loop: Header=BB4_11716 Depth=2
	s_and_not1_saveexec_b32 s29, s29
; %bb.12022:                            ;   in Loop: Header=BB4_11716 Depth=2
	v_cmp_lt_i32_e32 vcc_lo, -1, v10
	v_cndmask_b32_e32 v114, 0xfc, v101, vcc_lo
; %bb.12023:                            ;   in Loop: Header=BB4_11716 Depth=2
	s_or_b32 exec_lo, exec_lo, s29
.LBB4_12024:                            ;   in Loop: Header=BB4_11716 Depth=2
	s_delay_alu instid0(SALU_CYCLE_1) | instskip(SKIP_2) | instid1(VALU_DEP_1)
	s_or_b32 exec_lo, exec_lo, s11
	v_dual_lshrrev_b32 v10, 16, v12 :: v_dual_mov_b32 v2, 0
	s_mov_b32 s11, exec_lo
	v_and_b32_e32 v11, 0xff, v10
	s_delay_alu instid0(VALU_DEP_1)
	v_cmpx_ne_u16_e32 0, v11
	s_cbranch_execz .LBB4_12034
; %bb.12025:                            ;   in Loop: Header=BB4_11716 Depth=2
	v_bfrev_b32_e32 v2, 1
	s_mov_b32 s29, exec_lo
	v_cmpx_ne_u16_e32 0x80, v11
	s_cbranch_execz .LBB4_12033
; %bb.12026:                            ;   in Loop: Header=BB4_11716 Depth=2
	v_and_b32_e32 v2, 0x7c0000, v12
	v_bfe_u32 v11, v12, 16, 2
	s_delay_alu instid0(VALU_DEP_2) | instskip(SKIP_1) | instid1(SALU_CYCLE_1)
	v_cmp_ne_u32_e32 vcc_lo, 0x7c0000, v2
                                        ; implicit-def: $vgpr2
	s_and_saveexec_b32 s40, vcc_lo
	s_xor_b32 s40, exec_lo, s40
	s_cbranch_execz .LBB4_12030
; %bb.12027:                            ;   in Loop: Header=BB4_11716 Depth=2
	v_bfe_u32 v2, v12, 18, 5
	s_mov_b32 s41, exec_lo
	s_delay_alu instid0(VALU_DEP_1)
	v_cmpx_eq_u32_e32 0, v2
; %bb.12028:                            ;   in Loop: Header=BB4_11716 Depth=2
	v_clz_i32_u32_e32 v2, v11
	s_delay_alu instid0(VALU_DEP_1) | instskip(NEXT) | instid1(VALU_DEP_1)
	v_min_u32_e32 v2, 32, v2
	v_subrev_nc_u32_e32 v11, 29, v2
	s_delay_alu instid0(VALU_DEP_1) | instskip(NEXT) | instid1(VALU_DEP_1)
	v_lshlrev_b64_e32 v[20:21], v11, v[10:11]
	v_dual_sub_nc_u32 v2, 30, v2 :: v_dual_bitop2_b32 v11, 3, v20 bitop3:0x40
; %bb.12029:                            ;   in Loop: Header=BB4_11716 Depth=2
	s_or_b32 exec_lo, exec_lo, s41
	v_lshlrev_b32_e32 v10, 24, v10
	s_delay_alu instid0(VALU_DEP_1) | instskip(NEXT) | instid1(VALU_DEP_1)
	v_and_b32_e32 v10, 0x80000000, v10
	v_lshl_add_u32 v2, v2, 23, v10
                                        ; implicit-def: $vgpr10
	s_delay_alu instid0(VALU_DEP_1) | instskip(NEXT) | instid1(VALU_DEP_1)
	v_lshl_or_b32 v2, v11, 21, v2
                                        ; implicit-def: $vgpr11
	v_add_nc_u32_e32 v2, 0x38000000, v2
.LBB4_12030:                            ;   in Loop: Header=BB4_11716 Depth=2
	s_and_not1_saveexec_b32 s40, s40
; %bb.12031:                            ;   in Loop: Header=BB4_11716 Depth=2
	v_bfe_i32 v2, v10, 0, 8
	s_delay_alu instid0(VALU_DEP_1) | instskip(SKIP_2) | instid1(VALU_DEP_2)
	v_cmp_lt_i16_e32 vcc_lo, -1, v2
	v_cndmask_b32_e32 v2, 0xff800000, v100, vcc_lo
	v_cmp_eq_u32_e32 vcc_lo, 0, v11
	v_cndmask_b32_e32 v2, 0x7f800001, v2, vcc_lo
; %bb.12032:                            ;   in Loop: Header=BB4_11716 Depth=2
	s_or_b32 exec_lo, exec_lo, s40
.LBB4_12033:                            ;   in Loop: Header=BB4_11716 Depth=2
	s_delay_alu instid0(SALU_CYCLE_1)
	s_or_b32 exec_lo, exec_lo, s29
.LBB4_12034:                            ;   in Loop: Header=BB4_11716 Depth=2
	s_delay_alu instid0(SALU_CYCLE_1) | instskip(NEXT) | instid1(VALU_DEP_1)
	s_or_b32 exec_lo, exec_lo, s11
	v_dual_mul_f32 v10, s28, v2 :: v_dual_mov_b32 v21, v15
                                        ; implicit-def: $vgpr115
	s_mov_b32 s11, exec_lo
	s_delay_alu instid0(VALU_DEP_1) | instskip(SKIP_2) | instid1(VALU_DEP_3)
	v_and_b32_e32 v20, 0x7f800000, v10
	v_and_b32_e32 v14, 0x7fffff, v10
	v_lshrrev_b32_e32 v2, 24, v10
	v_cmpx_ne_u64_e32 0x7f800000, v[20:21]
	s_xor_b32 s29, exec_lo, s11
	s_cbranch_execz .LBB4_12048
; %bb.12035:                            ;   in Loop: Header=BB4_11716 Depth=2
	v_and_b32_e32 v20, 0x7fffffff, v10
	v_mov_b32_e32 v21, v15
	v_and_b32_e32 v2, 0x80, v2
                                        ; implicit-def: $vgpr115
	s_mov_b32 s11, exec_lo
	s_delay_alu instid0(VALU_DEP_2)
	v_cmpx_gt_u64_e32 0x47600001, v[20:21]
	s_xor_b32 s40, exec_lo, s11
	s_cbranch_execz .LBB4_12045
; %bb.12036:                            ;   in Loop: Header=BB4_11716 Depth=2
	v_mov_b32_e32 v115, 0
	s_mov_b32 s41, exec_lo
	v_cmpx_ne_u32_e32 0, v10
	s_cbranch_execz .LBB4_12044
; %bb.12037:                            ;   in Loop: Header=BB4_11716 Depth=2
	v_bfe_u32 v20, v10, 23, 8
	v_or_b32_e32 v24, 0x800000, v14
	s_delay_alu instid0(VALU_DEP_2) | instskip(SKIP_1) | instid1(VALU_DEP_2)
	v_dual_mov_b32 v25, v15 :: v_dual_sub_nc_u32 v10, 0x71, v20
	v_cmp_gt_u32_e32 vcc_lo, 0x72, v20
	v_cndmask_b32_e32 v10, 0, v10, vcc_lo
	v_cmp_eq_u32_e32 vcc_lo, 0, v20
	s_delay_alu instid0(VALU_DEP_2) | instskip(NEXT) | instid1(VALU_DEP_1)
	v_cndmask_b32_e64 v21, v10, 0x70, vcc_lo
	v_dual_cndmask_b32 v24, v24, v14, vcc_lo :: v_dual_add_nc_u32 v10, 21, v21
	v_add_nc_u32_e32 v30, 20, v21
	s_delay_alu instid0(VALU_DEP_2) | instskip(NEXT) | instid1(VALU_DEP_2)
	v_lshlrev_b64_e64 v[10:11], v10, -1
	v_lshlrev_b64_e64 v[82:83], v30, 1
	s_delay_alu instid0(VALU_DEP_2) | instskip(NEXT) | instid1(VALU_DEP_3)
	v_bfi_b32 v99, v11, 0, 0
	v_bfi_b32 v98, v10, 0, v24
	v_lshrrev_b64 v[10:11], v21, v[24:25]
	s_delay_alu instid0(VALU_DEP_2) | instskip(NEXT) | instid1(VALU_DEP_2)
	v_cmp_eq_u64_e64 s11, v[98:99], v[82:83]
	v_mov_b64_e32 v[82:83], v[10:11]
	s_and_saveexec_b32 s42, s11
; %bb.12038:                            ;   in Loop: Header=BB4_11716 Depth=2
	v_bfe_u32 v24, v10, 21, 1
	v_mov_b32_e32 v25, v15
	s_delay_alu instid0(VALU_DEP_1) | instskip(NEXT) | instid1(VALU_DEP_1)
	v_add_nc_u64_e32 v[24:25], v[10:11], v[24:25]
	v_add_nc_u64_e32 v[82:83], -1, v[24:25]
; %bb.12039:                            ;   in Loop: Header=BB4_11716 Depth=2
	s_or_b32 exec_lo, exec_lo, s42
	v_add_nc_u32_e32 v11, 0xffffff81, v20
	v_lshrrev_b32_e32 v14, 23, v10
	s_mov_b32 s11, exec_lo
                                        ; implicit-def: $vgpr20
	s_delay_alu instid0(VALU_DEP_2) | instskip(NEXT) | instid1(VALU_DEP_1)
	v_cndmask_b32_e64 v11, v11, 0xffffff82, vcc_lo
	v_add3_u32 v21, v21, v11, v14
	v_and_b32_e32 v11, 0x1fffff, v82
	s_delay_alu instid0(VALU_DEP_1) | instskip(NEXT) | instid1(VALU_DEP_1)
	v_dual_add_nc_u32 v30, 14, v21 :: v_dual_add_nc_u32 v14, v11, v10
                                        ; implicit-def: $vgpr10_vgpr11
	v_cmpx_ne_u32_e32 0, v30
	s_xor_b32 s11, exec_lo, s11
; %bb.12040:                            ;   in Loop: Header=BB4_11716 Depth=2
	s_delay_alu instid0(VALU_DEP_2) | instskip(SKIP_1) | instid1(VALU_DEP_1)
	v_cmp_lt_u64_e32 vcc_lo, 0xffffff, v[14:15]
	v_add_nc_u32_e32 v10, 15, v21
	v_cndmask_b32_e32 v20, v30, v10, vcc_lo
	v_cndmask_b32_e64 v10, 0, 1, vcc_lo
	s_delay_alu instid0(VALU_DEP_1)
	v_lshrrev_b64 v[10:11], v10, v[14:15]
; %bb.12041:                            ;   in Loop: Header=BB4_11716 Depth=2
	s_and_not1_saveexec_b32 s11, s11
; %bb.12042:                            ;   in Loop: Header=BB4_11716 Depth=2
	v_mov_b64_e32 v[10:11], v[14:15]
	v_bfe_u32 v20, v14, 23, 1
; %bb.12043:                            ;   in Loop: Header=BB4_11716 Depth=2
	s_or_b32 exec_lo, exec_lo, s11
	s_delay_alu instid0(VALU_DEP_2) | instskip(NEXT) | instid1(VALU_DEP_2)
	v_lshrrev_b64 v[10:11], 21, v[10:11]
	v_cmp_gt_i32_e32 vcc_lo, 32, v20
	v_min_i32_e32 v14, 31, v20
	v_cmp_eq_u32_e64 s11, 0, v20
	s_delay_alu instid0(VALU_DEP_2) | instskip(SKIP_1) | instid1(VALU_DEP_2)
	v_dual_cndmask_b32 v11, 0, v11 :: v_dual_lshlrev_b32 v14, 2, v14
	v_cndmask_b32_e32 v10, 3, v10, vcc_lo
	v_and_b32_e32 v14, 0xfc, v14
	s_delay_alu instid0(VALU_DEP_2) | instskip(NEXT) | instid1(VALU_DEP_2)
	v_cmp_eq_u64_e32 vcc_lo, 0, v[10:11]
	v_and_or_b32 v10, v10, 3, v14
	s_and_b32 s11, s11, vcc_lo
	s_delay_alu instid0(VALU_DEP_1) | instid1(SALU_CYCLE_1)
	v_cndmask_b32_e64 v10, v10, 0, s11
	s_delay_alu instid0(VALU_DEP_1)
	v_or_b32_e32 v115, v10, v2
.LBB4_12044:                            ;   in Loop: Header=BB4_11716 Depth=2
	s_or_b32 exec_lo, exec_lo, s41
                                        ; implicit-def: $vgpr2
.LBB4_12045:                            ;   in Loop: Header=BB4_11716 Depth=2
	s_and_not1_saveexec_b32 s11, s40
; %bb.12046:                            ;   in Loop: Header=BB4_11716 Depth=2
	v_or_b32_e32 v115, 0x7b, v2
; %bb.12047:                            ;   in Loop: Header=BB4_11716 Depth=2
	s_or_b32 exec_lo, exec_lo, s11
                                        ; implicit-def: $vgpr10
                                        ; implicit-def: $vgpr2
.LBB4_12048:                            ;   in Loop: Header=BB4_11716 Depth=2
	s_and_not1_saveexec_b32 s11, s29
	s_cbranch_execz .LBB4_12054
; %bb.12049:                            ;   in Loop: Header=BB4_11716 Depth=2
	s_mov_b32 s29, exec_lo
                                        ; implicit-def: $vgpr115
	v_cmpx_ne_u64_e32 0, v[14:15]
	s_xor_b32 s29, exec_lo, s29
; %bb.12050:                            ;   in Loop: Header=BB4_11716 Depth=2
	v_or_b32_e32 v115, 0x7f, v2
                                        ; implicit-def: $vgpr10
; %bb.12051:                            ;   in Loop: Header=BB4_11716 Depth=2
	s_and_not1_saveexec_b32 s29, s29
; %bb.12052:                            ;   in Loop: Header=BB4_11716 Depth=2
	v_cmp_lt_i32_e32 vcc_lo, -1, v10
	v_cndmask_b32_e32 v115, 0xfc, v101, vcc_lo
; %bb.12053:                            ;   in Loop: Header=BB4_11716 Depth=2
	s_or_b32 exec_lo, exec_lo, s29
.LBB4_12054:                            ;   in Loop: Header=BB4_11716 Depth=2
	s_delay_alu instid0(SALU_CYCLE_1)
	s_or_b32 exec_lo, exec_lo, s11
	v_mov_b32_e32 v2, 0
	s_mov_b32 s11, exec_lo
	v_cmpx_lt_u32_e32 0xffffff, v12
	s_cbranch_execz .LBB4_12064
; %bb.12055:                            ;   in Loop: Header=BB4_11716 Depth=2
	v_lshrrev_b32_e32 v10, 24, v12
	v_bfrev_b32_e32 v2, 1
	s_mov_b32 s29, exec_lo
	s_delay_alu instid0(VALU_DEP_2)
	v_cmpx_ne_u32_e32 0x80, v10
	s_cbranch_execz .LBB4_12063
; %bb.12056:                            ;   in Loop: Header=BB4_11716 Depth=2
	v_and_b32_e32 v2, 0x7c000000, v12
	v_bfe_u32 v11, v12, 24, 2
	s_delay_alu instid0(VALU_DEP_2) | instskip(SKIP_1) | instid1(SALU_CYCLE_1)
	v_cmp_ne_u32_e32 vcc_lo, 0x7c000000, v2
                                        ; implicit-def: $vgpr2
	s_and_saveexec_b32 s40, vcc_lo
	s_xor_b32 s40, exec_lo, s40
	s_cbranch_execz .LBB4_12060
; %bb.12057:                            ;   in Loop: Header=BB4_11716 Depth=2
	v_bfe_u32 v2, v12, 26, 5
	s_mov_b32 s41, exec_lo
	s_delay_alu instid0(VALU_DEP_1)
	v_cmpx_eq_u32_e32 0, v2
; %bb.12058:                            ;   in Loop: Header=BB4_11716 Depth=2
	v_clz_i32_u32_e32 v2, v11
	s_delay_alu instid0(VALU_DEP_1) | instskip(NEXT) | instid1(VALU_DEP_1)
	v_min_u32_e32 v2, 32, v2
	v_subrev_nc_u32_e32 v11, 29, v2
	v_sub_nc_u32_e32 v2, 30, v2
	s_delay_alu instid0(VALU_DEP_2) | instskip(NEXT) | instid1(VALU_DEP_1)
	v_lshlrev_b64_e32 v[10:11], v11, v[10:11]
	v_and_b32_e32 v11, 3, v10
; %bb.12059:                            ;   in Loop: Header=BB4_11716 Depth=2
	s_or_b32 exec_lo, exec_lo, s41
	v_and_b32_e32 v10, 0x80000000, v12
	s_delay_alu instid0(VALU_DEP_1) | instskip(NEXT) | instid1(VALU_DEP_1)
	v_lshl_add_u32 v2, v2, 23, v10
	v_lshl_or_b32 v2, v11, 21, v2
                                        ; implicit-def: $vgpr11
	s_delay_alu instid0(VALU_DEP_1)
	v_add_nc_u32_e32 v2, 0x38000000, v2
.LBB4_12060:                            ;   in Loop: Header=BB4_11716 Depth=2
	s_and_not1_saveexec_b32 s40, s40
; %bb.12061:                            ;   in Loop: Header=BB4_11716 Depth=2
	v_cmp_lt_i32_e32 vcc_lo, -1, v12
	v_cndmask_b32_e32 v2, 0xff800000, v100, vcc_lo
	v_cmp_eq_u32_e32 vcc_lo, 0, v11
	s_delay_alu instid0(VALU_DEP_2)
	v_cndmask_b32_e32 v2, 0x7f800001, v2, vcc_lo
; %bb.12062:                            ;   in Loop: Header=BB4_11716 Depth=2
	s_or_b32 exec_lo, exec_lo, s40
.LBB4_12063:                            ;   in Loop: Header=BB4_11716 Depth=2
	s_delay_alu instid0(SALU_CYCLE_1)
	s_or_b32 exec_lo, exec_lo, s29
.LBB4_12064:                            ;   in Loop: Header=BB4_11716 Depth=2
	s_delay_alu instid0(SALU_CYCLE_1) | instskip(NEXT) | instid1(VALU_DEP_1)
	s_or_b32 exec_lo, exec_lo, s11
	v_dual_mul_f32 v10, s28, v2 :: v_dual_mov_b32 v21, v15
                                        ; implicit-def: $vgpr116
	s_mov_b32 s11, exec_lo
	s_delay_alu instid0(VALU_DEP_1) | instskip(SKIP_2) | instid1(VALU_DEP_3)
	v_and_b32_e32 v20, 0x7f800000, v10
	v_and_b32_e32 v14, 0x7fffff, v10
	v_lshrrev_b32_e32 v2, 24, v10
	v_cmpx_ne_u64_e32 0x7f800000, v[20:21]
	s_xor_b32 s29, exec_lo, s11
	s_cbranch_execz .LBB4_12078
; %bb.12065:                            ;   in Loop: Header=BB4_11716 Depth=2
	v_and_b32_e32 v20, 0x7fffffff, v10
	v_mov_b32_e32 v21, v15
	v_and_b32_e32 v2, 0x80, v2
                                        ; implicit-def: $vgpr116
	s_mov_b32 s11, exec_lo
	s_delay_alu instid0(VALU_DEP_2)
	v_cmpx_gt_u64_e32 0x47600001, v[20:21]
	s_xor_b32 s40, exec_lo, s11
	s_cbranch_execz .LBB4_12075
; %bb.12066:                            ;   in Loop: Header=BB4_11716 Depth=2
	v_mov_b32_e32 v116, 0
	s_mov_b32 s41, exec_lo
	v_cmpx_ne_u32_e32 0, v10
	s_cbranch_execz .LBB4_12074
; %bb.12067:                            ;   in Loop: Header=BB4_11716 Depth=2
	v_bfe_u32 v20, v10, 23, 8
	v_or_b32_e32 v24, 0x800000, v14
	s_delay_alu instid0(VALU_DEP_2) | instskip(SKIP_1) | instid1(VALU_DEP_2)
	v_dual_mov_b32 v25, v15 :: v_dual_sub_nc_u32 v10, 0x71, v20
	v_cmp_gt_u32_e32 vcc_lo, 0x72, v20
	v_cndmask_b32_e32 v10, 0, v10, vcc_lo
	v_cmp_eq_u32_e32 vcc_lo, 0, v20
	s_delay_alu instid0(VALU_DEP_2) | instskip(NEXT) | instid1(VALU_DEP_1)
	v_cndmask_b32_e64 v21, v10, 0x70, vcc_lo
	v_dual_cndmask_b32 v24, v24, v14, vcc_lo :: v_dual_add_nc_u32 v10, 21, v21
	v_add_nc_u32_e32 v30, 20, v21
	s_delay_alu instid0(VALU_DEP_2) | instskip(NEXT) | instid1(VALU_DEP_2)
	v_lshlrev_b64_e64 v[10:11], v10, -1
	v_lshlrev_b64_e64 v[82:83], v30, 1
	s_delay_alu instid0(VALU_DEP_2) | instskip(NEXT) | instid1(VALU_DEP_3)
	v_bfi_b32 v99, v11, 0, 0
	v_bfi_b32 v98, v10, 0, v24
	v_lshrrev_b64 v[10:11], v21, v[24:25]
	s_delay_alu instid0(VALU_DEP_2) | instskip(NEXT) | instid1(VALU_DEP_2)
	v_cmp_eq_u64_e64 s11, v[98:99], v[82:83]
	v_mov_b64_e32 v[82:83], v[10:11]
	s_and_saveexec_b32 s42, s11
; %bb.12068:                            ;   in Loop: Header=BB4_11716 Depth=2
	v_bfe_u32 v24, v10, 21, 1
	v_mov_b32_e32 v25, v15
	s_delay_alu instid0(VALU_DEP_1) | instskip(NEXT) | instid1(VALU_DEP_1)
	v_add_nc_u64_e32 v[24:25], v[10:11], v[24:25]
	v_add_nc_u64_e32 v[82:83], -1, v[24:25]
; %bb.12069:                            ;   in Loop: Header=BB4_11716 Depth=2
	s_or_b32 exec_lo, exec_lo, s42
	v_add_nc_u32_e32 v11, 0xffffff81, v20
	v_lshrrev_b32_e32 v14, 23, v10
	s_mov_b32 s11, exec_lo
                                        ; implicit-def: $vgpr20
	s_delay_alu instid0(VALU_DEP_2) | instskip(NEXT) | instid1(VALU_DEP_1)
	v_cndmask_b32_e64 v11, v11, 0xffffff82, vcc_lo
	v_add3_u32 v21, v21, v11, v14
	v_and_b32_e32 v11, 0x1fffff, v82
	s_delay_alu instid0(VALU_DEP_1) | instskip(NEXT) | instid1(VALU_DEP_1)
	v_dual_add_nc_u32 v30, 14, v21 :: v_dual_add_nc_u32 v14, v11, v10
                                        ; implicit-def: $vgpr10_vgpr11
	v_cmpx_ne_u32_e32 0, v30
	s_xor_b32 s11, exec_lo, s11
; %bb.12070:                            ;   in Loop: Header=BB4_11716 Depth=2
	s_delay_alu instid0(VALU_DEP_2) | instskip(SKIP_1) | instid1(VALU_DEP_1)
	v_cmp_lt_u64_e32 vcc_lo, 0xffffff, v[14:15]
	v_add_nc_u32_e32 v10, 15, v21
	v_cndmask_b32_e32 v20, v30, v10, vcc_lo
	v_cndmask_b32_e64 v10, 0, 1, vcc_lo
	s_delay_alu instid0(VALU_DEP_1)
	v_lshrrev_b64 v[10:11], v10, v[14:15]
; %bb.12071:                            ;   in Loop: Header=BB4_11716 Depth=2
	s_and_not1_saveexec_b32 s11, s11
; %bb.12072:                            ;   in Loop: Header=BB4_11716 Depth=2
	v_mov_b64_e32 v[10:11], v[14:15]
	v_bfe_u32 v20, v14, 23, 1
; %bb.12073:                            ;   in Loop: Header=BB4_11716 Depth=2
	s_or_b32 exec_lo, exec_lo, s11
	s_delay_alu instid0(VALU_DEP_2) | instskip(NEXT) | instid1(VALU_DEP_2)
	v_lshrrev_b64 v[10:11], 21, v[10:11]
	v_cmp_gt_i32_e32 vcc_lo, 32, v20
	v_min_i32_e32 v14, 31, v20
	v_cmp_eq_u32_e64 s11, 0, v20
	s_delay_alu instid0(VALU_DEP_2) | instskip(SKIP_1) | instid1(VALU_DEP_2)
	v_dual_cndmask_b32 v11, 0, v11 :: v_dual_lshlrev_b32 v14, 2, v14
	v_cndmask_b32_e32 v10, 3, v10, vcc_lo
	v_and_b32_e32 v14, 0xfc, v14
	s_delay_alu instid0(VALU_DEP_2) | instskip(NEXT) | instid1(VALU_DEP_2)
	v_cmp_eq_u64_e32 vcc_lo, 0, v[10:11]
	v_and_or_b32 v10, v10, 3, v14
	s_and_b32 s11, s11, vcc_lo
	s_delay_alu instid0(VALU_DEP_1) | instid1(SALU_CYCLE_1)
	v_cndmask_b32_e64 v10, v10, 0, s11
	s_delay_alu instid0(VALU_DEP_1)
	v_or_b32_e32 v116, v10, v2
.LBB4_12074:                            ;   in Loop: Header=BB4_11716 Depth=2
	s_or_b32 exec_lo, exec_lo, s41
                                        ; implicit-def: $vgpr2
.LBB4_12075:                            ;   in Loop: Header=BB4_11716 Depth=2
	s_and_not1_saveexec_b32 s11, s40
; %bb.12076:                            ;   in Loop: Header=BB4_11716 Depth=2
	v_or_b32_e32 v116, 0x7b, v2
; %bb.12077:                            ;   in Loop: Header=BB4_11716 Depth=2
	s_or_b32 exec_lo, exec_lo, s11
                                        ; implicit-def: $vgpr10
                                        ; implicit-def: $vgpr2
.LBB4_12078:                            ;   in Loop: Header=BB4_11716 Depth=2
	s_and_not1_saveexec_b32 s11, s29
	s_cbranch_execz .LBB4_12084
; %bb.12079:                            ;   in Loop: Header=BB4_11716 Depth=2
	s_mov_b32 s29, exec_lo
                                        ; implicit-def: $vgpr116
	v_cmpx_ne_u64_e32 0, v[14:15]
	s_xor_b32 s29, exec_lo, s29
; %bb.12080:                            ;   in Loop: Header=BB4_11716 Depth=2
	v_or_b32_e32 v116, 0x7f, v2
                                        ; implicit-def: $vgpr10
; %bb.12081:                            ;   in Loop: Header=BB4_11716 Depth=2
	s_and_not1_saveexec_b32 s29, s29
; %bb.12082:                            ;   in Loop: Header=BB4_11716 Depth=2
	v_cmp_lt_i32_e32 vcc_lo, -1, v10
	v_cndmask_b32_e32 v116, 0xfc, v101, vcc_lo
; %bb.12083:                            ;   in Loop: Header=BB4_11716 Depth=2
	s_or_b32 exec_lo, exec_lo, s29
.LBB4_12084:                            ;   in Loop: Header=BB4_11716 Depth=2
	s_delay_alu instid0(SALU_CYCLE_1) | instskip(SKIP_3) | instid1(VALU_DEP_2)
	s_or_b32 exec_lo, exec_lo, s11
	v_and_b32_e32 v10, 0xff, v13
	v_dual_mov_b32 v14, v13 :: v_dual_mov_b32 v2, 0
	s_mov_b32 s11, exec_lo
	v_cmpx_ne_u16_e32 0, v10
	s_cbranch_execz .LBB4_12094
; %bb.12085:                            ;   in Loop: Header=BB4_11716 Depth=2
	v_bfrev_b32_e32 v2, 1
	s_mov_b32 s29, exec_lo
	v_cmpx_ne_u16_e32 0x80, v10
	s_cbranch_execz .LBB4_12093
; %bb.12086:                            ;   in Loop: Header=BB4_11716 Depth=2
	v_and_b32_e32 v2, 0x7c, v13
	v_and_b32_e32 v10, 3, v13
	s_delay_alu instid0(VALU_DEP_2) | instskip(SKIP_1) | instid1(SALU_CYCLE_1)
	v_cmp_ne_u32_e32 vcc_lo, 0x7c, v2
                                        ; implicit-def: $vgpr2
	s_and_saveexec_b32 s40, vcc_lo
	s_xor_b32 s40, exec_lo, s40
	s_cbranch_execz .LBB4_12090
; %bb.12087:                            ;   in Loop: Header=BB4_11716 Depth=2
	v_bfe_u32 v2, v13, 2, 5
	s_mov_b32 s41, exec_lo
	s_delay_alu instid0(VALU_DEP_1)
	v_cmpx_eq_u32_e32 0, v2
; %bb.12088:                            ;   in Loop: Header=BB4_11716 Depth=2
	v_clz_i32_u32_e32 v2, v10
	s_delay_alu instid0(VALU_DEP_1) | instskip(NEXT) | instid1(VALU_DEP_1)
	v_min_u32_e32 v2, 32, v2
	v_subrev_nc_u32_e32 v10, 29, v2
	v_sub_nc_u32_e32 v2, 30, v2
	s_delay_alu instid0(VALU_DEP_2) | instskip(NEXT) | instid1(VALU_DEP_1)
	v_lshlrev_b64_e32 v[10:11], v10, v[14:15]
	v_and_b32_e32 v10, 3, v10
; %bb.12089:                            ;   in Loop: Header=BB4_11716 Depth=2
	s_or_b32 exec_lo, exec_lo, s41
	v_lshlrev_b32_e32 v11, 24, v13
	s_delay_alu instid0(VALU_DEP_1) | instskip(NEXT) | instid1(VALU_DEP_1)
	v_and_b32_e32 v11, 0x80000000, v11
	v_lshl_add_u32 v2, v2, 23, v11
	s_delay_alu instid0(VALU_DEP_1) | instskip(NEXT) | instid1(VALU_DEP_1)
	v_lshl_or_b32 v2, v10, 21, v2
                                        ; implicit-def: $vgpr10
	v_add_nc_u32_e32 v2, 0x38000000, v2
.LBB4_12090:                            ;   in Loop: Header=BB4_11716 Depth=2
	s_and_not1_saveexec_b32 s40, s40
; %bb.12091:                            ;   in Loop: Header=BB4_11716 Depth=2
	v_bfe_i32 v2, v13, 0, 8
	s_delay_alu instid0(VALU_DEP_1) | instskip(SKIP_2) | instid1(VALU_DEP_2)
	v_cmp_lt_i16_e32 vcc_lo, -1, v2
	v_cndmask_b32_e32 v2, 0xff800000, v100, vcc_lo
	v_cmp_eq_u32_e32 vcc_lo, 0, v10
	v_cndmask_b32_e32 v2, 0x7f800001, v2, vcc_lo
; %bb.12092:                            ;   in Loop: Header=BB4_11716 Depth=2
	s_or_b32 exec_lo, exec_lo, s40
.LBB4_12093:                            ;   in Loop: Header=BB4_11716 Depth=2
	s_delay_alu instid0(SALU_CYCLE_1)
	s_or_b32 exec_lo, exec_lo, s29
.LBB4_12094:                            ;   in Loop: Header=BB4_11716 Depth=2
	s_delay_alu instid0(SALU_CYCLE_1) | instskip(NEXT) | instid1(VALU_DEP_1)
	s_or_b32 exec_lo, exec_lo, s11
	v_dual_mul_f32 v30, s28, v2 :: v_dual_mov_b32 v21, v15
	v_mov_b32_e32 v11, v15
                                        ; implicit-def: $vgpr117
	s_mov_b32 s11, exec_lo
	s_delay_alu instid0(VALU_DEP_2) | instskip(SKIP_2) | instid1(VALU_DEP_3)
	v_and_b32_e32 v20, 0x7f800000, v30
	v_and_b32_e32 v10, 0x7fffff, v30
	v_lshrrev_b32_e32 v2, 24, v30
	v_cmpx_ne_u64_e32 0x7f800000, v[20:21]
	s_xor_b32 s29, exec_lo, s11
	s_cbranch_execz .LBB4_12108
; %bb.12095:                            ;   in Loop: Header=BB4_11716 Depth=2
	v_and_b32_e32 v20, 0x7fffffff, v30
	v_mov_b32_e32 v21, v15
	v_and_b32_e32 v2, 0x80, v2
                                        ; implicit-def: $vgpr117
	s_mov_b32 s11, exec_lo
	s_delay_alu instid0(VALU_DEP_2)
	v_cmpx_gt_u64_e32 0x47600001, v[20:21]
	s_xor_b32 s40, exec_lo, s11
	s_cbranch_execz .LBB4_12105
; %bb.12096:                            ;   in Loop: Header=BB4_11716 Depth=2
	v_mov_b32_e32 v117, 0
	s_mov_b32 s41, exec_lo
	v_cmpx_ne_u32_e32 0, v30
	s_cbranch_execz .LBB4_12104
; %bb.12097:                            ;   in Loop: Header=BB4_11716 Depth=2
	v_bfe_u32 v20, v30, 23, 8
	v_or_b32_e32 v30, 0x800000, v10
	s_delay_alu instid0(VALU_DEP_2) | instskip(SKIP_1) | instid1(VALU_DEP_2)
	v_sub_nc_u32_e32 v21, 0x71, v20
	v_cmp_gt_u32_e32 vcc_lo, 0x72, v20
	v_cndmask_b32_e32 v21, 0, v21, vcc_lo
	v_cmp_eq_u32_e32 vcc_lo, 0, v20
	s_delay_alu instid0(VALU_DEP_2) | instskip(NEXT) | instid1(VALU_DEP_1)
	v_cndmask_b32_e64 v21, v21, 0x70, vcc_lo
	v_dual_cndmask_b32 v10, v30, v10, vcc_lo :: v_dual_add_nc_u32 v24, 21, v21
	v_add_nc_u32_e32 v82, 20, v21
	s_delay_alu instid0(VALU_DEP_2) | instskip(NEXT) | instid1(VALU_DEP_2)
	v_lshlrev_b64_e64 v[24:25], v24, -1
	v_lshlrev_b64_e64 v[82:83], v82, 1
	s_delay_alu instid0(VALU_DEP_2) | instskip(SKIP_1) | instid1(VALU_DEP_4)
	v_bfi_b32 v24, v24, 0, v10
	v_lshrrev_b64 v[10:11], v21, v[10:11]
	v_bfi_b32 v25, v25, 0, 0
	s_delay_alu instid0(VALU_DEP_1) | instskip(NEXT) | instid1(VALU_DEP_3)
	v_cmp_eq_u64_e64 s11, v[24:25], v[82:83]
	v_mov_b64_e32 v[82:83], v[10:11]
	s_and_saveexec_b32 s42, s11
; %bb.12098:                            ;   in Loop: Header=BB4_11716 Depth=2
	v_bfe_u32 v24, v10, 21, 1
	v_mov_b32_e32 v25, v15
	s_delay_alu instid0(VALU_DEP_1) | instskip(NEXT) | instid1(VALU_DEP_1)
	v_add_nc_u64_e32 v[24:25], v[10:11], v[24:25]
	v_add_nc_u64_e32 v[82:83], -1, v[24:25]
; %bb.12099:                            ;   in Loop: Header=BB4_11716 Depth=2
	s_or_b32 exec_lo, exec_lo, s42
	v_add_nc_u32_e32 v11, 0xffffff81, v20
	v_lshrrev_b32_e32 v20, 23, v10
	s_mov_b32 s11, exec_lo
	s_delay_alu instid0(VALU_DEP_2) | instskip(NEXT) | instid1(VALU_DEP_1)
	v_cndmask_b32_e64 v11, v11, 0xffffff82, vcc_lo
	v_add3_u32 v21, v21, v11, v20
	v_and_b32_e32 v11, 0x1fffff, v82
                                        ; implicit-def: $vgpr20
	s_delay_alu instid0(VALU_DEP_1) | instskip(SKIP_1) | instid1(VALU_DEP_2)
	v_dual_add_nc_u32 v30, 14, v21 :: v_dual_add_nc_u32 v10, v11, v10
	v_mov_b32_e32 v11, v15
	v_cmpx_ne_u32_e32 0, v30
	s_xor_b32 s11, exec_lo, s11
; %bb.12100:                            ;   in Loop: Header=BB4_11716 Depth=2
	s_delay_alu instid0(VALU_DEP_2) | instskip(SKIP_2) | instid1(VALU_DEP_2)
	v_cmp_lt_u64_e32 vcc_lo, 0xffffff, v[10:11]
	v_add_nc_u32_e32 v20, 15, v21
	v_cndmask_b32_e64 v21, 0, 1, vcc_lo
	v_cndmask_b32_e32 v20, v30, v20, vcc_lo
	s_delay_alu instid0(VALU_DEP_2)
	v_lshrrev_b64 v[10:11], v21, v[10:11]
; %bb.12101:                            ;   in Loop: Header=BB4_11716 Depth=2
	s_and_not1_saveexec_b32 s11, s11
; %bb.12102:                            ;   in Loop: Header=BB4_11716 Depth=2
	s_delay_alu instid0(VALU_DEP_1)
	v_bfe_u32 v20, v10, 23, 1
; %bb.12103:                            ;   in Loop: Header=BB4_11716 Depth=2
	s_or_b32 exec_lo, exec_lo, s11
	s_delay_alu instid0(VALU_DEP_2) | instskip(NEXT) | instid1(VALU_DEP_2)
	v_lshrrev_b64 v[10:11], 21, v[10:11]
	v_cmp_gt_i32_e32 vcc_lo, 32, v20
	v_min_i32_e32 v21, 31, v20
	v_cmp_eq_u32_e64 s11, 0, v20
	s_delay_alu instid0(VALU_DEP_2) | instskip(SKIP_1) | instid1(VALU_DEP_2)
	v_dual_cndmask_b32 v11, 0, v11, vcc_lo :: v_dual_lshlrev_b32 v21, 2, v21
	v_cndmask_b32_e32 v10, 3, v10, vcc_lo
	v_and_b32_e32 v21, 0xfc, v21
	s_delay_alu instid0(VALU_DEP_2) | instskip(NEXT) | instid1(VALU_DEP_2)
	v_cmp_eq_u64_e32 vcc_lo, 0, v[10:11]
	v_and_or_b32 v10, v10, 3, v21
	s_and_b32 s11, s11, vcc_lo
	s_delay_alu instid0(VALU_DEP_1) | instid1(SALU_CYCLE_1)
	v_cndmask_b32_e64 v10, v10, 0, s11
	s_delay_alu instid0(VALU_DEP_1)
	v_or_b32_e32 v117, v10, v2
.LBB4_12104:                            ;   in Loop: Header=BB4_11716 Depth=2
	s_or_b32 exec_lo, exec_lo, s41
                                        ; implicit-def: $vgpr2
.LBB4_12105:                            ;   in Loop: Header=BB4_11716 Depth=2
	s_and_not1_saveexec_b32 s11, s40
; %bb.12106:                            ;   in Loop: Header=BB4_11716 Depth=2
	v_or_b32_e32 v117, 0x7b, v2
; %bb.12107:                            ;   in Loop: Header=BB4_11716 Depth=2
	s_or_b32 exec_lo, exec_lo, s11
                                        ; implicit-def: $vgpr30
                                        ; implicit-def: $vgpr10_vgpr11
                                        ; implicit-def: $vgpr2
.LBB4_12108:                            ;   in Loop: Header=BB4_11716 Depth=2
	s_and_not1_saveexec_b32 s11, s29
	s_cbranch_execz .LBB4_12114
; %bb.12109:                            ;   in Loop: Header=BB4_11716 Depth=2
	s_mov_b32 s29, exec_lo
                                        ; implicit-def: $vgpr117
	v_cmpx_ne_u64_e32 0, v[10:11]
	s_xor_b32 s29, exec_lo, s29
; %bb.12110:                            ;   in Loop: Header=BB4_11716 Depth=2
	v_or_b32_e32 v117, 0x7f, v2
                                        ; implicit-def: $vgpr30
; %bb.12111:                            ;   in Loop: Header=BB4_11716 Depth=2
	s_and_not1_saveexec_b32 s29, s29
; %bb.12112:                            ;   in Loop: Header=BB4_11716 Depth=2
	v_cmp_lt_i32_e32 vcc_lo, -1, v30
	v_cndmask_b32_e32 v117, 0xfc, v101, vcc_lo
; %bb.12113:                            ;   in Loop: Header=BB4_11716 Depth=2
	s_or_b32 exec_lo, exec_lo, s29
.LBB4_12114:                            ;   in Loop: Header=BB4_11716 Depth=2
	s_delay_alu instid0(SALU_CYCLE_1) | instskip(SKIP_3) | instid1(VALU_DEP_2)
	s_or_b32 exec_lo, exec_lo, s11
	v_lshrrev_b16 v10, 8, v14
	v_mov_b32_e32 v11, 0
	s_mov_b32 s11, exec_lo
	v_cmpx_ne_u16_e32 0, v10
	s_cbranch_execz .LBB4_12124
; %bb.12115:                            ;   in Loop: Header=BB4_11716 Depth=2
	v_bfrev_b32_e32 v11, 1
	s_mov_b32 s29, exec_lo
	v_cmpx_ne_u16_e32 0x80, v10
	s_cbranch_execz .LBB4_12123
; %bb.12116:                            ;   in Loop: Header=BB4_11716 Depth=2
	v_and_b32_e32 v20, 0xffff, v10
	s_delay_alu instid0(VALU_DEP_1) | instskip(SKIP_1) | instid1(VALU_DEP_2)
	v_and_b32_e32 v11, 0x7c, v20
	v_and_b32_e32 v2, 3, v20
	v_cmp_ne_u32_e32 vcc_lo, 0x7c, v11
                                        ; implicit-def: $vgpr11
	s_and_saveexec_b32 s40, vcc_lo
	s_delay_alu instid0(SALU_CYCLE_1)
	s_xor_b32 s40, exec_lo, s40
	s_cbranch_execz .LBB4_12120
; %bb.12117:                            ;   in Loop: Header=BB4_11716 Depth=2
	v_bfe_u32 v11, v20, 2, 5
	s_mov_b32 s41, exec_lo
	s_delay_alu instid0(VALU_DEP_1)
	v_cmpx_eq_u32_e32 0, v11
	s_cbranch_execz .LBB4_12119
; %bb.12118:                            ;   in Loop: Header=BB4_11716 Depth=2
	v_clz_i32_u32_e32 v2, v2
	v_mov_b32_e32 v11, v15
	s_delay_alu instid0(VALU_DEP_2) | instskip(NEXT) | instid1(VALU_DEP_1)
	v_min_u32_e32 v2, 32, v2
	v_subrev_nc_u32_e32 v20, 29, v2
	s_delay_alu instid0(VALU_DEP_1) | instskip(SKIP_1) | instid1(VALU_DEP_2)
	v_lshlrev_b64_e32 v[10:11], v20, v[10:11]
	v_sub_nc_u32_e32 v11, 30, v2
	v_and_b32_e32 v2, 3, v10
.LBB4_12119:                            ;   in Loop: Header=BB4_11716 Depth=2
	s_or_b32 exec_lo, exec_lo, s41
	v_lshlrev_b32_e32 v10, 16, v14
	s_delay_alu instid0(VALU_DEP_1) | instskip(NEXT) | instid1(VALU_DEP_1)
	v_and_b32_e32 v10, 0x80000000, v10
	v_lshl_add_u32 v10, v11, 23, v10
	s_delay_alu instid0(VALU_DEP_1) | instskip(NEXT) | instid1(VALU_DEP_1)
	v_lshl_or_b32 v2, v2, 21, v10
	v_add_nc_u32_e32 v11, 0x38000000, v2
                                        ; implicit-def: $vgpr2
.LBB4_12120:                            ;   in Loop: Header=BB4_11716 Depth=2
	s_and_not1_saveexec_b32 s40, s40
; %bb.12121:                            ;   in Loop: Header=BB4_11716 Depth=2
	v_cmp_lt_i16_e32 vcc_lo, -1, v14
	v_cndmask_b32_e32 v10, 0xff800000, v100, vcc_lo
	v_cmp_eq_u32_e32 vcc_lo, 0, v2
	s_delay_alu instid0(VALU_DEP_2)
	v_cndmask_b32_e32 v11, 0x7f800001, v10, vcc_lo
; %bb.12122:                            ;   in Loop: Header=BB4_11716 Depth=2
	s_or_b32 exec_lo, exec_lo, s40
.LBB4_12123:                            ;   in Loop: Header=BB4_11716 Depth=2
	s_delay_alu instid0(SALU_CYCLE_1)
	s_or_b32 exec_lo, exec_lo, s29
.LBB4_12124:                            ;   in Loop: Header=BB4_11716 Depth=2
	s_delay_alu instid0(SALU_CYCLE_1) | instskip(NEXT) | instid1(VALU_DEP_1)
	s_or_b32 exec_lo, exec_lo, s11
	v_dual_mul_f32 v10, s28, v11 :: v_dual_mov_b32 v21, v15
                                        ; implicit-def: $vgpr2
	s_mov_b32 s11, exec_lo
	s_delay_alu instid0(VALU_DEP_1) | instskip(SKIP_2) | instid1(VALU_DEP_3)
	v_and_b32_e32 v20, 0x7f800000, v10
	v_and_b32_e32 v14, 0x7fffff, v10
	v_lshrrev_b32_e32 v11, 24, v10
	v_cmpx_ne_u64_e32 0x7f800000, v[20:21]
	s_xor_b32 s29, exec_lo, s11
	s_cbranch_execz .LBB4_12138
; %bb.12125:                            ;   in Loop: Header=BB4_11716 Depth=2
	v_and_b32_e32 v20, 0x7fffffff, v10
	v_mov_b32_e32 v21, v15
	v_and_b32_e32 v98, 0x80, v11
                                        ; implicit-def: $vgpr2
	s_mov_b32 s11, exec_lo
	s_delay_alu instid0(VALU_DEP_2)
	v_cmpx_gt_u64_e32 0x47600001, v[20:21]
	s_xor_b32 s40, exec_lo, s11
	s_cbranch_execz .LBB4_12135
; %bb.12126:                            ;   in Loop: Header=BB4_11716 Depth=2
	v_mov_b32_e32 v2, 0
	s_mov_b32 s41, exec_lo
	v_cmpx_ne_u32_e32 0, v10
	s_cbranch_execz .LBB4_12134
; %bb.12127:                            ;   in Loop: Header=BB4_11716 Depth=2
	v_bfe_u32 v2, v10, 23, 8
	v_or_b32_e32 v21, 0x800000, v14
	s_delay_alu instid0(VALU_DEP_2) | instskip(SKIP_1) | instid1(VALU_DEP_2)
	v_dual_mov_b32 v25, v15 :: v_dual_sub_nc_u32 v10, 0x71, v2
	v_cmp_gt_u32_e32 vcc_lo, 0x72, v2
	v_cndmask_b32_e32 v10, 0, v10, vcc_lo
	v_cmp_eq_u32_e32 vcc_lo, 0, v2
	s_delay_alu instid0(VALU_DEP_2) | instskip(NEXT) | instid1(VALU_DEP_1)
	v_cndmask_b32_e64 v20, v10, 0x70, vcc_lo
	v_dual_cndmask_b32 v24, v21, v14, vcc_lo :: v_dual_add_nc_u32 v10, 21, v20
	v_add_nc_u32_e32 v30, 20, v20
	s_delay_alu instid0(VALU_DEP_2) | instskip(NEXT) | instid1(VALU_DEP_2)
	v_lshlrev_b64_e64 v[10:11], v10, -1
	v_lshlrev_b64_e64 v[82:83], v30, 1
	s_delay_alu instid0(VALU_DEP_2) | instskip(NEXT) | instid1(VALU_DEP_3)
	v_bfi_b32 v119, v11, 0, 0
	v_bfi_b32 v118, v10, 0, v24
	v_lshrrev_b64 v[10:11], v20, v[24:25]
	s_delay_alu instid0(VALU_DEP_2) | instskip(NEXT) | instid1(VALU_DEP_2)
	v_cmp_eq_u64_e64 s11, v[118:119], v[82:83]
	v_mov_b64_e32 v[82:83], v[10:11]
	s_and_saveexec_b32 s42, s11
; %bb.12128:                            ;   in Loop: Header=BB4_11716 Depth=2
	v_bfe_u32 v24, v10, 21, 1
	v_mov_b32_e32 v25, v15
	s_delay_alu instid0(VALU_DEP_1) | instskip(NEXT) | instid1(VALU_DEP_1)
	v_add_nc_u64_e32 v[24:25], v[10:11], v[24:25]
	v_add_nc_u64_e32 v[82:83], -1, v[24:25]
; %bb.12129:                            ;   in Loop: Header=BB4_11716 Depth=2
	s_or_b32 exec_lo, exec_lo, s42
	v_add_nc_u32_e32 v2, 0xffffff81, v2
	v_lshrrev_b32_e32 v11, 23, v10
	s_mov_b32 s11, exec_lo
	s_delay_alu instid0(VALU_DEP_2) | instskip(NEXT) | instid1(VALU_DEP_1)
	v_cndmask_b32_e64 v2, v2, 0xffffff82, vcc_lo
	v_add3_u32 v20, v20, v2, v11
	v_and_b32_e32 v2, 0x1fffff, v82
	s_delay_alu instid0(VALU_DEP_1) | instskip(NEXT) | instid1(VALU_DEP_1)
	v_dual_add_nc_u32 v21, 14, v20 :: v_dual_add_nc_u32 v14, v2, v10
                                        ; implicit-def: $vgpr10_vgpr11
                                        ; implicit-def: $vgpr2
	v_cmpx_ne_u32_e32 0, v21
	s_xor_b32 s11, exec_lo, s11
; %bb.12130:                            ;   in Loop: Header=BB4_11716 Depth=2
	s_delay_alu instid0(VALU_DEP_2) | instskip(SKIP_2) | instid1(VALU_DEP_2)
	v_cmp_lt_u64_e32 vcc_lo, 0xffffff, v[14:15]
	v_add_nc_u32_e32 v2, 15, v20
	v_cndmask_b32_e64 v10, 0, 1, vcc_lo
	v_cndmask_b32_e32 v2, v21, v2, vcc_lo
	s_delay_alu instid0(VALU_DEP_2)
	v_lshrrev_b64 v[10:11], v10, v[14:15]
; %bb.12131:                            ;   in Loop: Header=BB4_11716 Depth=2
	s_and_not1_saveexec_b32 s11, s11
; %bb.12132:                            ;   in Loop: Header=BB4_11716 Depth=2
	v_mov_b64_e32 v[10:11], v[14:15]
	v_bfe_u32 v2, v14, 23, 1
; %bb.12133:                            ;   in Loop: Header=BB4_11716 Depth=2
	s_or_b32 exec_lo, exec_lo, s11
	s_delay_alu instid0(VALU_DEP_2) | instskip(NEXT) | instid1(VALU_DEP_2)
	v_lshrrev_b64 v[10:11], 21, v[10:11]
	v_cmp_gt_i32_e32 vcc_lo, 32, v2
	v_min_i32_e32 v14, 31, v2
	v_cmp_eq_u32_e64 s11, 0, v2
	s_delay_alu instid0(VALU_DEP_2) | instskip(SKIP_1) | instid1(VALU_DEP_2)
	v_dual_cndmask_b32 v11, 0, v11 :: v_dual_lshlrev_b32 v14, 2, v14
	v_cndmask_b32_e32 v10, 3, v10, vcc_lo
	v_and_b32_e32 v14, 0xfc, v14
	s_delay_alu instid0(VALU_DEP_2) | instskip(NEXT) | instid1(VALU_DEP_2)
	v_cmp_eq_u64_e32 vcc_lo, 0, v[10:11]
	v_and_or_b32 v2, v10, 3, v14
	s_and_b32 s11, s11, vcc_lo
	s_delay_alu instid0(VALU_DEP_1) | instid1(SALU_CYCLE_1)
	v_cndmask_b32_e64 v2, v2, 0, s11
	s_delay_alu instid0(VALU_DEP_1)
	v_or_b32_e32 v2, v2, v98
.LBB4_12134:                            ;   in Loop: Header=BB4_11716 Depth=2
	s_or_b32 exec_lo, exec_lo, s41
                                        ; implicit-def: $vgpr98
.LBB4_12135:                            ;   in Loop: Header=BB4_11716 Depth=2
	s_and_not1_saveexec_b32 s11, s40
; %bb.12136:                            ;   in Loop: Header=BB4_11716 Depth=2
	v_or_b32_e32 v2, 0x7b, v98
; %bb.12137:                            ;   in Loop: Header=BB4_11716 Depth=2
	s_or_b32 exec_lo, exec_lo, s11
                                        ; implicit-def: $vgpr10
                                        ; implicit-def: $vgpr11
.LBB4_12138:                            ;   in Loop: Header=BB4_11716 Depth=2
	s_and_not1_saveexec_b32 s11, s29
	s_cbranch_execz .LBB4_12144
; %bb.12139:                            ;   in Loop: Header=BB4_11716 Depth=2
	s_mov_b32 s29, exec_lo
                                        ; implicit-def: $vgpr2
	v_cmpx_ne_u64_e32 0, v[14:15]
	s_xor_b32 s29, exec_lo, s29
; %bb.12140:                            ;   in Loop: Header=BB4_11716 Depth=2
	v_or_b32_e32 v2, 0x7f, v11
                                        ; implicit-def: $vgpr10
; %bb.12141:                            ;   in Loop: Header=BB4_11716 Depth=2
	s_and_not1_saveexec_b32 s29, s29
; %bb.12142:                            ;   in Loop: Header=BB4_11716 Depth=2
	v_cmp_lt_i32_e32 vcc_lo, -1, v10
	v_cndmask_b32_e32 v2, 0xfc, v101, vcc_lo
; %bb.12143:                            ;   in Loop: Header=BB4_11716 Depth=2
	s_or_b32 exec_lo, exec_lo, s29
.LBB4_12144:                            ;   in Loop: Header=BB4_11716 Depth=2
	s_delay_alu instid0(SALU_CYCLE_1) | instskip(SKIP_2) | instid1(VALU_DEP_1)
	s_or_b32 exec_lo, exec_lo, s11
	v_dual_mov_b32 v11, 0 :: v_dual_lshrrev_b32 v10, 16, v13
	s_mov_b32 s11, exec_lo
	v_and_b32_e32 v14, 0xff, v10
	s_delay_alu instid0(VALU_DEP_1)
	v_cmpx_ne_u16_e32 0, v14
	s_cbranch_execz .LBB4_12154
; %bb.12145:                            ;   in Loop: Header=BB4_11716 Depth=2
	v_bfrev_b32_e32 v11, 1
	s_mov_b32 s29, exec_lo
	v_cmpx_ne_u16_e32 0x80, v14
	s_cbranch_execz .LBB4_12153
; %bb.12146:                            ;   in Loop: Header=BB4_11716 Depth=2
	v_and_b32_e32 v11, 0x7c0000, v13
	v_bfe_u32 v14, v13, 16, 2
	s_delay_alu instid0(VALU_DEP_2) | instskip(SKIP_1) | instid1(SALU_CYCLE_1)
	v_cmp_ne_u32_e32 vcc_lo, 0x7c0000, v11
                                        ; implicit-def: $vgpr11
	s_and_saveexec_b32 s40, vcc_lo
	s_xor_b32 s40, exec_lo, s40
	s_cbranch_execz .LBB4_12150
; %bb.12147:                            ;   in Loop: Header=BB4_11716 Depth=2
	v_bfe_u32 v11, v13, 18, 5
	s_mov_b32 s41, exec_lo
	s_delay_alu instid0(VALU_DEP_1)
	v_cmpx_eq_u32_e32 0, v11
; %bb.12148:                            ;   in Loop: Header=BB4_11716 Depth=2
	v_clz_i32_u32_e32 v11, v14
	s_delay_alu instid0(VALU_DEP_1) | instskip(NEXT) | instid1(VALU_DEP_1)
	v_min_u32_e32 v11, 32, v11
	v_subrev_nc_u32_e32 v14, 29, v11
	s_delay_alu instid0(VALU_DEP_1) | instskip(NEXT) | instid1(VALU_DEP_1)
	v_lshlrev_b64_e32 v[20:21], v14, v[10:11]
	v_dual_sub_nc_u32 v11, 30, v11 :: v_dual_bitop2_b32 v14, 3, v20 bitop3:0x40
; %bb.12149:                            ;   in Loop: Header=BB4_11716 Depth=2
	s_or_b32 exec_lo, exec_lo, s41
	v_lshlrev_b32_e32 v10, 24, v10
	s_delay_alu instid0(VALU_DEP_1) | instskip(NEXT) | instid1(VALU_DEP_1)
	v_and_b32_e32 v10, 0x80000000, v10
	v_lshl_add_u32 v10, v11, 23, v10
	s_delay_alu instid0(VALU_DEP_1) | instskip(NEXT) | instid1(VALU_DEP_1)
	v_lshl_or_b32 v10, v14, 21, v10
                                        ; implicit-def: $vgpr14
	v_add_nc_u32_e32 v11, 0x38000000, v10
                                        ; implicit-def: $vgpr10
.LBB4_12150:                            ;   in Loop: Header=BB4_11716 Depth=2
	s_and_not1_saveexec_b32 s40, s40
; %bb.12151:                            ;   in Loop: Header=BB4_11716 Depth=2
	v_bfe_i32 v10, v10, 0, 8
	s_delay_alu instid0(VALU_DEP_1) | instskip(SKIP_2) | instid1(VALU_DEP_2)
	v_cmp_lt_i16_e32 vcc_lo, -1, v10
	v_cndmask_b32_e32 v10, 0xff800000, v100, vcc_lo
	v_cmp_eq_u32_e32 vcc_lo, 0, v14
	v_cndmask_b32_e32 v11, 0x7f800001, v10, vcc_lo
; %bb.12152:                            ;   in Loop: Header=BB4_11716 Depth=2
	s_or_b32 exec_lo, exec_lo, s40
.LBB4_12153:                            ;   in Loop: Header=BB4_11716 Depth=2
	s_delay_alu instid0(SALU_CYCLE_1)
	s_or_b32 exec_lo, exec_lo, s29
.LBB4_12154:                            ;   in Loop: Header=BB4_11716 Depth=2
	s_delay_alu instid0(SALU_CYCLE_1) | instskip(NEXT) | instid1(VALU_DEP_1)
	s_or_b32 exec_lo, exec_lo, s11
	v_dual_mul_f32 v10, s28, v11 :: v_dual_mov_b32 v21, v15
                                        ; implicit-def: $vgpr82
	s_mov_b32 s11, exec_lo
	s_delay_alu instid0(VALU_DEP_1) | instskip(SKIP_2) | instid1(VALU_DEP_3)
	v_and_b32_e32 v20, 0x7f800000, v10
	v_and_b32_e32 v14, 0x7fffff, v10
	v_lshrrev_b32_e32 v11, 24, v10
	v_cmpx_ne_u64_e32 0x7f800000, v[20:21]
	s_xor_b32 s29, exec_lo, s11
	s_cbranch_execz .LBB4_12168
; %bb.12155:                            ;   in Loop: Header=BB4_11716 Depth=2
	v_and_b32_e32 v20, 0x7fffffff, v10
	v_mov_b32_e32 v21, v15
	v_and_b32_e32 v98, 0x80, v11
                                        ; implicit-def: $vgpr82
	s_mov_b32 s11, exec_lo
	s_delay_alu instid0(VALU_DEP_2)
	v_cmpx_gt_u64_e32 0x47600001, v[20:21]
	s_xor_b32 s40, exec_lo, s11
	s_cbranch_execz .LBB4_12165
; %bb.12156:                            ;   in Loop: Header=BB4_11716 Depth=2
	v_mov_b32_e32 v82, 0
	s_mov_b32 s41, exec_lo
	v_cmpx_ne_u32_e32 0, v10
	s_cbranch_execz .LBB4_12164
; %bb.12157:                            ;   in Loop: Header=BB4_11716 Depth=2
	v_bfe_u32 v20, v10, 23, 8
	v_or_b32_e32 v24, 0x800000, v14
	s_delay_alu instid0(VALU_DEP_2) | instskip(SKIP_1) | instid1(VALU_DEP_2)
	v_dual_mov_b32 v25, v15 :: v_dual_sub_nc_u32 v10, 0x71, v20
	v_cmp_gt_u32_e32 vcc_lo, 0x72, v20
	v_cndmask_b32_e32 v10, 0, v10, vcc_lo
	v_cmp_eq_u32_e32 vcc_lo, 0, v20
	s_delay_alu instid0(VALU_DEP_2) | instskip(NEXT) | instid1(VALU_DEP_1)
	v_cndmask_b32_e64 v21, v10, 0x70, vcc_lo
	v_dual_cndmask_b32 v24, v24, v14, vcc_lo :: v_dual_add_nc_u32 v10, 21, v21
	v_add_nc_u32_e32 v30, 20, v21
	s_delay_alu instid0(VALU_DEP_2) | instskip(NEXT) | instid1(VALU_DEP_2)
	v_lshlrev_b64_e64 v[10:11], v10, -1
	v_lshlrev_b64_e64 v[82:83], v30, 1
	s_delay_alu instid0(VALU_DEP_2) | instskip(NEXT) | instid1(VALU_DEP_3)
	v_bfi_b32 v119, v11, 0, 0
	v_bfi_b32 v118, v10, 0, v24
	v_lshrrev_b64 v[10:11], v21, v[24:25]
	s_delay_alu instid0(VALU_DEP_2) | instskip(NEXT) | instid1(VALU_DEP_2)
	v_cmp_eq_u64_e64 s11, v[118:119], v[82:83]
	v_mov_b64_e32 v[82:83], v[10:11]
	s_and_saveexec_b32 s42, s11
; %bb.12158:                            ;   in Loop: Header=BB4_11716 Depth=2
	v_bfe_u32 v24, v10, 21, 1
	v_mov_b32_e32 v25, v15
	s_delay_alu instid0(VALU_DEP_1) | instskip(NEXT) | instid1(VALU_DEP_1)
	v_add_nc_u64_e32 v[24:25], v[10:11], v[24:25]
	v_add_nc_u64_e32 v[82:83], -1, v[24:25]
; %bb.12159:                            ;   in Loop: Header=BB4_11716 Depth=2
	s_or_b32 exec_lo, exec_lo, s42
	v_add_nc_u32_e32 v11, 0xffffff81, v20
	v_lshrrev_b32_e32 v14, 23, v10
	s_mov_b32 s11, exec_lo
                                        ; implicit-def: $vgpr20
	s_delay_alu instid0(VALU_DEP_2) | instskip(NEXT) | instid1(VALU_DEP_1)
	v_cndmask_b32_e64 v11, v11, 0xffffff82, vcc_lo
	v_add3_u32 v21, v21, v11, v14
	v_and_b32_e32 v11, 0x1fffff, v82
	s_delay_alu instid0(VALU_DEP_1) | instskip(NEXT) | instid1(VALU_DEP_1)
	v_dual_add_nc_u32 v30, 14, v21 :: v_dual_add_nc_u32 v14, v11, v10
                                        ; implicit-def: $vgpr10_vgpr11
	v_cmpx_ne_u32_e32 0, v30
	s_xor_b32 s11, exec_lo, s11
; %bb.12160:                            ;   in Loop: Header=BB4_11716 Depth=2
	s_delay_alu instid0(VALU_DEP_2) | instskip(SKIP_1) | instid1(VALU_DEP_1)
	v_cmp_lt_u64_e32 vcc_lo, 0xffffff, v[14:15]
	v_add_nc_u32_e32 v10, 15, v21
	v_cndmask_b32_e32 v20, v30, v10, vcc_lo
	v_cndmask_b32_e64 v10, 0, 1, vcc_lo
	s_delay_alu instid0(VALU_DEP_1)
	v_lshrrev_b64 v[10:11], v10, v[14:15]
; %bb.12161:                            ;   in Loop: Header=BB4_11716 Depth=2
	s_and_not1_saveexec_b32 s11, s11
; %bb.12162:                            ;   in Loop: Header=BB4_11716 Depth=2
	v_mov_b64_e32 v[10:11], v[14:15]
	v_bfe_u32 v20, v14, 23, 1
; %bb.12163:                            ;   in Loop: Header=BB4_11716 Depth=2
	s_or_b32 exec_lo, exec_lo, s11
	s_delay_alu instid0(VALU_DEP_2) | instskip(NEXT) | instid1(VALU_DEP_2)
	v_lshrrev_b64 v[10:11], 21, v[10:11]
	v_cmp_gt_i32_e32 vcc_lo, 32, v20
	v_min_i32_e32 v14, 31, v20
	v_cmp_eq_u32_e64 s11, 0, v20
	s_delay_alu instid0(VALU_DEP_2) | instskip(SKIP_1) | instid1(VALU_DEP_2)
	v_dual_cndmask_b32 v11, 0, v11 :: v_dual_lshlrev_b32 v14, 2, v14
	v_cndmask_b32_e32 v10, 3, v10, vcc_lo
	v_and_b32_e32 v14, 0xfc, v14
	s_delay_alu instid0(VALU_DEP_2) | instskip(NEXT) | instid1(VALU_DEP_2)
	v_cmp_eq_u64_e32 vcc_lo, 0, v[10:11]
	v_and_or_b32 v10, v10, 3, v14
	s_and_b32 s11, s11, vcc_lo
	s_delay_alu instid0(VALU_DEP_1) | instid1(SALU_CYCLE_1)
	v_cndmask_b32_e64 v10, v10, 0, s11
	s_delay_alu instid0(VALU_DEP_1)
	v_or_b32_e32 v82, v10, v98
.LBB4_12164:                            ;   in Loop: Header=BB4_11716 Depth=2
	s_or_b32 exec_lo, exec_lo, s41
                                        ; implicit-def: $vgpr98
.LBB4_12165:                            ;   in Loop: Header=BB4_11716 Depth=2
	s_and_not1_saveexec_b32 s11, s40
; %bb.12166:                            ;   in Loop: Header=BB4_11716 Depth=2
	v_or_b32_e32 v82, 0x7b, v98
; %bb.12167:                            ;   in Loop: Header=BB4_11716 Depth=2
	s_or_b32 exec_lo, exec_lo, s11
                                        ; implicit-def: $vgpr10
                                        ; implicit-def: $vgpr11
.LBB4_12168:                            ;   in Loop: Header=BB4_11716 Depth=2
	s_and_not1_saveexec_b32 s11, s29
	s_cbranch_execz .LBB4_12174
; %bb.12169:                            ;   in Loop: Header=BB4_11716 Depth=2
	s_mov_b32 s29, exec_lo
                                        ; implicit-def: $vgpr82
	v_cmpx_ne_u64_e32 0, v[14:15]
	s_xor_b32 s29, exec_lo, s29
; %bb.12170:                            ;   in Loop: Header=BB4_11716 Depth=2
	v_or_b32_e32 v82, 0x7f, v11
                                        ; implicit-def: $vgpr10
; %bb.12171:                            ;   in Loop: Header=BB4_11716 Depth=2
	s_and_not1_saveexec_b32 s29, s29
; %bb.12172:                            ;   in Loop: Header=BB4_11716 Depth=2
	v_cmp_lt_i32_e32 vcc_lo, -1, v10
	v_cndmask_b32_e32 v82, 0xfc, v101, vcc_lo
; %bb.12173:                            ;   in Loop: Header=BB4_11716 Depth=2
	s_or_b32 exec_lo, exec_lo, s29
.LBB4_12174:                            ;   in Loop: Header=BB4_11716 Depth=2
	s_delay_alu instid0(SALU_CYCLE_1)
	s_or_b32 exec_lo, exec_lo, s11
	v_mov_b32_e32 v11, 0
	s_mov_b32 s11, exec_lo
	v_cmpx_lt_u64_e64 s[12:13], v[12:13]
	s_cbranch_execz .LBB4_12184
; %bb.12175:                            ;   in Loop: Header=BB4_11716 Depth=2
	v_lshrrev_b32_e32 v10, 24, v13
	v_bfrev_b32_e32 v11, 1
	s_mov_b32 s29, exec_lo
	s_delay_alu instid0(VALU_DEP_2)
	v_cmpx_ne_u32_e32 0x80, v10
	s_cbranch_execz .LBB4_12183
; %bb.12176:                            ;   in Loop: Header=BB4_11716 Depth=2
	v_and_b32_e32 v11, 0x7c000000, v13
	v_bfe_u32 v14, v13, 24, 2
	s_delay_alu instid0(VALU_DEP_2) | instskip(SKIP_1) | instid1(SALU_CYCLE_1)
	v_cmp_ne_u32_e32 vcc_lo, 0x7c000000, v11
                                        ; implicit-def: $vgpr11
	s_and_saveexec_b32 s40, vcc_lo
	s_xor_b32 s40, exec_lo, s40
	s_cbranch_execz .LBB4_12180
; %bb.12177:                            ;   in Loop: Header=BB4_11716 Depth=2
	v_bfe_u32 v11, v13, 26, 5
	s_mov_b32 s41, exec_lo
	s_delay_alu instid0(VALU_DEP_1)
	v_cmpx_eq_u32_e32 0, v11
; %bb.12178:                            ;   in Loop: Header=BB4_11716 Depth=2
	v_clz_i32_u32_e32 v11, v14
	s_delay_alu instid0(VALU_DEP_1) | instskip(NEXT) | instid1(VALU_DEP_1)
	v_min_u32_e32 v12, 32, v11
	v_subrev_nc_u32_e32 v11, 29, v12
	s_delay_alu instid0(VALU_DEP_1) | instskip(NEXT) | instid1(VALU_DEP_1)
	v_lshlrev_b64_e32 v[10:11], v11, v[10:11]
	v_dual_sub_nc_u32 v11, 30, v12 :: v_dual_bitop2_b32 v14, 3, v10 bitop3:0x40
; %bb.12179:                            ;   in Loop: Header=BB4_11716 Depth=2
	s_or_b32 exec_lo, exec_lo, s41
	v_and_b32_e32 v10, 0x80000000, v13
                                        ; implicit-def: $vgpr12_vgpr13
	s_delay_alu instid0(VALU_DEP_1) | instskip(NEXT) | instid1(VALU_DEP_1)
	v_lshl_add_u32 v10, v11, 23, v10
	v_lshl_or_b32 v10, v14, 21, v10
                                        ; implicit-def: $vgpr14
	s_delay_alu instid0(VALU_DEP_1)
	v_add_nc_u32_e32 v11, 0x38000000, v10
.LBB4_12180:                            ;   in Loop: Header=BB4_11716 Depth=2
	s_and_not1_saveexec_b32 s40, s40
; %bb.12181:                            ;   in Loop: Header=BB4_11716 Depth=2
	v_cmp_lt_i64_e32 vcc_lo, -1, v[12:13]
	v_cndmask_b32_e32 v10, 0xff800000, v100, vcc_lo
	v_cmp_eq_u32_e32 vcc_lo, 0, v14
	s_delay_alu instid0(VALU_DEP_2)
	v_cndmask_b32_e32 v11, 0x7f800001, v10, vcc_lo
; %bb.12182:                            ;   in Loop: Header=BB4_11716 Depth=2
	s_or_b32 exec_lo, exec_lo, s40
.LBB4_12183:                            ;   in Loop: Header=BB4_11716 Depth=2
	s_delay_alu instid0(SALU_CYCLE_1)
	s_or_b32 exec_lo, exec_lo, s29
.LBB4_12184:                            ;   in Loop: Header=BB4_11716 Depth=2
	s_delay_alu instid0(SALU_CYCLE_1) | instskip(NEXT) | instid1(VALU_DEP_1)
	s_or_b32 exec_lo, exec_lo, s11
	v_dual_mul_f32 v11, s28, v11 :: v_dual_mov_b32 v13, v15
                                        ; implicit-def: $vgpr10
	s_delay_alu instid0(VALU_DEP_1) | instskip(SKIP_1) | instid1(VALU_DEP_2)
	v_and_b32_e32 v12, 0x7f800000, v11
	v_and_b32_e32 v14, 0x7fffff, v11
	v_cmp_ne_u64_e32 vcc_lo, 0x7f800000, v[12:13]
	v_lshrrev_b32_e32 v12, 24, v11
	s_and_saveexec_b32 s11, vcc_lo
	s_delay_alu instid0(SALU_CYCLE_1)
	s_xor_b32 s28, exec_lo, s11
	s_cbranch_execz .LBB4_12198
; %bb.12185:                            ;   in Loop: Header=BB4_11716 Depth=2
	v_and_b32_e32 v20, 0x7fffffff, v11
	v_mov_b32_e32 v21, v15
	v_and_b32_e32 v83, 0x80, v12
                                        ; implicit-def: $vgpr10
	s_mov_b32 s11, exec_lo
	s_delay_alu instid0(VALU_DEP_2)
	v_cmpx_gt_u64_e32 0x47600001, v[20:21]
	s_xor_b32 s29, exec_lo, s11
	s_cbranch_execz .LBB4_12195
; %bb.12186:                            ;   in Loop: Header=BB4_11716 Depth=2
	v_mov_b32_e32 v10, 0
	s_mov_b32 s40, exec_lo
	v_cmpx_ne_u32_e32 0, v11
	s_cbranch_execz .LBB4_12194
; %bb.12187:                            ;   in Loop: Header=BB4_11716 Depth=2
	v_bfe_u32 v20, v11, 23, 8
	v_or_b32_e32 v12, 0x800000, v14
	s_mov_b32 s41, exec_lo
	s_delay_alu instid0(VALU_DEP_2) | instskip(SKIP_1) | instid1(VALU_DEP_2)
	v_dual_mov_b32 v13, v15 :: v_dual_sub_nc_u32 v10, 0x71, v20
	v_cmp_gt_u32_e32 vcc_lo, 0x72, v20
	v_cndmask_b32_e32 v10, 0, v10, vcc_lo
	v_cmp_eq_u32_e32 vcc_lo, 0, v20
	s_delay_alu instid0(VALU_DEP_2) | instskip(NEXT) | instid1(VALU_DEP_1)
	v_cndmask_b32_e64 v21, v10, 0x70, vcc_lo
	v_dual_cndmask_b32 v12, v12, v14, vcc_lo :: v_dual_add_nc_u32 v10, 21, v21
	v_add_nc_u32_e32 v24, 20, v21
	s_delay_alu instid0(VALU_DEP_2) | instskip(NEXT) | instid1(VALU_DEP_2)
	v_lshlrev_b64_e64 v[10:11], v10, -1
	v_lshlrev_b64_e64 v[24:25], v24, 1
	s_delay_alu instid0(VALU_DEP_2) | instskip(NEXT) | instid1(VALU_DEP_3)
	v_bfi_b32 v99, v11, 0, 0
	v_bfi_b32 v98, v10, 0, v12
	v_lshrrev_b64 v[10:11], v21, v[12:13]
	s_delay_alu instid0(VALU_DEP_1) | instskip(NEXT) | instid1(VALU_DEP_3)
	v_mov_b64_e32 v[12:13], v[10:11]
	v_cmpx_eq_u64_e64 v[98:99], v[24:25]
; %bb.12188:                            ;   in Loop: Header=BB4_11716 Depth=2
	v_bfe_u32 v12, v10, 21, 1
	v_mov_b32_e32 v13, v15
	s_delay_alu instid0(VALU_DEP_1) | instskip(NEXT) | instid1(VALU_DEP_1)
	v_add_nc_u64_e32 v[12:13], v[10:11], v[12:13]
	v_add_nc_u64_e32 v[12:13], -1, v[12:13]
; %bb.12189:                            ;   in Loop: Header=BB4_11716 Depth=2
	s_or_b32 exec_lo, exec_lo, s41
	v_add_nc_u32_e32 v11, 0xffffff81, v20
	v_lshrrev_b32_e32 v13, 23, v10
	s_mov_b32 s11, exec_lo
	s_delay_alu instid0(VALU_DEP_2) | instskip(NEXT) | instid1(VALU_DEP_1)
	v_cndmask_b32_e64 v11, v11, 0xffffff82, vcc_lo
	v_add3_u32 v13, v21, v11, v13
	v_and_b32_e32 v11, 0x1fffff, v12
                                        ; implicit-def: $vgpr12
	s_delay_alu instid0(VALU_DEP_1) | instskip(NEXT) | instid1(VALU_DEP_1)
	v_dual_add_nc_u32 v20, 14, v13 :: v_dual_add_nc_u32 v14, v11, v10
                                        ; implicit-def: $vgpr10_vgpr11
	v_cmpx_ne_u32_e32 0, v20
	s_xor_b32 s11, exec_lo, s11
; %bb.12190:                            ;   in Loop: Header=BB4_11716 Depth=2
	s_delay_alu instid0(VALU_DEP_2) | instskip(SKIP_1) | instid1(VALU_DEP_1)
	v_cmp_lt_u64_e32 vcc_lo, 0xffffff, v[14:15]
	v_add_nc_u32_e32 v10, 15, v13
	v_cndmask_b32_e32 v12, v20, v10, vcc_lo
	v_cndmask_b32_e64 v10, 0, 1, vcc_lo
	s_delay_alu instid0(VALU_DEP_1)
	v_lshrrev_b64 v[10:11], v10, v[14:15]
; %bb.12191:                            ;   in Loop: Header=BB4_11716 Depth=2
	s_and_not1_saveexec_b32 s11, s11
; %bb.12192:                            ;   in Loop: Header=BB4_11716 Depth=2
	v_mov_b64_e32 v[10:11], v[14:15]
	v_bfe_u32 v12, v14, 23, 1
; %bb.12193:                            ;   in Loop: Header=BB4_11716 Depth=2
	s_or_b32 exec_lo, exec_lo, s11
	s_delay_alu instid0(VALU_DEP_2) | instskip(NEXT) | instid1(VALU_DEP_2)
	v_lshrrev_b64 v[10:11], 21, v[10:11]
	v_cmp_gt_i32_e32 vcc_lo, 32, v12
	v_min_i32_e32 v13, 31, v12
	v_cmp_eq_u32_e64 s11, 0, v12
	s_delay_alu instid0(VALU_DEP_2) | instskip(SKIP_1) | instid1(VALU_DEP_2)
	v_dual_cndmask_b32 v11, 0, v11, vcc_lo :: v_dual_lshlrev_b32 v13, 2, v13
	v_cndmask_b32_e32 v10, 3, v10, vcc_lo
	v_and_b32_e32 v13, 0xfc, v13
	s_delay_alu instid0(VALU_DEP_2) | instskip(NEXT) | instid1(VALU_DEP_2)
	v_cmp_eq_u64_e32 vcc_lo, 0, v[10:11]
	v_and_or_b32 v10, v10, 3, v13
	s_and_b32 s11, s11, vcc_lo
	s_delay_alu instid0(VALU_DEP_1) | instid1(SALU_CYCLE_1)
	v_cndmask_b32_e64 v10, v10, 0, s11
	s_delay_alu instid0(VALU_DEP_1)
	v_or_b32_e32 v10, v10, v83
.LBB4_12194:                            ;   in Loop: Header=BB4_11716 Depth=2
	s_or_b32 exec_lo, exec_lo, s40
                                        ; implicit-def: $vgpr83
.LBB4_12195:                            ;   in Loop: Header=BB4_11716 Depth=2
	s_and_not1_saveexec_b32 s11, s29
; %bb.12196:                            ;   in Loop: Header=BB4_11716 Depth=2
	v_or_b32_e32 v10, 0x7b, v83
; %bb.12197:                            ;   in Loop: Header=BB4_11716 Depth=2
	s_or_b32 exec_lo, exec_lo, s11
                                        ; implicit-def: $vgpr11
                                        ; implicit-def: $vgpr12
.LBB4_12198:                            ;   in Loop: Header=BB4_11716 Depth=2
	s_and_not1_saveexec_b32 s11, s28
	s_cbranch_execz .LBB4_11715
; %bb.12199:                            ;   in Loop: Header=BB4_11716 Depth=2
	s_mov_b32 s28, exec_lo
                                        ; implicit-def: $vgpr10
	v_cmpx_ne_u64_e32 0, v[14:15]
	s_xor_b32 s28, exec_lo, s28
; %bb.12200:                            ;   in Loop: Header=BB4_11716 Depth=2
	v_or_b32_e32 v10, 0x7f, v12
                                        ; implicit-def: $vgpr11
; %bb.12201:                            ;   in Loop: Header=BB4_11716 Depth=2
	s_and_not1_saveexec_b32 s28, s28
	s_cbranch_execz .LBB4_11714
; %bb.12202:                            ;   in Loop: Header=BB4_11716 Depth=2
	v_cmp_lt_i32_e32 vcc_lo, -1, v11
	v_cndmask_b32_e32 v10, 0xfc, v101, vcc_lo
	s_branch .LBB4_11714
.LBB4_12203:                            ;   in Loop: Header=BB4_9707 Depth=1
	s_or_b32 exec_lo, exec_lo, s25
.LBB4_12204:                            ;   in Loop: Header=BB4_9707 Depth=1
	s_delay_alu instid0(SALU_CYCLE_1) | instskip(NEXT) | instid1(VALU_DEP_2)
	s_or_b32 exec_lo, exec_lo, s24
	v_cmp_lt_i32_e32 vcc_lo, 0, v86
	v_and_b32_e32 v2, 15, v65
	v_and_b32_e32 v10, 0x1f0, v65
	s_delay_alu instid0(VALU_DEP_2) | instskip(NEXT) | instid1(VALU_DEP_2)
	v_dual_cndmask_b32 v11, 0, v16, vcc_lo :: v_dual_cndmask_b32 v3, v0, v2, s10
	v_cndmask_b32_e64 v0, 0, v10, s10
	s_delay_alu instid0(VALU_DEP_2) | instskip(NEXT) | instid1(VALU_DEP_3)
	v_sub_nc_u32_e32 v2, v11, v86
	v_cmp_ne_u32_e32 vcc_lo, 0, v3
	s_delay_alu instid0(VALU_DEP_3) | instskip(NEXT) | instid1(VALU_DEP_3)
	v_and_or_b32 v0, 0x3ffffe00, v65, v0
	v_lshl_add_u32 v84, v2, 5, v67
	s_and_b32 s10, vcc_lo, exec_lo
.LBB4_12205:                            ;   in Loop: Header=BB4_9707 Depth=1
	s_or_b32 exec_lo, exec_lo, s23
	s_and_saveexec_b32 s23, s10
	s_cbranch_execz .LBB4_12808
.LBB4_12206:                            ;   in Loop: Header=BB4_9707 Depth=1
	v_dual_ashrrev_i32 v2, 31, v84 :: v_dual_lshrrev_b32 v10, 9, v3
	s_mov_b32 s24, exec_lo
	s_delay_alu instid0(VALU_DEP_1) | instskip(NEXT) | instid1(VALU_DEP_1)
	v_lshrrev_b32_e32 v2, 27, v2
	v_add_nc_u32_e32 v2, v84, v2
	s_delay_alu instid0(VALU_DEP_1) | instskip(NEXT) | instid1(VALU_DEP_1)
	v_ashrrev_i32_e32 v67, 5, v2
	v_sub_nc_u32_e32 v85, v10, v67
	s_delay_alu instid0(VALU_DEP_1)
	v_cmpx_lt_i32_e32 0, v85
	s_cbranch_execz .LBB4_12762
; %bb.12207:                            ;   in Loop: Header=BB4_9707 Depth=1
	v_and_b32_e32 v2, 0xffffffe0, v2
	s_mov_b32 s25, 0
	s_delay_alu instid0(VALU_DEP_1) | instskip(NEXT) | instid1(VALU_DEP_1)
	v_dual_lshlrev_b32 v10, 9, v67 :: v_dual_sub_nc_u32 v2, v84, v2
	v_add3_u32 v10, v0, v2, v10
	s_delay_alu instid0(VALU_DEP_1)
	v_ashrrev_i32_e32 v11, 31, v10
	s_branch .LBB4_12210
.LBB4_12208:                            ;   in Loop: Header=BB4_12210 Depth=2
	s_or_b32 exec_lo, exec_lo, s11
.LBB4_12209:                            ;   in Loop: Header=BB4_12210 Depth=2
	s_delay_alu instid0(SALU_CYCLE_1)
	s_or_b32 exec_lo, exec_lo, s10
	v_sub_nc_u32_e32 v85, v85, v16
	v_add_nc_u64_e32 v[20:21], v[10:11], v[70:71]
	v_add_nc_u64_e32 v[68:69], v[68:69], v[48:49]
	;; [unrolled: 1-line block ×3, first 2 shown]
	s_clause 0x7
	flat_store_b8 v[20:21], v86 th:TH_STORE_NT
	flat_store_b8 v[20:21], v87 offset:32 th:TH_STORE_NT
	flat_store_b8 v[20:21], v96 offset:64 th:TH_STORE_NT
	;; [unrolled: 1-line block ×7, first 2 shown]
	v_cmp_gt_i32_e32 vcc_lo, 1, v85
	s_clause 0x7
	flat_store_b8 v[20:21], v114 offset:256 th:TH_STORE_NT
	flat_store_b8 v[20:21], v115 offset:288 th:TH_STORE_NT
	;; [unrolled: 1-line block ×8, first 2 shown]
	s_or_b32 s25, vcc_lo, s25
	s_wait_xcnt 0x0
	s_and_not1_b32 exec_lo, exec_lo, s25
	s_cbranch_execz .LBB4_12761
.LBB4_12210:                            ;   Parent Loop BB4_9707 Depth=1
                                        ; =>  This Inner Loop Header: Depth=2
	s_trap 2
	ds_load_b64 v[12:13], v0
	s_mov_b32 s26, 0
	s_wait_dscnt 0x0
	v_and_b32_e32 v2, 0xff, v12
	v_readfirstlane_b32 s10, v12
	v_readfirstlane_b32 s11, v13
	s_delay_alu instid0(VALU_DEP_3)
	v_cmp_eq_u32_e32 vcc_lo, 0, v2
	s_cbranch_vccnz .LBB4_12218
; %bb.12211:                            ;   in Loop: Header=BB4_12210 Depth=2
	s_bfe_i32 s28, s10, 0x80000
	s_delay_alu instid0(SALU_CYCLE_1) | instskip(NEXT) | instid1(SALU_CYCLE_1)
	s_and_b32 s26, 0xffff, s28
	s_cmp_eq_u32 s26, 0xff80
	s_brev_b32 s26, 1
	s_cbranch_scc1 .LBB4_12218
; %bb.12212:                            ;   in Loop: Header=BB4_12210 Depth=2
	s_and_b32 s26, s10, 0x7c
	s_and_b32 s27, s10, 3
	s_mov_b32 s29, -1
	s_cmp_lg_u32 s26, 0x7c
	s_sext_i32_i16 s28, s28
                                        ; implicit-def: $sgpr26
	s_cbranch_scc0 .LBB4_12216
; %bb.12213:                            ;   in Loop: Header=BB4_12210 Depth=2
	s_bfe_u32 s26, s10, 0x50002
	s_mov_b32 s29, s27
	s_cmp_lg_u32 s26, 0
	s_cbranch_scc1 .LBB4_12215
; %bb.12214:                            ;   in Loop: Header=BB4_12210 Depth=2
	s_clz_i32_u32 s26, s27
	s_delay_alu instid0(SALU_CYCLE_1) | instskip(NEXT) | instid1(SALU_CYCLE_1)
	s_min_u32 s26, s26, 32
	s_sub_co_i32 s29, s26, 29
	s_sub_co_i32 s26, 30, s26
	s_lshl_b64 s[10:11], s[10:11], s29
	s_delay_alu instid0(SALU_CYCLE_1)
	s_and_b32 s29, s10, 3
.LBB4_12215:                            ;   in Loop: Header=BB4_12210 Depth=2
	s_and_b32 s10, s28, 0x80000000
	s_lshl_b32 s11, s26, 23
	s_lshl_b32 s26, s29, 21
	s_add_co_i32 s11, s11, s10
	s_mov_b32 s29, 0
	s_or_b32 s10, s11, s26
	s_delay_alu instid0(SALU_CYCLE_1)
	s_add_co_i32 s26, s10, 0x38000000
.LBB4_12216:                            ;   in Loop: Header=BB4_12210 Depth=2
	s_and_b32 vcc_lo, exec_lo, s29
	s_cbranch_vccz .LBB4_12218
; %bb.12217:                            ;   in Loop: Header=BB4_12210 Depth=2
	s_cmp_gt_i32 s28, -1
	s_cselect_b32 s10, s20, 0xff800000
	s_cmp_eq_u32 s27, 0
	s_cselect_b32 s26, s10, 0x7f800001
.LBB4_12218:                            ;   in Loop: Header=BB4_12210 Depth=2
	v_add_nc_u64_e32 v[12:13], v[10:11], v[68:69]
	v_mov_b32_e32 v14, 0
	s_mov_b32 s10, exec_lo
	flat_load_i8 v80, v[12:13] th:TH_LOAD_NT
	s_wait_loadcnt_dscnt 0x0
	v_cmpx_ne_u16_e32 0, v80
	s_cbranch_execz .LBB4_12228
; %bb.12219:                            ;   in Loop: Header=BB4_12210 Depth=2
	v_bfrev_b32_e32 v14, 1
	s_mov_b32 s11, exec_lo
	v_cmpx_ne_u16_e32 0xff80, v80
	s_cbranch_execz .LBB4_12227
; %bb.12220:                            ;   in Loop: Header=BB4_12210 Depth=2
	v_and_b32_e32 v14, 0x7c, v80
	v_and_b32_e32 v2, 3, v80
	s_delay_alu instid0(VALU_DEP_2) | instskip(SKIP_1) | instid1(SALU_CYCLE_1)
	v_cmp_ne_u32_e32 vcc_lo, 0x7c, v14
                                        ; implicit-def: $vgpr14
	s_and_saveexec_b32 s27, vcc_lo
	s_xor_b32 s27, exec_lo, s27
	s_cbranch_execz .LBB4_12224
; %bb.12221:                            ;   in Loop: Header=BB4_12210 Depth=2
	v_and_b32_e32 v14, 0xff, v80
	s_mov_b32 s28, exec_lo
	s_delay_alu instid0(VALU_DEP_1) | instskip(NEXT) | instid1(VALU_DEP_1)
	v_bfe_u32 v14, v14, 2, 5
	v_cmpx_eq_u32_e32 0, v14
; %bb.12222:                            ;   in Loop: Header=BB4_12210 Depth=2
	v_clz_i32_u32_e32 v2, v2
	s_delay_alu instid0(VALU_DEP_1) | instskip(SKIP_1) | instid1(VALU_DEP_2)
	v_min_u32_e32 v2, 32, v2
	v_mov_b32_e32 v81, v15
	v_subrev_nc_u32_e32 v14, 29, v2
	s_delay_alu instid0(VALU_DEP_1) | instskip(NEXT) | instid1(VALU_DEP_1)
	v_lshlrev_b64_e32 v[20:21], v14, v[80:81]
	v_dual_sub_nc_u32 v14, 30, v2 :: v_dual_bitop2_b32 v2, 3, v20 bitop3:0x40
; %bb.12223:                            ;   in Loop: Header=BB4_12210 Depth=2
	s_or_b32 exec_lo, exec_lo, s28
	v_bfe_i32 v20, v80, 0, 16
                                        ; implicit-def: $vgpr80
	s_delay_alu instid0(VALU_DEP_1) | instskip(NEXT) | instid1(VALU_DEP_1)
	v_and_b32_e32 v20, 0x80000000, v20
	v_lshl_add_u32 v14, v14, 23, v20
	s_delay_alu instid0(VALU_DEP_1) | instskip(NEXT) | instid1(VALU_DEP_1)
	v_lshl_or_b32 v2, v2, 21, v14
	v_add_nc_u32_e32 v14, 0x38000000, v2
                                        ; implicit-def: $vgpr2
.LBB4_12224:                            ;   in Loop: Header=BB4_12210 Depth=2
	s_and_not1_saveexec_b32 s27, s27
; %bb.12225:                            ;   in Loop: Header=BB4_12210 Depth=2
	v_cmp_lt_i16_e32 vcc_lo, -1, v80
	v_cndmask_b32_e32 v14, 0xff800000, v100, vcc_lo
	v_cmp_eq_u32_e32 vcc_lo, 0, v2
	s_delay_alu instid0(VALU_DEP_2)
	v_cndmask_b32_e32 v14, 0x7f800001, v14, vcc_lo
; %bb.12226:                            ;   in Loop: Header=BB4_12210 Depth=2
	s_or_b32 exec_lo, exec_lo, s27
.LBB4_12227:                            ;   in Loop: Header=BB4_12210 Depth=2
	s_delay_alu instid0(SALU_CYCLE_1)
	s_or_b32 exec_lo, exec_lo, s11
.LBB4_12228:                            ;   in Loop: Header=BB4_12210 Depth=2
	s_delay_alu instid0(SALU_CYCLE_1) | instskip(NEXT) | instid1(VALU_DEP_1)
	s_or_b32 exec_lo, exec_lo, s10
	v_dual_mul_f32 v30, s26, v14 :: v_dual_mov_b32 v21, v15
                                        ; implicit-def: $vgpr86
	s_mov_b32 s10, exec_lo
	s_delay_alu instid0(VALU_DEP_1) | instskip(SKIP_1) | instid1(VALU_DEP_2)
	v_and_b32_e32 v20, 0x7f800000, v30
	v_and_b32_e32 v14, 0x7fffff, v30
	v_cmpx_ne_u64_e32 0x7f800000, v[20:21]
	s_xor_b32 s11, exec_lo, s10
	s_cbranch_execz .LBB4_12246
; %bb.12229:                            ;   in Loop: Header=BB4_12210 Depth=2
	v_dual_mov_b32 v21, v15 :: v_dual_lshrrev_b32 v2, 24, v30
	v_and_b32_e32 v20, 0x7fffffff, v30
                                        ; implicit-def: $vgpr86
	s_mov_b32 s10, exec_lo
	s_delay_alu instid0(VALU_DEP_2) | instskip(NEXT) | instid1(VALU_DEP_2)
	v_and_b32_e32 v2, 0x80, v2
	v_cmpx_gt_u64_e32 0x47600001, v[20:21]
	s_xor_b32 s27, exec_lo, s10
	s_cbranch_execz .LBB4_12243
; %bb.12230:                            ;   in Loop: Header=BB4_12210 Depth=2
	v_mov_b32_e32 v86, 0
	s_mov_b32 s28, exec_lo
	v_cmpx_ne_u32_e32 0, v30
	s_cbranch_execz .LBB4_12242
; %bb.12231:                            ;   in Loop: Header=BB4_12210 Depth=2
	v_bfe_u32 v20, v30, 23, 8
	v_or_b32_e32 v30, 0x800000, v14
	v_mov_b32_e32 v81, v15
	s_delay_alu instid0(VALU_DEP_3) | instskip(SKIP_1) | instid1(VALU_DEP_2)
	v_sub_nc_u32_e32 v21, 0x71, v20
	v_cmp_gt_u32_e32 vcc_lo, 0x72, v20
	v_cndmask_b32_e32 v21, 0, v21, vcc_lo
	v_cmp_eq_u32_e32 vcc_lo, 0, v20
	s_delay_alu instid0(VALU_DEP_2) | instskip(NEXT) | instid1(VALU_DEP_1)
	v_cndmask_b32_e64 v21, v21, 0x70, vcc_lo
	v_dual_cndmask_b32 v80, v30, v14, vcc_lo :: v_dual_add_nc_u32 v24, 21, v21
	v_add_nc_u32_e32 v82, 20, v21
	s_delay_alu instid0(VALU_DEP_2) | instskip(NEXT) | instid1(VALU_DEP_2)
	v_lshlrev_b64_e64 v[24:25], v24, -1
	v_lshlrev_b64_e64 v[82:83], v82, 1
	s_delay_alu instid0(VALU_DEP_2) | instskip(SKIP_1) | instid1(VALU_DEP_4)
	v_bfi_b32 v24, v24, 0, v80
	v_lshrrev_b64 v[80:81], v21, v[80:81]
	v_bfi_b32 v25, v25, 0, 0
	s_delay_alu instid0(VALU_DEP_1) | instskip(NEXT) | instid1(VALU_DEP_3)
	v_cmp_eq_u64_e64 s10, v[24:25], v[82:83]
	v_mov_b64_e32 v[82:83], v[80:81]
	s_and_saveexec_b32 s29, s10
; %bb.12232:                            ;   in Loop: Header=BB4_12210 Depth=2
	v_bfe_u32 v24, v80, 21, 1
	v_mov_b32_e32 v25, v15
	s_delay_alu instid0(VALU_DEP_1) | instskip(NEXT) | instid1(VALU_DEP_1)
	v_add_nc_u64_e32 v[24:25], v[80:81], v[24:25]
	v_add_nc_u64_e32 v[82:83], -1, v[24:25]
; %bb.12233:                            ;   in Loop: Header=BB4_12210 Depth=2
	s_or_b32 exec_lo, exec_lo, s29
	v_add_nc_u32_e32 v14, 0xffffff81, v20
	v_lshrrev_b32_e32 v20, 23, v80
	s_mov_b32 s10, exec_lo
	s_delay_alu instid0(VALU_DEP_2) | instskip(NEXT) | instid1(VALU_DEP_1)
	v_cndmask_b32_e64 v14, v14, 0xffffff82, vcc_lo
	v_add3_u32 v21, v21, v14, v20
	v_and_b32_e32 v14, 0x1fffff, v82
                                        ; implicit-def: $vgpr20
	s_delay_alu instid0(VALU_DEP_1) | instskip(NEXT) | instid1(VALU_DEP_1)
	v_dual_add_nc_u32 v30, 14, v21 :: v_dual_add_nc_u32 v14, v14, v80
                                        ; implicit-def: $vgpr80_vgpr81
	v_cmpx_ne_u32_e32 0, v30
	s_xor_b32 s10, exec_lo, s10
; %bb.12234:                            ;   in Loop: Header=BB4_12210 Depth=2
	s_delay_alu instid0(VALU_DEP_2) | instskip(SKIP_2) | instid1(VALU_DEP_2)
	v_cmp_lt_u64_e32 vcc_lo, 0xffffff, v[14:15]
	v_add_nc_u32_e32 v20, 15, v21
	v_cndmask_b32_e64 v21, 0, 1, vcc_lo
	v_cndmask_b32_e32 v20, v30, v20, vcc_lo
	s_delay_alu instid0(VALU_DEP_2)
	v_lshrrev_b64 v[80:81], v21, v[14:15]
; %bb.12235:                            ;   in Loop: Header=BB4_12210 Depth=2
	s_and_not1_saveexec_b32 s10, s10
; %bb.12236:                            ;   in Loop: Header=BB4_12210 Depth=2
	v_mov_b64_e32 v[80:81], v[14:15]
	v_bfe_u32 v20, v14, 23, 1
; %bb.12237:                            ;   in Loop: Header=BB4_12210 Depth=2
	s_or_b32 exec_lo, exec_lo, s10
	s_delay_alu instid0(VALU_DEP_2) | instskip(NEXT) | instid1(VALU_DEP_2)
	v_lshrrev_b64 v[24:25], 21, v[80:81]
	v_cmp_gt_i32_e32 vcc_lo, 32, v20
	v_cmp_ne_u32_e64 s10, 0, v20
                                        ; implicit-def: $vgpr86
	s_delay_alu instid0(VALU_DEP_3) | instskip(NEXT) | instid1(VALU_DEP_1)
	v_dual_cndmask_b32 v81, 0, v25 :: v_dual_cndmask_b32 v80, 3, v24
	v_cmp_ne_u64_e32 vcc_lo, 0, v[80:81]
	s_or_b32 s10, s10, vcc_lo
	s_delay_alu instid0(SALU_CYCLE_1) | instskip(NEXT) | instid1(SALU_CYCLE_1)
	s_and_saveexec_b32 s29, s10
	s_xor_b32 s10, exec_lo, s29
; %bb.12238:                            ;   in Loop: Header=BB4_12210 Depth=2
	v_min_i32_e32 v14, 31, v20
	s_delay_alu instid0(VALU_DEP_1) | instskip(NEXT) | instid1(VALU_DEP_1)
	v_lshl_or_b32 v2, v14, 2, v2
	v_and_or_b32 v86, v80, 3, v2
                                        ; implicit-def: $vgpr2
; %bb.12239:                            ;   in Loop: Header=BB4_12210 Depth=2
	s_and_not1_saveexec_b32 s10, s10
; %bb.12240:                            ;   in Loop: Header=BB4_12210 Depth=2
	v_mov_b32_e32 v86, v2
; %bb.12241:                            ;   in Loop: Header=BB4_12210 Depth=2
	s_or_b32 exec_lo, exec_lo, s10
.LBB4_12242:                            ;   in Loop: Header=BB4_12210 Depth=2
	s_delay_alu instid0(SALU_CYCLE_1)
	s_or_b32 exec_lo, exec_lo, s28
                                        ; implicit-def: $vgpr2
.LBB4_12243:                            ;   in Loop: Header=BB4_12210 Depth=2
	s_and_not1_saveexec_b32 s10, s27
; %bb.12244:                            ;   in Loop: Header=BB4_12210 Depth=2
	v_or_b32_e32 v86, 0x7b, v2
; %bb.12245:                            ;   in Loop: Header=BB4_12210 Depth=2
	s_or_b32 exec_lo, exec_lo, s10
                                        ; implicit-def: $vgpr30
.LBB4_12246:                            ;   in Loop: Header=BB4_12210 Depth=2
	s_and_not1_saveexec_b32 s10, s11
	s_cbranch_execz .LBB4_12252
; %bb.12247:                            ;   in Loop: Header=BB4_12210 Depth=2
	s_mov_b32 s11, exec_lo
                                        ; implicit-def: $vgpr86
	v_cmpx_ne_u64_e32 0, v[14:15]
	s_xor_b32 s11, exec_lo, s11
; %bb.12248:                            ;   in Loop: Header=BB4_12210 Depth=2
	v_lshrrev_b32_e32 v2, 24, v30
                                        ; implicit-def: $vgpr30
	s_delay_alu instid0(VALU_DEP_1)
	v_or_b32_e32 v86, 0x7f, v2
; %bb.12249:                            ;   in Loop: Header=BB4_12210 Depth=2
	s_and_not1_saveexec_b32 s11, s11
; %bb.12250:                            ;   in Loop: Header=BB4_12210 Depth=2
	v_cmp_lt_i32_e32 vcc_lo, -1, v30
	v_cndmask_b32_e64 v86, -4, 0x7c, vcc_lo
; %bb.12251:                            ;   in Loop: Header=BB4_12210 Depth=2
	s_or_b32 exec_lo, exec_lo, s11
.LBB4_12252:                            ;   in Loop: Header=BB4_12210 Depth=2
	s_delay_alu instid0(SALU_CYCLE_1)
	s_or_b32 exec_lo, exec_lo, s10
	flat_load_i8 v80, v[12:13] offset:32 th:TH_LOAD_NT
	v_mov_b32_e32 v14, 0
	s_mov_b32 s10, exec_lo
	s_wait_loadcnt_dscnt 0x0
	v_cmpx_ne_u16_e32 0, v80
	s_cbranch_execz .LBB4_12262
; %bb.12253:                            ;   in Loop: Header=BB4_12210 Depth=2
	v_bfrev_b32_e32 v14, 1
	s_mov_b32 s11, exec_lo
	v_cmpx_ne_u16_e32 0xff80, v80
	s_cbranch_execz .LBB4_12261
; %bb.12254:                            ;   in Loop: Header=BB4_12210 Depth=2
	v_and_b32_e32 v14, 0x7c, v80
	v_and_b32_e32 v2, 3, v80
	s_delay_alu instid0(VALU_DEP_2) | instskip(SKIP_1) | instid1(SALU_CYCLE_1)
	v_cmp_ne_u32_e32 vcc_lo, 0x7c, v14
                                        ; implicit-def: $vgpr14
	s_and_saveexec_b32 s27, vcc_lo
	s_xor_b32 s27, exec_lo, s27
	s_cbranch_execz .LBB4_12258
; %bb.12255:                            ;   in Loop: Header=BB4_12210 Depth=2
	v_and_b32_e32 v14, 0xff, v80
	s_mov_b32 s28, exec_lo
	s_delay_alu instid0(VALU_DEP_1) | instskip(NEXT) | instid1(VALU_DEP_1)
	v_bfe_u32 v14, v14, 2, 5
	v_cmpx_eq_u32_e32 0, v14
; %bb.12256:                            ;   in Loop: Header=BB4_12210 Depth=2
	v_clz_i32_u32_e32 v2, v2
	s_delay_alu instid0(VALU_DEP_1) | instskip(SKIP_1) | instid1(VALU_DEP_2)
	v_min_u32_e32 v2, 32, v2
	v_mov_b32_e32 v81, v15
	v_subrev_nc_u32_e32 v14, 29, v2
	s_delay_alu instid0(VALU_DEP_1) | instskip(NEXT) | instid1(VALU_DEP_1)
	v_lshlrev_b64_e32 v[20:21], v14, v[80:81]
	v_dual_sub_nc_u32 v14, 30, v2 :: v_dual_bitop2_b32 v2, 3, v20 bitop3:0x40
; %bb.12257:                            ;   in Loop: Header=BB4_12210 Depth=2
	s_or_b32 exec_lo, exec_lo, s28
	v_bfe_i32 v20, v80, 0, 16
                                        ; implicit-def: $vgpr80
	s_delay_alu instid0(VALU_DEP_1) | instskip(NEXT) | instid1(VALU_DEP_1)
	v_and_b32_e32 v20, 0x80000000, v20
	v_lshl_add_u32 v14, v14, 23, v20
	s_delay_alu instid0(VALU_DEP_1) | instskip(NEXT) | instid1(VALU_DEP_1)
	v_lshl_or_b32 v2, v2, 21, v14
	v_add_nc_u32_e32 v14, 0x38000000, v2
                                        ; implicit-def: $vgpr2
.LBB4_12258:                            ;   in Loop: Header=BB4_12210 Depth=2
	s_and_not1_saveexec_b32 s27, s27
; %bb.12259:                            ;   in Loop: Header=BB4_12210 Depth=2
	v_cmp_lt_i16_e32 vcc_lo, -1, v80
	v_cndmask_b32_e32 v14, 0xff800000, v100, vcc_lo
	v_cmp_eq_u32_e32 vcc_lo, 0, v2
	s_delay_alu instid0(VALU_DEP_2)
	v_cndmask_b32_e32 v14, 0x7f800001, v14, vcc_lo
; %bb.12260:                            ;   in Loop: Header=BB4_12210 Depth=2
	s_or_b32 exec_lo, exec_lo, s27
.LBB4_12261:                            ;   in Loop: Header=BB4_12210 Depth=2
	s_delay_alu instid0(SALU_CYCLE_1)
	s_or_b32 exec_lo, exec_lo, s11
.LBB4_12262:                            ;   in Loop: Header=BB4_12210 Depth=2
	s_delay_alu instid0(SALU_CYCLE_1) | instskip(NEXT) | instid1(VALU_DEP_1)
	s_or_b32 exec_lo, exec_lo, s10
	v_dual_mul_f32 v30, s26, v14 :: v_dual_mov_b32 v21, v15
                                        ; implicit-def: $vgpr87
	s_mov_b32 s10, exec_lo
	s_delay_alu instid0(VALU_DEP_1) | instskip(SKIP_1) | instid1(VALU_DEP_2)
	v_and_b32_e32 v20, 0x7f800000, v30
	v_and_b32_e32 v14, 0x7fffff, v30
	v_cmpx_ne_u64_e32 0x7f800000, v[20:21]
	s_xor_b32 s11, exec_lo, s10
	s_cbranch_execz .LBB4_12280
; %bb.12263:                            ;   in Loop: Header=BB4_12210 Depth=2
	v_dual_mov_b32 v21, v15 :: v_dual_lshrrev_b32 v2, 24, v30
	v_and_b32_e32 v20, 0x7fffffff, v30
                                        ; implicit-def: $vgpr87
	s_mov_b32 s10, exec_lo
	s_delay_alu instid0(VALU_DEP_2) | instskip(NEXT) | instid1(VALU_DEP_2)
	v_and_b32_e32 v2, 0x80, v2
	v_cmpx_gt_u64_e32 0x47600001, v[20:21]
	s_xor_b32 s27, exec_lo, s10
	s_cbranch_execz .LBB4_12277
; %bb.12264:                            ;   in Loop: Header=BB4_12210 Depth=2
	v_mov_b32_e32 v87, 0
	s_mov_b32 s28, exec_lo
	v_cmpx_ne_u32_e32 0, v30
	s_cbranch_execz .LBB4_12276
; %bb.12265:                            ;   in Loop: Header=BB4_12210 Depth=2
	v_bfe_u32 v20, v30, 23, 8
	v_or_b32_e32 v30, 0x800000, v14
	v_mov_b32_e32 v81, v15
	s_delay_alu instid0(VALU_DEP_3) | instskip(SKIP_1) | instid1(VALU_DEP_2)
	v_sub_nc_u32_e32 v21, 0x71, v20
	v_cmp_gt_u32_e32 vcc_lo, 0x72, v20
	v_cndmask_b32_e32 v21, 0, v21, vcc_lo
	v_cmp_eq_u32_e32 vcc_lo, 0, v20
	s_delay_alu instid0(VALU_DEP_2) | instskip(NEXT) | instid1(VALU_DEP_1)
	v_cndmask_b32_e64 v21, v21, 0x70, vcc_lo
	v_dual_cndmask_b32 v80, v30, v14, vcc_lo :: v_dual_add_nc_u32 v24, 21, v21
	v_add_nc_u32_e32 v82, 20, v21
	s_delay_alu instid0(VALU_DEP_2) | instskip(NEXT) | instid1(VALU_DEP_2)
	v_lshlrev_b64_e64 v[24:25], v24, -1
	v_lshlrev_b64_e64 v[82:83], v82, 1
	s_delay_alu instid0(VALU_DEP_2) | instskip(SKIP_1) | instid1(VALU_DEP_4)
	v_bfi_b32 v24, v24, 0, v80
	v_lshrrev_b64 v[80:81], v21, v[80:81]
	v_bfi_b32 v25, v25, 0, 0
	s_delay_alu instid0(VALU_DEP_1) | instskip(NEXT) | instid1(VALU_DEP_3)
	v_cmp_eq_u64_e64 s10, v[24:25], v[82:83]
	v_mov_b64_e32 v[82:83], v[80:81]
	s_and_saveexec_b32 s29, s10
; %bb.12266:                            ;   in Loop: Header=BB4_12210 Depth=2
	v_bfe_u32 v24, v80, 21, 1
	v_mov_b32_e32 v25, v15
	s_delay_alu instid0(VALU_DEP_1) | instskip(NEXT) | instid1(VALU_DEP_1)
	v_add_nc_u64_e32 v[24:25], v[80:81], v[24:25]
	v_add_nc_u64_e32 v[82:83], -1, v[24:25]
; %bb.12267:                            ;   in Loop: Header=BB4_12210 Depth=2
	s_or_b32 exec_lo, exec_lo, s29
	v_add_nc_u32_e32 v14, 0xffffff81, v20
	v_lshrrev_b32_e32 v20, 23, v80
	s_mov_b32 s10, exec_lo
	s_delay_alu instid0(VALU_DEP_2) | instskip(NEXT) | instid1(VALU_DEP_1)
	v_cndmask_b32_e64 v14, v14, 0xffffff82, vcc_lo
	v_add3_u32 v21, v21, v14, v20
	v_and_b32_e32 v14, 0x1fffff, v82
                                        ; implicit-def: $vgpr20
	s_delay_alu instid0(VALU_DEP_1) | instskip(NEXT) | instid1(VALU_DEP_1)
	v_dual_add_nc_u32 v30, 14, v21 :: v_dual_add_nc_u32 v14, v14, v80
                                        ; implicit-def: $vgpr80_vgpr81
	v_cmpx_ne_u32_e32 0, v30
	s_xor_b32 s10, exec_lo, s10
; %bb.12268:                            ;   in Loop: Header=BB4_12210 Depth=2
	s_delay_alu instid0(VALU_DEP_2) | instskip(SKIP_2) | instid1(VALU_DEP_2)
	v_cmp_lt_u64_e32 vcc_lo, 0xffffff, v[14:15]
	v_add_nc_u32_e32 v20, 15, v21
	v_cndmask_b32_e64 v21, 0, 1, vcc_lo
	v_cndmask_b32_e32 v20, v30, v20, vcc_lo
	s_delay_alu instid0(VALU_DEP_2)
	v_lshrrev_b64 v[80:81], v21, v[14:15]
; %bb.12269:                            ;   in Loop: Header=BB4_12210 Depth=2
	s_and_not1_saveexec_b32 s10, s10
; %bb.12270:                            ;   in Loop: Header=BB4_12210 Depth=2
	v_mov_b64_e32 v[80:81], v[14:15]
	v_bfe_u32 v20, v14, 23, 1
; %bb.12271:                            ;   in Loop: Header=BB4_12210 Depth=2
	s_or_b32 exec_lo, exec_lo, s10
	s_delay_alu instid0(VALU_DEP_2) | instskip(NEXT) | instid1(VALU_DEP_2)
	v_lshrrev_b64 v[24:25], 21, v[80:81]
	v_cmp_gt_i32_e32 vcc_lo, 32, v20
	v_cmp_ne_u32_e64 s10, 0, v20
                                        ; implicit-def: $vgpr87
	s_delay_alu instid0(VALU_DEP_3) | instskip(NEXT) | instid1(VALU_DEP_1)
	v_dual_cndmask_b32 v81, 0, v25 :: v_dual_cndmask_b32 v80, 3, v24
	v_cmp_ne_u64_e32 vcc_lo, 0, v[80:81]
	s_or_b32 s10, s10, vcc_lo
	s_delay_alu instid0(SALU_CYCLE_1) | instskip(NEXT) | instid1(SALU_CYCLE_1)
	s_and_saveexec_b32 s29, s10
	s_xor_b32 s10, exec_lo, s29
; %bb.12272:                            ;   in Loop: Header=BB4_12210 Depth=2
	v_min_i32_e32 v14, 31, v20
	s_delay_alu instid0(VALU_DEP_1) | instskip(NEXT) | instid1(VALU_DEP_1)
	v_lshl_or_b32 v2, v14, 2, v2
	v_and_or_b32 v87, v80, 3, v2
                                        ; implicit-def: $vgpr2
; %bb.12273:                            ;   in Loop: Header=BB4_12210 Depth=2
	s_and_not1_saveexec_b32 s10, s10
; %bb.12274:                            ;   in Loop: Header=BB4_12210 Depth=2
	v_mov_b32_e32 v87, v2
; %bb.12275:                            ;   in Loop: Header=BB4_12210 Depth=2
	s_or_b32 exec_lo, exec_lo, s10
.LBB4_12276:                            ;   in Loop: Header=BB4_12210 Depth=2
	s_delay_alu instid0(SALU_CYCLE_1)
	s_or_b32 exec_lo, exec_lo, s28
                                        ; implicit-def: $vgpr2
.LBB4_12277:                            ;   in Loop: Header=BB4_12210 Depth=2
	s_and_not1_saveexec_b32 s10, s27
; %bb.12278:                            ;   in Loop: Header=BB4_12210 Depth=2
	v_or_b32_e32 v87, 0x7b, v2
; %bb.12279:                            ;   in Loop: Header=BB4_12210 Depth=2
	s_or_b32 exec_lo, exec_lo, s10
                                        ; implicit-def: $vgpr30
.LBB4_12280:                            ;   in Loop: Header=BB4_12210 Depth=2
	s_and_not1_saveexec_b32 s10, s11
	s_cbranch_execz .LBB4_12286
; %bb.12281:                            ;   in Loop: Header=BB4_12210 Depth=2
	s_mov_b32 s11, exec_lo
                                        ; implicit-def: $vgpr87
	v_cmpx_ne_u64_e32 0, v[14:15]
	s_xor_b32 s11, exec_lo, s11
; %bb.12282:                            ;   in Loop: Header=BB4_12210 Depth=2
	v_lshrrev_b32_e32 v2, 24, v30
                                        ; implicit-def: $vgpr30
	s_delay_alu instid0(VALU_DEP_1)
	v_or_b32_e32 v87, 0x7f, v2
; %bb.12283:                            ;   in Loop: Header=BB4_12210 Depth=2
	s_and_not1_saveexec_b32 s11, s11
; %bb.12284:                            ;   in Loop: Header=BB4_12210 Depth=2
	v_cmp_lt_i32_e32 vcc_lo, -1, v30
	v_cndmask_b32_e64 v87, -4, 0x7c, vcc_lo
; %bb.12285:                            ;   in Loop: Header=BB4_12210 Depth=2
	s_or_b32 exec_lo, exec_lo, s11
.LBB4_12286:                            ;   in Loop: Header=BB4_12210 Depth=2
	s_delay_alu instid0(SALU_CYCLE_1)
	s_or_b32 exec_lo, exec_lo, s10
	flat_load_i8 v80, v[12:13] offset:64 th:TH_LOAD_NT
	v_mov_b32_e32 v14, 0
	s_mov_b32 s10, exec_lo
	s_wait_loadcnt_dscnt 0x0
	v_cmpx_ne_u16_e32 0, v80
	s_cbranch_execz .LBB4_12296
; %bb.12287:                            ;   in Loop: Header=BB4_12210 Depth=2
	v_bfrev_b32_e32 v14, 1
	s_mov_b32 s11, exec_lo
	v_cmpx_ne_u16_e32 0xff80, v80
	s_cbranch_execz .LBB4_12295
; %bb.12288:                            ;   in Loop: Header=BB4_12210 Depth=2
	v_and_b32_e32 v14, 0x7c, v80
	v_and_b32_e32 v2, 3, v80
	s_delay_alu instid0(VALU_DEP_2) | instskip(SKIP_1) | instid1(SALU_CYCLE_1)
	v_cmp_ne_u32_e32 vcc_lo, 0x7c, v14
                                        ; implicit-def: $vgpr14
	s_and_saveexec_b32 s27, vcc_lo
	s_xor_b32 s27, exec_lo, s27
	s_cbranch_execz .LBB4_12292
; %bb.12289:                            ;   in Loop: Header=BB4_12210 Depth=2
	v_and_b32_e32 v14, 0xff, v80
	s_mov_b32 s28, exec_lo
	s_delay_alu instid0(VALU_DEP_1) | instskip(NEXT) | instid1(VALU_DEP_1)
	v_bfe_u32 v14, v14, 2, 5
	v_cmpx_eq_u32_e32 0, v14
; %bb.12290:                            ;   in Loop: Header=BB4_12210 Depth=2
	v_clz_i32_u32_e32 v2, v2
	s_delay_alu instid0(VALU_DEP_1) | instskip(SKIP_1) | instid1(VALU_DEP_2)
	v_min_u32_e32 v2, 32, v2
	v_mov_b32_e32 v81, v15
	v_subrev_nc_u32_e32 v14, 29, v2
	s_delay_alu instid0(VALU_DEP_1) | instskip(NEXT) | instid1(VALU_DEP_1)
	v_lshlrev_b64_e32 v[20:21], v14, v[80:81]
	v_dual_sub_nc_u32 v14, 30, v2 :: v_dual_bitop2_b32 v2, 3, v20 bitop3:0x40
; %bb.12291:                            ;   in Loop: Header=BB4_12210 Depth=2
	s_or_b32 exec_lo, exec_lo, s28
	v_bfe_i32 v20, v80, 0, 16
                                        ; implicit-def: $vgpr80
	s_delay_alu instid0(VALU_DEP_1) | instskip(NEXT) | instid1(VALU_DEP_1)
	v_and_b32_e32 v20, 0x80000000, v20
	v_lshl_add_u32 v14, v14, 23, v20
	s_delay_alu instid0(VALU_DEP_1) | instskip(NEXT) | instid1(VALU_DEP_1)
	v_lshl_or_b32 v2, v2, 21, v14
	v_add_nc_u32_e32 v14, 0x38000000, v2
                                        ; implicit-def: $vgpr2
.LBB4_12292:                            ;   in Loop: Header=BB4_12210 Depth=2
	s_and_not1_saveexec_b32 s27, s27
; %bb.12293:                            ;   in Loop: Header=BB4_12210 Depth=2
	v_cmp_lt_i16_e32 vcc_lo, -1, v80
	v_cndmask_b32_e32 v14, 0xff800000, v100, vcc_lo
	v_cmp_eq_u32_e32 vcc_lo, 0, v2
	s_delay_alu instid0(VALU_DEP_2)
	v_cndmask_b32_e32 v14, 0x7f800001, v14, vcc_lo
; %bb.12294:                            ;   in Loop: Header=BB4_12210 Depth=2
	s_or_b32 exec_lo, exec_lo, s27
.LBB4_12295:                            ;   in Loop: Header=BB4_12210 Depth=2
	s_delay_alu instid0(SALU_CYCLE_1)
	s_or_b32 exec_lo, exec_lo, s11
.LBB4_12296:                            ;   in Loop: Header=BB4_12210 Depth=2
	s_delay_alu instid0(SALU_CYCLE_1) | instskip(NEXT) | instid1(VALU_DEP_1)
	s_or_b32 exec_lo, exec_lo, s10
	v_dual_mul_f32 v30, s26, v14 :: v_dual_mov_b32 v21, v15
                                        ; implicit-def: $vgpr96
	s_mov_b32 s10, exec_lo
	s_delay_alu instid0(VALU_DEP_1) | instskip(SKIP_1) | instid1(VALU_DEP_2)
	v_and_b32_e32 v20, 0x7f800000, v30
	v_and_b32_e32 v14, 0x7fffff, v30
	v_cmpx_ne_u64_e32 0x7f800000, v[20:21]
	s_xor_b32 s11, exec_lo, s10
	s_cbranch_execz .LBB4_12314
; %bb.12297:                            ;   in Loop: Header=BB4_12210 Depth=2
	v_dual_mov_b32 v21, v15 :: v_dual_lshrrev_b32 v2, 24, v30
	v_and_b32_e32 v20, 0x7fffffff, v30
                                        ; implicit-def: $vgpr96
	s_mov_b32 s10, exec_lo
	s_delay_alu instid0(VALU_DEP_2) | instskip(NEXT) | instid1(VALU_DEP_2)
	v_and_b32_e32 v2, 0x80, v2
	v_cmpx_gt_u64_e32 0x47600001, v[20:21]
	s_xor_b32 s27, exec_lo, s10
	s_cbranch_execz .LBB4_12311
; %bb.12298:                            ;   in Loop: Header=BB4_12210 Depth=2
	v_mov_b32_e32 v96, 0
	s_mov_b32 s28, exec_lo
	v_cmpx_ne_u32_e32 0, v30
	s_cbranch_execz .LBB4_12310
; %bb.12299:                            ;   in Loop: Header=BB4_12210 Depth=2
	v_bfe_u32 v20, v30, 23, 8
	v_or_b32_e32 v30, 0x800000, v14
	v_mov_b32_e32 v81, v15
	s_delay_alu instid0(VALU_DEP_3) | instskip(SKIP_1) | instid1(VALU_DEP_2)
	v_sub_nc_u32_e32 v21, 0x71, v20
	v_cmp_gt_u32_e32 vcc_lo, 0x72, v20
	v_cndmask_b32_e32 v21, 0, v21, vcc_lo
	v_cmp_eq_u32_e32 vcc_lo, 0, v20
	s_delay_alu instid0(VALU_DEP_2) | instskip(NEXT) | instid1(VALU_DEP_1)
	v_cndmask_b32_e64 v21, v21, 0x70, vcc_lo
	v_dual_cndmask_b32 v80, v30, v14, vcc_lo :: v_dual_add_nc_u32 v24, 21, v21
	v_add_nc_u32_e32 v82, 20, v21
	s_delay_alu instid0(VALU_DEP_2) | instskip(NEXT) | instid1(VALU_DEP_2)
	v_lshlrev_b64_e64 v[24:25], v24, -1
	v_lshlrev_b64_e64 v[82:83], v82, 1
	s_delay_alu instid0(VALU_DEP_2) | instskip(SKIP_1) | instid1(VALU_DEP_4)
	v_bfi_b32 v24, v24, 0, v80
	v_lshrrev_b64 v[80:81], v21, v[80:81]
	v_bfi_b32 v25, v25, 0, 0
	s_delay_alu instid0(VALU_DEP_1) | instskip(NEXT) | instid1(VALU_DEP_3)
	v_cmp_eq_u64_e64 s10, v[24:25], v[82:83]
	v_mov_b64_e32 v[82:83], v[80:81]
	s_and_saveexec_b32 s29, s10
; %bb.12300:                            ;   in Loop: Header=BB4_12210 Depth=2
	v_bfe_u32 v24, v80, 21, 1
	v_mov_b32_e32 v25, v15
	s_delay_alu instid0(VALU_DEP_1) | instskip(NEXT) | instid1(VALU_DEP_1)
	v_add_nc_u64_e32 v[24:25], v[80:81], v[24:25]
	v_add_nc_u64_e32 v[82:83], -1, v[24:25]
; %bb.12301:                            ;   in Loop: Header=BB4_12210 Depth=2
	s_or_b32 exec_lo, exec_lo, s29
	v_add_nc_u32_e32 v14, 0xffffff81, v20
	v_lshrrev_b32_e32 v20, 23, v80
	s_mov_b32 s10, exec_lo
	s_delay_alu instid0(VALU_DEP_2) | instskip(NEXT) | instid1(VALU_DEP_1)
	v_cndmask_b32_e64 v14, v14, 0xffffff82, vcc_lo
	v_add3_u32 v21, v21, v14, v20
	v_and_b32_e32 v14, 0x1fffff, v82
                                        ; implicit-def: $vgpr20
	s_delay_alu instid0(VALU_DEP_1) | instskip(NEXT) | instid1(VALU_DEP_1)
	v_dual_add_nc_u32 v30, 14, v21 :: v_dual_add_nc_u32 v14, v14, v80
                                        ; implicit-def: $vgpr80_vgpr81
	v_cmpx_ne_u32_e32 0, v30
	s_xor_b32 s10, exec_lo, s10
; %bb.12302:                            ;   in Loop: Header=BB4_12210 Depth=2
	s_delay_alu instid0(VALU_DEP_2) | instskip(SKIP_2) | instid1(VALU_DEP_2)
	v_cmp_lt_u64_e32 vcc_lo, 0xffffff, v[14:15]
	v_add_nc_u32_e32 v20, 15, v21
	v_cndmask_b32_e64 v21, 0, 1, vcc_lo
	v_cndmask_b32_e32 v20, v30, v20, vcc_lo
	s_delay_alu instid0(VALU_DEP_2)
	v_lshrrev_b64 v[80:81], v21, v[14:15]
; %bb.12303:                            ;   in Loop: Header=BB4_12210 Depth=2
	s_and_not1_saveexec_b32 s10, s10
; %bb.12304:                            ;   in Loop: Header=BB4_12210 Depth=2
	v_mov_b64_e32 v[80:81], v[14:15]
	v_bfe_u32 v20, v14, 23, 1
; %bb.12305:                            ;   in Loop: Header=BB4_12210 Depth=2
	s_or_b32 exec_lo, exec_lo, s10
	s_delay_alu instid0(VALU_DEP_2) | instskip(NEXT) | instid1(VALU_DEP_2)
	v_lshrrev_b64 v[24:25], 21, v[80:81]
	v_cmp_gt_i32_e32 vcc_lo, 32, v20
	v_cmp_ne_u32_e64 s10, 0, v20
                                        ; implicit-def: $vgpr96
	s_delay_alu instid0(VALU_DEP_3) | instskip(NEXT) | instid1(VALU_DEP_1)
	v_dual_cndmask_b32 v81, 0, v25 :: v_dual_cndmask_b32 v80, 3, v24
	v_cmp_ne_u64_e32 vcc_lo, 0, v[80:81]
	s_or_b32 s10, s10, vcc_lo
	s_delay_alu instid0(SALU_CYCLE_1) | instskip(NEXT) | instid1(SALU_CYCLE_1)
	s_and_saveexec_b32 s29, s10
	s_xor_b32 s10, exec_lo, s29
; %bb.12306:                            ;   in Loop: Header=BB4_12210 Depth=2
	v_min_i32_e32 v14, 31, v20
	s_delay_alu instid0(VALU_DEP_1) | instskip(NEXT) | instid1(VALU_DEP_1)
	v_lshl_or_b32 v2, v14, 2, v2
	v_and_or_b32 v96, v80, 3, v2
                                        ; implicit-def: $vgpr2
; %bb.12307:                            ;   in Loop: Header=BB4_12210 Depth=2
	s_and_not1_saveexec_b32 s10, s10
; %bb.12308:                            ;   in Loop: Header=BB4_12210 Depth=2
	v_mov_b32_e32 v96, v2
; %bb.12309:                            ;   in Loop: Header=BB4_12210 Depth=2
	s_or_b32 exec_lo, exec_lo, s10
.LBB4_12310:                            ;   in Loop: Header=BB4_12210 Depth=2
	s_delay_alu instid0(SALU_CYCLE_1)
	s_or_b32 exec_lo, exec_lo, s28
                                        ; implicit-def: $vgpr2
.LBB4_12311:                            ;   in Loop: Header=BB4_12210 Depth=2
	s_and_not1_saveexec_b32 s10, s27
; %bb.12312:                            ;   in Loop: Header=BB4_12210 Depth=2
	v_or_b32_e32 v96, 0x7b, v2
; %bb.12313:                            ;   in Loop: Header=BB4_12210 Depth=2
	s_or_b32 exec_lo, exec_lo, s10
                                        ; implicit-def: $vgpr30
.LBB4_12314:                            ;   in Loop: Header=BB4_12210 Depth=2
	s_and_not1_saveexec_b32 s10, s11
	s_cbranch_execz .LBB4_12320
; %bb.12315:                            ;   in Loop: Header=BB4_12210 Depth=2
	s_mov_b32 s11, exec_lo
                                        ; implicit-def: $vgpr96
	v_cmpx_ne_u64_e32 0, v[14:15]
	s_xor_b32 s11, exec_lo, s11
; %bb.12316:                            ;   in Loop: Header=BB4_12210 Depth=2
	v_lshrrev_b32_e32 v2, 24, v30
                                        ; implicit-def: $vgpr30
	s_delay_alu instid0(VALU_DEP_1)
	v_or_b32_e32 v96, 0x7f, v2
; %bb.12317:                            ;   in Loop: Header=BB4_12210 Depth=2
	s_and_not1_saveexec_b32 s11, s11
; %bb.12318:                            ;   in Loop: Header=BB4_12210 Depth=2
	v_cmp_lt_i32_e32 vcc_lo, -1, v30
	v_cndmask_b32_e64 v96, -4, 0x7c, vcc_lo
; %bb.12319:                            ;   in Loop: Header=BB4_12210 Depth=2
	s_or_b32 exec_lo, exec_lo, s11
.LBB4_12320:                            ;   in Loop: Header=BB4_12210 Depth=2
	s_delay_alu instid0(SALU_CYCLE_1)
	s_or_b32 exec_lo, exec_lo, s10
	flat_load_i8 v80, v[12:13] offset:96 th:TH_LOAD_NT
	v_mov_b32_e32 v14, 0
	s_mov_b32 s10, exec_lo
	s_wait_loadcnt_dscnt 0x0
	v_cmpx_ne_u16_e32 0, v80
	s_cbranch_execz .LBB4_12330
; %bb.12321:                            ;   in Loop: Header=BB4_12210 Depth=2
	v_bfrev_b32_e32 v14, 1
	s_mov_b32 s11, exec_lo
	v_cmpx_ne_u16_e32 0xff80, v80
	s_cbranch_execz .LBB4_12329
; %bb.12322:                            ;   in Loop: Header=BB4_12210 Depth=2
	v_and_b32_e32 v14, 0x7c, v80
	v_and_b32_e32 v2, 3, v80
	s_delay_alu instid0(VALU_DEP_2) | instskip(SKIP_1) | instid1(SALU_CYCLE_1)
	v_cmp_ne_u32_e32 vcc_lo, 0x7c, v14
                                        ; implicit-def: $vgpr14
	s_and_saveexec_b32 s27, vcc_lo
	s_xor_b32 s27, exec_lo, s27
	s_cbranch_execz .LBB4_12326
; %bb.12323:                            ;   in Loop: Header=BB4_12210 Depth=2
	v_and_b32_e32 v14, 0xff, v80
	s_mov_b32 s28, exec_lo
	s_delay_alu instid0(VALU_DEP_1) | instskip(NEXT) | instid1(VALU_DEP_1)
	v_bfe_u32 v14, v14, 2, 5
	v_cmpx_eq_u32_e32 0, v14
; %bb.12324:                            ;   in Loop: Header=BB4_12210 Depth=2
	v_clz_i32_u32_e32 v2, v2
	s_delay_alu instid0(VALU_DEP_1) | instskip(SKIP_1) | instid1(VALU_DEP_2)
	v_min_u32_e32 v2, 32, v2
	v_mov_b32_e32 v81, v15
	v_subrev_nc_u32_e32 v14, 29, v2
	s_delay_alu instid0(VALU_DEP_1) | instskip(NEXT) | instid1(VALU_DEP_1)
	v_lshlrev_b64_e32 v[20:21], v14, v[80:81]
	v_dual_sub_nc_u32 v14, 30, v2 :: v_dual_bitop2_b32 v2, 3, v20 bitop3:0x40
; %bb.12325:                            ;   in Loop: Header=BB4_12210 Depth=2
	s_or_b32 exec_lo, exec_lo, s28
	v_bfe_i32 v20, v80, 0, 16
                                        ; implicit-def: $vgpr80
	s_delay_alu instid0(VALU_DEP_1) | instskip(NEXT) | instid1(VALU_DEP_1)
	v_and_b32_e32 v20, 0x80000000, v20
	v_lshl_add_u32 v14, v14, 23, v20
	s_delay_alu instid0(VALU_DEP_1) | instskip(NEXT) | instid1(VALU_DEP_1)
	v_lshl_or_b32 v2, v2, 21, v14
	v_add_nc_u32_e32 v14, 0x38000000, v2
                                        ; implicit-def: $vgpr2
.LBB4_12326:                            ;   in Loop: Header=BB4_12210 Depth=2
	s_and_not1_saveexec_b32 s27, s27
; %bb.12327:                            ;   in Loop: Header=BB4_12210 Depth=2
	v_cmp_lt_i16_e32 vcc_lo, -1, v80
	v_cndmask_b32_e32 v14, 0xff800000, v100, vcc_lo
	v_cmp_eq_u32_e32 vcc_lo, 0, v2
	s_delay_alu instid0(VALU_DEP_2)
	v_cndmask_b32_e32 v14, 0x7f800001, v14, vcc_lo
; %bb.12328:                            ;   in Loop: Header=BB4_12210 Depth=2
	s_or_b32 exec_lo, exec_lo, s27
.LBB4_12329:                            ;   in Loop: Header=BB4_12210 Depth=2
	s_delay_alu instid0(SALU_CYCLE_1)
	s_or_b32 exec_lo, exec_lo, s11
.LBB4_12330:                            ;   in Loop: Header=BB4_12210 Depth=2
	s_delay_alu instid0(SALU_CYCLE_1) | instskip(NEXT) | instid1(VALU_DEP_1)
	s_or_b32 exec_lo, exec_lo, s10
	v_dual_mul_f32 v30, s26, v14 :: v_dual_mov_b32 v21, v15
                                        ; implicit-def: $vgpr97
	s_mov_b32 s10, exec_lo
	s_delay_alu instid0(VALU_DEP_1) | instskip(SKIP_1) | instid1(VALU_DEP_2)
	v_and_b32_e32 v20, 0x7f800000, v30
	v_and_b32_e32 v14, 0x7fffff, v30
	v_cmpx_ne_u64_e32 0x7f800000, v[20:21]
	s_xor_b32 s11, exec_lo, s10
	s_cbranch_execz .LBB4_12348
; %bb.12331:                            ;   in Loop: Header=BB4_12210 Depth=2
	v_dual_mov_b32 v21, v15 :: v_dual_lshrrev_b32 v2, 24, v30
	v_and_b32_e32 v20, 0x7fffffff, v30
                                        ; implicit-def: $vgpr97
	s_mov_b32 s10, exec_lo
	s_delay_alu instid0(VALU_DEP_2) | instskip(NEXT) | instid1(VALU_DEP_2)
	v_and_b32_e32 v2, 0x80, v2
	v_cmpx_gt_u64_e32 0x47600001, v[20:21]
	s_xor_b32 s27, exec_lo, s10
	s_cbranch_execz .LBB4_12345
; %bb.12332:                            ;   in Loop: Header=BB4_12210 Depth=2
	v_mov_b32_e32 v97, 0
	s_mov_b32 s28, exec_lo
	v_cmpx_ne_u32_e32 0, v30
	s_cbranch_execz .LBB4_12344
; %bb.12333:                            ;   in Loop: Header=BB4_12210 Depth=2
	v_bfe_u32 v20, v30, 23, 8
	v_or_b32_e32 v30, 0x800000, v14
	v_mov_b32_e32 v81, v15
	s_delay_alu instid0(VALU_DEP_3) | instskip(SKIP_1) | instid1(VALU_DEP_2)
	v_sub_nc_u32_e32 v21, 0x71, v20
	v_cmp_gt_u32_e32 vcc_lo, 0x72, v20
	v_cndmask_b32_e32 v21, 0, v21, vcc_lo
	v_cmp_eq_u32_e32 vcc_lo, 0, v20
	s_delay_alu instid0(VALU_DEP_2) | instskip(NEXT) | instid1(VALU_DEP_1)
	v_cndmask_b32_e64 v21, v21, 0x70, vcc_lo
	v_dual_cndmask_b32 v80, v30, v14, vcc_lo :: v_dual_add_nc_u32 v24, 21, v21
	v_add_nc_u32_e32 v82, 20, v21
	s_delay_alu instid0(VALU_DEP_2) | instskip(NEXT) | instid1(VALU_DEP_2)
	v_lshlrev_b64_e64 v[24:25], v24, -1
	v_lshlrev_b64_e64 v[82:83], v82, 1
	s_delay_alu instid0(VALU_DEP_2) | instskip(SKIP_1) | instid1(VALU_DEP_4)
	v_bfi_b32 v24, v24, 0, v80
	v_lshrrev_b64 v[80:81], v21, v[80:81]
	v_bfi_b32 v25, v25, 0, 0
	s_delay_alu instid0(VALU_DEP_1) | instskip(NEXT) | instid1(VALU_DEP_3)
	v_cmp_eq_u64_e64 s10, v[24:25], v[82:83]
	v_mov_b64_e32 v[82:83], v[80:81]
	s_and_saveexec_b32 s29, s10
; %bb.12334:                            ;   in Loop: Header=BB4_12210 Depth=2
	v_bfe_u32 v24, v80, 21, 1
	v_mov_b32_e32 v25, v15
	s_delay_alu instid0(VALU_DEP_1) | instskip(NEXT) | instid1(VALU_DEP_1)
	v_add_nc_u64_e32 v[24:25], v[80:81], v[24:25]
	v_add_nc_u64_e32 v[82:83], -1, v[24:25]
; %bb.12335:                            ;   in Loop: Header=BB4_12210 Depth=2
	s_or_b32 exec_lo, exec_lo, s29
	v_add_nc_u32_e32 v14, 0xffffff81, v20
	v_lshrrev_b32_e32 v20, 23, v80
	s_mov_b32 s10, exec_lo
	s_delay_alu instid0(VALU_DEP_2) | instskip(NEXT) | instid1(VALU_DEP_1)
	v_cndmask_b32_e64 v14, v14, 0xffffff82, vcc_lo
	v_add3_u32 v21, v21, v14, v20
	v_and_b32_e32 v14, 0x1fffff, v82
                                        ; implicit-def: $vgpr20
	s_delay_alu instid0(VALU_DEP_1) | instskip(NEXT) | instid1(VALU_DEP_1)
	v_dual_add_nc_u32 v30, 14, v21 :: v_dual_add_nc_u32 v14, v14, v80
                                        ; implicit-def: $vgpr80_vgpr81
	v_cmpx_ne_u32_e32 0, v30
	s_xor_b32 s10, exec_lo, s10
; %bb.12336:                            ;   in Loop: Header=BB4_12210 Depth=2
	s_delay_alu instid0(VALU_DEP_2) | instskip(SKIP_2) | instid1(VALU_DEP_2)
	v_cmp_lt_u64_e32 vcc_lo, 0xffffff, v[14:15]
	v_add_nc_u32_e32 v20, 15, v21
	v_cndmask_b32_e64 v21, 0, 1, vcc_lo
	v_cndmask_b32_e32 v20, v30, v20, vcc_lo
	s_delay_alu instid0(VALU_DEP_2)
	v_lshrrev_b64 v[80:81], v21, v[14:15]
; %bb.12337:                            ;   in Loop: Header=BB4_12210 Depth=2
	s_and_not1_saveexec_b32 s10, s10
; %bb.12338:                            ;   in Loop: Header=BB4_12210 Depth=2
	v_mov_b64_e32 v[80:81], v[14:15]
	v_bfe_u32 v20, v14, 23, 1
; %bb.12339:                            ;   in Loop: Header=BB4_12210 Depth=2
	s_or_b32 exec_lo, exec_lo, s10
	s_delay_alu instid0(VALU_DEP_2) | instskip(NEXT) | instid1(VALU_DEP_2)
	v_lshrrev_b64 v[24:25], 21, v[80:81]
	v_cmp_gt_i32_e32 vcc_lo, 32, v20
	v_cmp_ne_u32_e64 s10, 0, v20
                                        ; implicit-def: $vgpr97
	s_delay_alu instid0(VALU_DEP_3) | instskip(NEXT) | instid1(VALU_DEP_1)
	v_dual_cndmask_b32 v81, 0, v25 :: v_dual_cndmask_b32 v80, 3, v24
	v_cmp_ne_u64_e32 vcc_lo, 0, v[80:81]
	s_or_b32 s10, s10, vcc_lo
	s_delay_alu instid0(SALU_CYCLE_1) | instskip(NEXT) | instid1(SALU_CYCLE_1)
	s_and_saveexec_b32 s29, s10
	s_xor_b32 s10, exec_lo, s29
; %bb.12340:                            ;   in Loop: Header=BB4_12210 Depth=2
	v_min_i32_e32 v14, 31, v20
	s_delay_alu instid0(VALU_DEP_1) | instskip(NEXT) | instid1(VALU_DEP_1)
	v_lshl_or_b32 v2, v14, 2, v2
	v_and_or_b32 v97, v80, 3, v2
                                        ; implicit-def: $vgpr2
; %bb.12341:                            ;   in Loop: Header=BB4_12210 Depth=2
	s_and_not1_saveexec_b32 s10, s10
; %bb.12342:                            ;   in Loop: Header=BB4_12210 Depth=2
	v_mov_b32_e32 v97, v2
; %bb.12343:                            ;   in Loop: Header=BB4_12210 Depth=2
	s_or_b32 exec_lo, exec_lo, s10
.LBB4_12344:                            ;   in Loop: Header=BB4_12210 Depth=2
	s_delay_alu instid0(SALU_CYCLE_1)
	s_or_b32 exec_lo, exec_lo, s28
                                        ; implicit-def: $vgpr2
.LBB4_12345:                            ;   in Loop: Header=BB4_12210 Depth=2
	s_and_not1_saveexec_b32 s10, s27
; %bb.12346:                            ;   in Loop: Header=BB4_12210 Depth=2
	v_or_b32_e32 v97, 0x7b, v2
; %bb.12347:                            ;   in Loop: Header=BB4_12210 Depth=2
	s_or_b32 exec_lo, exec_lo, s10
                                        ; implicit-def: $vgpr30
.LBB4_12348:                            ;   in Loop: Header=BB4_12210 Depth=2
	s_and_not1_saveexec_b32 s10, s11
	s_cbranch_execz .LBB4_12354
; %bb.12349:                            ;   in Loop: Header=BB4_12210 Depth=2
	s_mov_b32 s11, exec_lo
                                        ; implicit-def: $vgpr97
	v_cmpx_ne_u64_e32 0, v[14:15]
	s_xor_b32 s11, exec_lo, s11
; %bb.12350:                            ;   in Loop: Header=BB4_12210 Depth=2
	v_lshrrev_b32_e32 v2, 24, v30
                                        ; implicit-def: $vgpr30
	s_delay_alu instid0(VALU_DEP_1)
	v_or_b32_e32 v97, 0x7f, v2
; %bb.12351:                            ;   in Loop: Header=BB4_12210 Depth=2
	s_and_not1_saveexec_b32 s11, s11
; %bb.12352:                            ;   in Loop: Header=BB4_12210 Depth=2
	v_cmp_lt_i32_e32 vcc_lo, -1, v30
	v_cndmask_b32_e64 v97, -4, 0x7c, vcc_lo
; %bb.12353:                            ;   in Loop: Header=BB4_12210 Depth=2
	s_or_b32 exec_lo, exec_lo, s11
.LBB4_12354:                            ;   in Loop: Header=BB4_12210 Depth=2
	s_delay_alu instid0(SALU_CYCLE_1)
	s_or_b32 exec_lo, exec_lo, s10
	flat_load_i8 v80, v[12:13] offset:128 th:TH_LOAD_NT
	v_mov_b32_e32 v14, 0
	s_mov_b32 s10, exec_lo
	s_wait_loadcnt_dscnt 0x0
	v_cmpx_ne_u16_e32 0, v80
	s_cbranch_execz .LBB4_12364
; %bb.12355:                            ;   in Loop: Header=BB4_12210 Depth=2
	v_bfrev_b32_e32 v14, 1
	s_mov_b32 s11, exec_lo
	v_cmpx_ne_u16_e32 0xff80, v80
	s_cbranch_execz .LBB4_12363
; %bb.12356:                            ;   in Loop: Header=BB4_12210 Depth=2
	v_and_b32_e32 v14, 0x7c, v80
	v_and_b32_e32 v2, 3, v80
	s_delay_alu instid0(VALU_DEP_2) | instskip(SKIP_1) | instid1(SALU_CYCLE_1)
	v_cmp_ne_u32_e32 vcc_lo, 0x7c, v14
                                        ; implicit-def: $vgpr14
	s_and_saveexec_b32 s27, vcc_lo
	s_xor_b32 s27, exec_lo, s27
	s_cbranch_execz .LBB4_12360
; %bb.12357:                            ;   in Loop: Header=BB4_12210 Depth=2
	v_and_b32_e32 v14, 0xff, v80
	s_mov_b32 s28, exec_lo
	s_delay_alu instid0(VALU_DEP_1) | instskip(NEXT) | instid1(VALU_DEP_1)
	v_bfe_u32 v14, v14, 2, 5
	v_cmpx_eq_u32_e32 0, v14
; %bb.12358:                            ;   in Loop: Header=BB4_12210 Depth=2
	v_clz_i32_u32_e32 v2, v2
	s_delay_alu instid0(VALU_DEP_1) | instskip(SKIP_1) | instid1(VALU_DEP_2)
	v_min_u32_e32 v2, 32, v2
	v_mov_b32_e32 v81, v15
	v_subrev_nc_u32_e32 v14, 29, v2
	s_delay_alu instid0(VALU_DEP_1) | instskip(NEXT) | instid1(VALU_DEP_1)
	v_lshlrev_b64_e32 v[20:21], v14, v[80:81]
	v_dual_sub_nc_u32 v14, 30, v2 :: v_dual_bitop2_b32 v2, 3, v20 bitop3:0x40
; %bb.12359:                            ;   in Loop: Header=BB4_12210 Depth=2
	s_or_b32 exec_lo, exec_lo, s28
	v_bfe_i32 v20, v80, 0, 16
                                        ; implicit-def: $vgpr80
	s_delay_alu instid0(VALU_DEP_1) | instskip(NEXT) | instid1(VALU_DEP_1)
	v_and_b32_e32 v20, 0x80000000, v20
	v_lshl_add_u32 v14, v14, 23, v20
	s_delay_alu instid0(VALU_DEP_1) | instskip(NEXT) | instid1(VALU_DEP_1)
	v_lshl_or_b32 v2, v2, 21, v14
	v_add_nc_u32_e32 v14, 0x38000000, v2
                                        ; implicit-def: $vgpr2
.LBB4_12360:                            ;   in Loop: Header=BB4_12210 Depth=2
	s_and_not1_saveexec_b32 s27, s27
; %bb.12361:                            ;   in Loop: Header=BB4_12210 Depth=2
	v_cmp_lt_i16_e32 vcc_lo, -1, v80
	v_cndmask_b32_e32 v14, 0xff800000, v100, vcc_lo
	v_cmp_eq_u32_e32 vcc_lo, 0, v2
	s_delay_alu instid0(VALU_DEP_2)
	v_cndmask_b32_e32 v14, 0x7f800001, v14, vcc_lo
; %bb.12362:                            ;   in Loop: Header=BB4_12210 Depth=2
	s_or_b32 exec_lo, exec_lo, s27
.LBB4_12363:                            ;   in Loop: Header=BB4_12210 Depth=2
	s_delay_alu instid0(SALU_CYCLE_1)
	s_or_b32 exec_lo, exec_lo, s11
.LBB4_12364:                            ;   in Loop: Header=BB4_12210 Depth=2
	s_delay_alu instid0(SALU_CYCLE_1) | instskip(NEXT) | instid1(VALU_DEP_1)
	s_or_b32 exec_lo, exec_lo, s10
	v_dual_mul_f32 v30, s26, v14 :: v_dual_mov_b32 v21, v15
                                        ; implicit-def: $vgpr102
	s_mov_b32 s10, exec_lo
	s_delay_alu instid0(VALU_DEP_1) | instskip(SKIP_1) | instid1(VALU_DEP_2)
	v_and_b32_e32 v20, 0x7f800000, v30
	v_and_b32_e32 v14, 0x7fffff, v30
	v_cmpx_ne_u64_e32 0x7f800000, v[20:21]
	s_xor_b32 s11, exec_lo, s10
	s_cbranch_execz .LBB4_12382
; %bb.12365:                            ;   in Loop: Header=BB4_12210 Depth=2
	v_dual_mov_b32 v21, v15 :: v_dual_lshrrev_b32 v2, 24, v30
	v_and_b32_e32 v20, 0x7fffffff, v30
                                        ; implicit-def: $vgpr102
	s_mov_b32 s10, exec_lo
	s_delay_alu instid0(VALU_DEP_2) | instskip(NEXT) | instid1(VALU_DEP_2)
	v_and_b32_e32 v2, 0x80, v2
	v_cmpx_gt_u64_e32 0x47600001, v[20:21]
	s_xor_b32 s27, exec_lo, s10
	s_cbranch_execz .LBB4_12379
; %bb.12366:                            ;   in Loop: Header=BB4_12210 Depth=2
	v_mov_b32_e32 v102, 0
	s_mov_b32 s28, exec_lo
	v_cmpx_ne_u32_e32 0, v30
	s_cbranch_execz .LBB4_12378
; %bb.12367:                            ;   in Loop: Header=BB4_12210 Depth=2
	v_bfe_u32 v20, v30, 23, 8
	v_or_b32_e32 v30, 0x800000, v14
	v_mov_b32_e32 v81, v15
	s_delay_alu instid0(VALU_DEP_3) | instskip(SKIP_1) | instid1(VALU_DEP_2)
	v_sub_nc_u32_e32 v21, 0x71, v20
	v_cmp_gt_u32_e32 vcc_lo, 0x72, v20
	v_cndmask_b32_e32 v21, 0, v21, vcc_lo
	v_cmp_eq_u32_e32 vcc_lo, 0, v20
	s_delay_alu instid0(VALU_DEP_2) | instskip(NEXT) | instid1(VALU_DEP_1)
	v_cndmask_b32_e64 v21, v21, 0x70, vcc_lo
	v_dual_cndmask_b32 v80, v30, v14, vcc_lo :: v_dual_add_nc_u32 v24, 21, v21
	v_add_nc_u32_e32 v82, 20, v21
	s_delay_alu instid0(VALU_DEP_2) | instskip(NEXT) | instid1(VALU_DEP_2)
	v_lshlrev_b64_e64 v[24:25], v24, -1
	v_lshlrev_b64_e64 v[82:83], v82, 1
	s_delay_alu instid0(VALU_DEP_2) | instskip(SKIP_1) | instid1(VALU_DEP_4)
	v_bfi_b32 v24, v24, 0, v80
	v_lshrrev_b64 v[80:81], v21, v[80:81]
	v_bfi_b32 v25, v25, 0, 0
	s_delay_alu instid0(VALU_DEP_1) | instskip(NEXT) | instid1(VALU_DEP_3)
	v_cmp_eq_u64_e64 s10, v[24:25], v[82:83]
	v_mov_b64_e32 v[82:83], v[80:81]
	s_and_saveexec_b32 s29, s10
; %bb.12368:                            ;   in Loop: Header=BB4_12210 Depth=2
	v_bfe_u32 v24, v80, 21, 1
	v_mov_b32_e32 v25, v15
	s_delay_alu instid0(VALU_DEP_1) | instskip(NEXT) | instid1(VALU_DEP_1)
	v_add_nc_u64_e32 v[24:25], v[80:81], v[24:25]
	v_add_nc_u64_e32 v[82:83], -1, v[24:25]
; %bb.12369:                            ;   in Loop: Header=BB4_12210 Depth=2
	s_or_b32 exec_lo, exec_lo, s29
	v_add_nc_u32_e32 v14, 0xffffff81, v20
	v_lshrrev_b32_e32 v20, 23, v80
	s_mov_b32 s10, exec_lo
	s_delay_alu instid0(VALU_DEP_2) | instskip(NEXT) | instid1(VALU_DEP_1)
	v_cndmask_b32_e64 v14, v14, 0xffffff82, vcc_lo
	v_add3_u32 v21, v21, v14, v20
	v_and_b32_e32 v14, 0x1fffff, v82
                                        ; implicit-def: $vgpr20
	s_delay_alu instid0(VALU_DEP_1) | instskip(NEXT) | instid1(VALU_DEP_1)
	v_dual_add_nc_u32 v30, 14, v21 :: v_dual_add_nc_u32 v14, v14, v80
                                        ; implicit-def: $vgpr80_vgpr81
	v_cmpx_ne_u32_e32 0, v30
	s_xor_b32 s10, exec_lo, s10
; %bb.12370:                            ;   in Loop: Header=BB4_12210 Depth=2
	s_delay_alu instid0(VALU_DEP_2) | instskip(SKIP_2) | instid1(VALU_DEP_2)
	v_cmp_lt_u64_e32 vcc_lo, 0xffffff, v[14:15]
	v_add_nc_u32_e32 v20, 15, v21
	v_cndmask_b32_e64 v21, 0, 1, vcc_lo
	v_cndmask_b32_e32 v20, v30, v20, vcc_lo
	s_delay_alu instid0(VALU_DEP_2)
	v_lshrrev_b64 v[80:81], v21, v[14:15]
; %bb.12371:                            ;   in Loop: Header=BB4_12210 Depth=2
	s_and_not1_saveexec_b32 s10, s10
; %bb.12372:                            ;   in Loop: Header=BB4_12210 Depth=2
	v_mov_b64_e32 v[80:81], v[14:15]
	v_bfe_u32 v20, v14, 23, 1
; %bb.12373:                            ;   in Loop: Header=BB4_12210 Depth=2
	s_or_b32 exec_lo, exec_lo, s10
	s_delay_alu instid0(VALU_DEP_2) | instskip(NEXT) | instid1(VALU_DEP_2)
	v_lshrrev_b64 v[24:25], 21, v[80:81]
	v_cmp_gt_i32_e32 vcc_lo, 32, v20
	v_cmp_ne_u32_e64 s10, 0, v20
                                        ; implicit-def: $vgpr102
	s_delay_alu instid0(VALU_DEP_3) | instskip(NEXT) | instid1(VALU_DEP_1)
	v_dual_cndmask_b32 v81, 0, v25 :: v_dual_cndmask_b32 v80, 3, v24
	v_cmp_ne_u64_e32 vcc_lo, 0, v[80:81]
	s_or_b32 s10, s10, vcc_lo
	s_delay_alu instid0(SALU_CYCLE_1) | instskip(NEXT) | instid1(SALU_CYCLE_1)
	s_and_saveexec_b32 s29, s10
	s_xor_b32 s10, exec_lo, s29
; %bb.12374:                            ;   in Loop: Header=BB4_12210 Depth=2
	v_min_i32_e32 v14, 31, v20
	s_delay_alu instid0(VALU_DEP_1) | instskip(NEXT) | instid1(VALU_DEP_1)
	v_lshl_or_b32 v2, v14, 2, v2
	v_and_or_b32 v102, v80, 3, v2
                                        ; implicit-def: $vgpr2
; %bb.12375:                            ;   in Loop: Header=BB4_12210 Depth=2
	s_and_not1_saveexec_b32 s10, s10
; %bb.12376:                            ;   in Loop: Header=BB4_12210 Depth=2
	v_mov_b32_e32 v102, v2
; %bb.12377:                            ;   in Loop: Header=BB4_12210 Depth=2
	s_or_b32 exec_lo, exec_lo, s10
.LBB4_12378:                            ;   in Loop: Header=BB4_12210 Depth=2
	s_delay_alu instid0(SALU_CYCLE_1)
	s_or_b32 exec_lo, exec_lo, s28
                                        ; implicit-def: $vgpr2
.LBB4_12379:                            ;   in Loop: Header=BB4_12210 Depth=2
	s_and_not1_saveexec_b32 s10, s27
; %bb.12380:                            ;   in Loop: Header=BB4_12210 Depth=2
	v_or_b32_e32 v102, 0x7b, v2
; %bb.12381:                            ;   in Loop: Header=BB4_12210 Depth=2
	s_or_b32 exec_lo, exec_lo, s10
                                        ; implicit-def: $vgpr30
.LBB4_12382:                            ;   in Loop: Header=BB4_12210 Depth=2
	s_and_not1_saveexec_b32 s10, s11
	s_cbranch_execz .LBB4_12388
; %bb.12383:                            ;   in Loop: Header=BB4_12210 Depth=2
	s_mov_b32 s11, exec_lo
                                        ; implicit-def: $vgpr102
	v_cmpx_ne_u64_e32 0, v[14:15]
	s_xor_b32 s11, exec_lo, s11
; %bb.12384:                            ;   in Loop: Header=BB4_12210 Depth=2
	v_lshrrev_b32_e32 v2, 24, v30
                                        ; implicit-def: $vgpr30
	s_delay_alu instid0(VALU_DEP_1)
	v_or_b32_e32 v102, 0x7f, v2
; %bb.12385:                            ;   in Loop: Header=BB4_12210 Depth=2
	s_and_not1_saveexec_b32 s11, s11
; %bb.12386:                            ;   in Loop: Header=BB4_12210 Depth=2
	v_cmp_lt_i32_e32 vcc_lo, -1, v30
	v_cndmask_b32_e64 v102, -4, 0x7c, vcc_lo
; %bb.12387:                            ;   in Loop: Header=BB4_12210 Depth=2
	s_or_b32 exec_lo, exec_lo, s11
.LBB4_12388:                            ;   in Loop: Header=BB4_12210 Depth=2
	s_delay_alu instid0(SALU_CYCLE_1)
	s_or_b32 exec_lo, exec_lo, s10
	flat_load_i8 v80, v[12:13] offset:160 th:TH_LOAD_NT
	v_mov_b32_e32 v14, 0
	s_mov_b32 s10, exec_lo
	s_wait_loadcnt_dscnt 0x0
	v_cmpx_ne_u16_e32 0, v80
	s_cbranch_execz .LBB4_12398
; %bb.12389:                            ;   in Loop: Header=BB4_12210 Depth=2
	v_bfrev_b32_e32 v14, 1
	s_mov_b32 s11, exec_lo
	v_cmpx_ne_u16_e32 0xff80, v80
	s_cbranch_execz .LBB4_12397
; %bb.12390:                            ;   in Loop: Header=BB4_12210 Depth=2
	v_and_b32_e32 v14, 0x7c, v80
	v_and_b32_e32 v2, 3, v80
	s_delay_alu instid0(VALU_DEP_2) | instskip(SKIP_1) | instid1(SALU_CYCLE_1)
	v_cmp_ne_u32_e32 vcc_lo, 0x7c, v14
                                        ; implicit-def: $vgpr14
	s_and_saveexec_b32 s27, vcc_lo
	s_xor_b32 s27, exec_lo, s27
	s_cbranch_execz .LBB4_12394
; %bb.12391:                            ;   in Loop: Header=BB4_12210 Depth=2
	v_and_b32_e32 v14, 0xff, v80
	s_mov_b32 s28, exec_lo
	s_delay_alu instid0(VALU_DEP_1) | instskip(NEXT) | instid1(VALU_DEP_1)
	v_bfe_u32 v14, v14, 2, 5
	v_cmpx_eq_u32_e32 0, v14
; %bb.12392:                            ;   in Loop: Header=BB4_12210 Depth=2
	v_clz_i32_u32_e32 v2, v2
	s_delay_alu instid0(VALU_DEP_1) | instskip(SKIP_1) | instid1(VALU_DEP_2)
	v_min_u32_e32 v2, 32, v2
	v_mov_b32_e32 v81, v15
	v_subrev_nc_u32_e32 v14, 29, v2
	s_delay_alu instid0(VALU_DEP_1) | instskip(NEXT) | instid1(VALU_DEP_1)
	v_lshlrev_b64_e32 v[20:21], v14, v[80:81]
	v_dual_sub_nc_u32 v14, 30, v2 :: v_dual_bitop2_b32 v2, 3, v20 bitop3:0x40
; %bb.12393:                            ;   in Loop: Header=BB4_12210 Depth=2
	s_or_b32 exec_lo, exec_lo, s28
	v_bfe_i32 v20, v80, 0, 16
                                        ; implicit-def: $vgpr80
	s_delay_alu instid0(VALU_DEP_1) | instskip(NEXT) | instid1(VALU_DEP_1)
	v_and_b32_e32 v20, 0x80000000, v20
	v_lshl_add_u32 v14, v14, 23, v20
	s_delay_alu instid0(VALU_DEP_1) | instskip(NEXT) | instid1(VALU_DEP_1)
	v_lshl_or_b32 v2, v2, 21, v14
	v_add_nc_u32_e32 v14, 0x38000000, v2
                                        ; implicit-def: $vgpr2
.LBB4_12394:                            ;   in Loop: Header=BB4_12210 Depth=2
	s_and_not1_saveexec_b32 s27, s27
; %bb.12395:                            ;   in Loop: Header=BB4_12210 Depth=2
	v_cmp_lt_i16_e32 vcc_lo, -1, v80
	v_cndmask_b32_e32 v14, 0xff800000, v100, vcc_lo
	v_cmp_eq_u32_e32 vcc_lo, 0, v2
	s_delay_alu instid0(VALU_DEP_2)
	v_cndmask_b32_e32 v14, 0x7f800001, v14, vcc_lo
; %bb.12396:                            ;   in Loop: Header=BB4_12210 Depth=2
	s_or_b32 exec_lo, exec_lo, s27
.LBB4_12397:                            ;   in Loop: Header=BB4_12210 Depth=2
	s_delay_alu instid0(SALU_CYCLE_1)
	s_or_b32 exec_lo, exec_lo, s11
.LBB4_12398:                            ;   in Loop: Header=BB4_12210 Depth=2
	s_delay_alu instid0(SALU_CYCLE_1) | instskip(NEXT) | instid1(VALU_DEP_1)
	s_or_b32 exec_lo, exec_lo, s10
	v_dual_mul_f32 v30, s26, v14 :: v_dual_mov_b32 v21, v15
                                        ; implicit-def: $vgpr103
	s_mov_b32 s10, exec_lo
	s_delay_alu instid0(VALU_DEP_1) | instskip(SKIP_1) | instid1(VALU_DEP_2)
	v_and_b32_e32 v20, 0x7f800000, v30
	v_and_b32_e32 v14, 0x7fffff, v30
	v_cmpx_ne_u64_e32 0x7f800000, v[20:21]
	s_xor_b32 s11, exec_lo, s10
	s_cbranch_execz .LBB4_12416
; %bb.12399:                            ;   in Loop: Header=BB4_12210 Depth=2
	v_dual_mov_b32 v21, v15 :: v_dual_lshrrev_b32 v2, 24, v30
	v_and_b32_e32 v20, 0x7fffffff, v30
                                        ; implicit-def: $vgpr103
	s_mov_b32 s10, exec_lo
	s_delay_alu instid0(VALU_DEP_2) | instskip(NEXT) | instid1(VALU_DEP_2)
	v_and_b32_e32 v2, 0x80, v2
	v_cmpx_gt_u64_e32 0x47600001, v[20:21]
	s_xor_b32 s27, exec_lo, s10
	s_cbranch_execz .LBB4_12413
; %bb.12400:                            ;   in Loop: Header=BB4_12210 Depth=2
	v_mov_b32_e32 v103, 0
	s_mov_b32 s28, exec_lo
	v_cmpx_ne_u32_e32 0, v30
	s_cbranch_execz .LBB4_12412
; %bb.12401:                            ;   in Loop: Header=BB4_12210 Depth=2
	v_bfe_u32 v20, v30, 23, 8
	v_or_b32_e32 v30, 0x800000, v14
	v_mov_b32_e32 v81, v15
	s_delay_alu instid0(VALU_DEP_3) | instskip(SKIP_1) | instid1(VALU_DEP_2)
	v_sub_nc_u32_e32 v21, 0x71, v20
	v_cmp_gt_u32_e32 vcc_lo, 0x72, v20
	v_cndmask_b32_e32 v21, 0, v21, vcc_lo
	v_cmp_eq_u32_e32 vcc_lo, 0, v20
	s_delay_alu instid0(VALU_DEP_2) | instskip(NEXT) | instid1(VALU_DEP_1)
	v_cndmask_b32_e64 v21, v21, 0x70, vcc_lo
	v_dual_cndmask_b32 v80, v30, v14, vcc_lo :: v_dual_add_nc_u32 v24, 21, v21
	v_add_nc_u32_e32 v82, 20, v21
	s_delay_alu instid0(VALU_DEP_2) | instskip(NEXT) | instid1(VALU_DEP_2)
	v_lshlrev_b64_e64 v[24:25], v24, -1
	v_lshlrev_b64_e64 v[82:83], v82, 1
	s_delay_alu instid0(VALU_DEP_2) | instskip(SKIP_1) | instid1(VALU_DEP_4)
	v_bfi_b32 v24, v24, 0, v80
	v_lshrrev_b64 v[80:81], v21, v[80:81]
	v_bfi_b32 v25, v25, 0, 0
	s_delay_alu instid0(VALU_DEP_1) | instskip(NEXT) | instid1(VALU_DEP_3)
	v_cmp_eq_u64_e64 s10, v[24:25], v[82:83]
	v_mov_b64_e32 v[82:83], v[80:81]
	s_and_saveexec_b32 s29, s10
; %bb.12402:                            ;   in Loop: Header=BB4_12210 Depth=2
	v_bfe_u32 v24, v80, 21, 1
	v_mov_b32_e32 v25, v15
	s_delay_alu instid0(VALU_DEP_1) | instskip(NEXT) | instid1(VALU_DEP_1)
	v_add_nc_u64_e32 v[24:25], v[80:81], v[24:25]
	v_add_nc_u64_e32 v[82:83], -1, v[24:25]
; %bb.12403:                            ;   in Loop: Header=BB4_12210 Depth=2
	s_or_b32 exec_lo, exec_lo, s29
	v_add_nc_u32_e32 v14, 0xffffff81, v20
	v_lshrrev_b32_e32 v20, 23, v80
	s_mov_b32 s10, exec_lo
	s_delay_alu instid0(VALU_DEP_2) | instskip(NEXT) | instid1(VALU_DEP_1)
	v_cndmask_b32_e64 v14, v14, 0xffffff82, vcc_lo
	v_add3_u32 v21, v21, v14, v20
	v_and_b32_e32 v14, 0x1fffff, v82
                                        ; implicit-def: $vgpr20
	s_delay_alu instid0(VALU_DEP_1) | instskip(NEXT) | instid1(VALU_DEP_1)
	v_dual_add_nc_u32 v30, 14, v21 :: v_dual_add_nc_u32 v14, v14, v80
                                        ; implicit-def: $vgpr80_vgpr81
	v_cmpx_ne_u32_e32 0, v30
	s_xor_b32 s10, exec_lo, s10
; %bb.12404:                            ;   in Loop: Header=BB4_12210 Depth=2
	s_delay_alu instid0(VALU_DEP_2) | instskip(SKIP_2) | instid1(VALU_DEP_2)
	v_cmp_lt_u64_e32 vcc_lo, 0xffffff, v[14:15]
	v_add_nc_u32_e32 v20, 15, v21
	v_cndmask_b32_e64 v21, 0, 1, vcc_lo
	v_cndmask_b32_e32 v20, v30, v20, vcc_lo
	s_delay_alu instid0(VALU_DEP_2)
	v_lshrrev_b64 v[80:81], v21, v[14:15]
; %bb.12405:                            ;   in Loop: Header=BB4_12210 Depth=2
	s_and_not1_saveexec_b32 s10, s10
; %bb.12406:                            ;   in Loop: Header=BB4_12210 Depth=2
	v_mov_b64_e32 v[80:81], v[14:15]
	v_bfe_u32 v20, v14, 23, 1
; %bb.12407:                            ;   in Loop: Header=BB4_12210 Depth=2
	s_or_b32 exec_lo, exec_lo, s10
	s_delay_alu instid0(VALU_DEP_2) | instskip(NEXT) | instid1(VALU_DEP_2)
	v_lshrrev_b64 v[24:25], 21, v[80:81]
	v_cmp_gt_i32_e32 vcc_lo, 32, v20
	v_cmp_ne_u32_e64 s10, 0, v20
                                        ; implicit-def: $vgpr103
	s_delay_alu instid0(VALU_DEP_3) | instskip(NEXT) | instid1(VALU_DEP_1)
	v_dual_cndmask_b32 v81, 0, v25 :: v_dual_cndmask_b32 v80, 3, v24
	v_cmp_ne_u64_e32 vcc_lo, 0, v[80:81]
	s_or_b32 s10, s10, vcc_lo
	s_delay_alu instid0(SALU_CYCLE_1) | instskip(NEXT) | instid1(SALU_CYCLE_1)
	s_and_saveexec_b32 s29, s10
	s_xor_b32 s10, exec_lo, s29
; %bb.12408:                            ;   in Loop: Header=BB4_12210 Depth=2
	v_min_i32_e32 v14, 31, v20
	s_delay_alu instid0(VALU_DEP_1) | instskip(NEXT) | instid1(VALU_DEP_1)
	v_lshl_or_b32 v2, v14, 2, v2
	v_and_or_b32 v103, v80, 3, v2
                                        ; implicit-def: $vgpr2
; %bb.12409:                            ;   in Loop: Header=BB4_12210 Depth=2
	s_and_not1_saveexec_b32 s10, s10
; %bb.12410:                            ;   in Loop: Header=BB4_12210 Depth=2
	v_mov_b32_e32 v103, v2
; %bb.12411:                            ;   in Loop: Header=BB4_12210 Depth=2
	s_or_b32 exec_lo, exec_lo, s10
.LBB4_12412:                            ;   in Loop: Header=BB4_12210 Depth=2
	s_delay_alu instid0(SALU_CYCLE_1)
	s_or_b32 exec_lo, exec_lo, s28
                                        ; implicit-def: $vgpr2
.LBB4_12413:                            ;   in Loop: Header=BB4_12210 Depth=2
	s_and_not1_saveexec_b32 s10, s27
; %bb.12414:                            ;   in Loop: Header=BB4_12210 Depth=2
	v_or_b32_e32 v103, 0x7b, v2
; %bb.12415:                            ;   in Loop: Header=BB4_12210 Depth=2
	s_or_b32 exec_lo, exec_lo, s10
                                        ; implicit-def: $vgpr30
.LBB4_12416:                            ;   in Loop: Header=BB4_12210 Depth=2
	s_and_not1_saveexec_b32 s10, s11
	s_cbranch_execz .LBB4_12422
; %bb.12417:                            ;   in Loop: Header=BB4_12210 Depth=2
	s_mov_b32 s11, exec_lo
                                        ; implicit-def: $vgpr103
	v_cmpx_ne_u64_e32 0, v[14:15]
	s_xor_b32 s11, exec_lo, s11
; %bb.12418:                            ;   in Loop: Header=BB4_12210 Depth=2
	v_lshrrev_b32_e32 v2, 24, v30
                                        ; implicit-def: $vgpr30
	s_delay_alu instid0(VALU_DEP_1)
	v_or_b32_e32 v103, 0x7f, v2
; %bb.12419:                            ;   in Loop: Header=BB4_12210 Depth=2
	s_and_not1_saveexec_b32 s11, s11
; %bb.12420:                            ;   in Loop: Header=BB4_12210 Depth=2
	v_cmp_lt_i32_e32 vcc_lo, -1, v30
	v_cndmask_b32_e64 v103, -4, 0x7c, vcc_lo
; %bb.12421:                            ;   in Loop: Header=BB4_12210 Depth=2
	s_or_b32 exec_lo, exec_lo, s11
.LBB4_12422:                            ;   in Loop: Header=BB4_12210 Depth=2
	s_delay_alu instid0(SALU_CYCLE_1)
	s_or_b32 exec_lo, exec_lo, s10
	flat_load_i8 v80, v[12:13] offset:192 th:TH_LOAD_NT
	v_mov_b32_e32 v14, 0
	s_mov_b32 s10, exec_lo
	s_wait_loadcnt_dscnt 0x0
	v_cmpx_ne_u16_e32 0, v80
	s_cbranch_execz .LBB4_12432
; %bb.12423:                            ;   in Loop: Header=BB4_12210 Depth=2
	v_bfrev_b32_e32 v14, 1
	s_mov_b32 s11, exec_lo
	v_cmpx_ne_u16_e32 0xff80, v80
	s_cbranch_execz .LBB4_12431
; %bb.12424:                            ;   in Loop: Header=BB4_12210 Depth=2
	v_and_b32_e32 v14, 0x7c, v80
	v_and_b32_e32 v2, 3, v80
	s_delay_alu instid0(VALU_DEP_2) | instskip(SKIP_1) | instid1(SALU_CYCLE_1)
	v_cmp_ne_u32_e32 vcc_lo, 0x7c, v14
                                        ; implicit-def: $vgpr14
	s_and_saveexec_b32 s27, vcc_lo
	s_xor_b32 s27, exec_lo, s27
	s_cbranch_execz .LBB4_12428
; %bb.12425:                            ;   in Loop: Header=BB4_12210 Depth=2
	v_and_b32_e32 v14, 0xff, v80
	s_mov_b32 s28, exec_lo
	s_delay_alu instid0(VALU_DEP_1) | instskip(NEXT) | instid1(VALU_DEP_1)
	v_bfe_u32 v14, v14, 2, 5
	v_cmpx_eq_u32_e32 0, v14
; %bb.12426:                            ;   in Loop: Header=BB4_12210 Depth=2
	v_clz_i32_u32_e32 v2, v2
	s_delay_alu instid0(VALU_DEP_1) | instskip(SKIP_1) | instid1(VALU_DEP_2)
	v_min_u32_e32 v2, 32, v2
	v_mov_b32_e32 v81, v15
	v_subrev_nc_u32_e32 v14, 29, v2
	s_delay_alu instid0(VALU_DEP_1) | instskip(NEXT) | instid1(VALU_DEP_1)
	v_lshlrev_b64_e32 v[20:21], v14, v[80:81]
	v_dual_sub_nc_u32 v14, 30, v2 :: v_dual_bitop2_b32 v2, 3, v20 bitop3:0x40
; %bb.12427:                            ;   in Loop: Header=BB4_12210 Depth=2
	s_or_b32 exec_lo, exec_lo, s28
	v_bfe_i32 v20, v80, 0, 16
                                        ; implicit-def: $vgpr80
	s_delay_alu instid0(VALU_DEP_1) | instskip(NEXT) | instid1(VALU_DEP_1)
	v_and_b32_e32 v20, 0x80000000, v20
	v_lshl_add_u32 v14, v14, 23, v20
	s_delay_alu instid0(VALU_DEP_1) | instskip(NEXT) | instid1(VALU_DEP_1)
	v_lshl_or_b32 v2, v2, 21, v14
	v_add_nc_u32_e32 v14, 0x38000000, v2
                                        ; implicit-def: $vgpr2
.LBB4_12428:                            ;   in Loop: Header=BB4_12210 Depth=2
	s_and_not1_saveexec_b32 s27, s27
; %bb.12429:                            ;   in Loop: Header=BB4_12210 Depth=2
	v_cmp_lt_i16_e32 vcc_lo, -1, v80
	v_cndmask_b32_e32 v14, 0xff800000, v100, vcc_lo
	v_cmp_eq_u32_e32 vcc_lo, 0, v2
	s_delay_alu instid0(VALU_DEP_2)
	v_cndmask_b32_e32 v14, 0x7f800001, v14, vcc_lo
; %bb.12430:                            ;   in Loop: Header=BB4_12210 Depth=2
	s_or_b32 exec_lo, exec_lo, s27
.LBB4_12431:                            ;   in Loop: Header=BB4_12210 Depth=2
	s_delay_alu instid0(SALU_CYCLE_1)
	s_or_b32 exec_lo, exec_lo, s11
.LBB4_12432:                            ;   in Loop: Header=BB4_12210 Depth=2
	s_delay_alu instid0(SALU_CYCLE_1) | instskip(NEXT) | instid1(VALU_DEP_1)
	s_or_b32 exec_lo, exec_lo, s10
	v_dual_mul_f32 v30, s26, v14 :: v_dual_mov_b32 v21, v15
                                        ; implicit-def: $vgpr112
	s_mov_b32 s10, exec_lo
	s_delay_alu instid0(VALU_DEP_1) | instskip(SKIP_1) | instid1(VALU_DEP_2)
	v_and_b32_e32 v20, 0x7f800000, v30
	v_and_b32_e32 v14, 0x7fffff, v30
	v_cmpx_ne_u64_e32 0x7f800000, v[20:21]
	s_xor_b32 s11, exec_lo, s10
	s_cbranch_execz .LBB4_12450
; %bb.12433:                            ;   in Loop: Header=BB4_12210 Depth=2
	v_dual_mov_b32 v21, v15 :: v_dual_lshrrev_b32 v2, 24, v30
	v_and_b32_e32 v20, 0x7fffffff, v30
                                        ; implicit-def: $vgpr112
	s_mov_b32 s10, exec_lo
	s_delay_alu instid0(VALU_DEP_2) | instskip(NEXT) | instid1(VALU_DEP_2)
	v_and_b32_e32 v2, 0x80, v2
	v_cmpx_gt_u64_e32 0x47600001, v[20:21]
	s_xor_b32 s27, exec_lo, s10
	s_cbranch_execz .LBB4_12447
; %bb.12434:                            ;   in Loop: Header=BB4_12210 Depth=2
	v_mov_b32_e32 v112, 0
	s_mov_b32 s28, exec_lo
	v_cmpx_ne_u32_e32 0, v30
	s_cbranch_execz .LBB4_12446
; %bb.12435:                            ;   in Loop: Header=BB4_12210 Depth=2
	v_bfe_u32 v20, v30, 23, 8
	v_or_b32_e32 v30, 0x800000, v14
	v_mov_b32_e32 v81, v15
	s_delay_alu instid0(VALU_DEP_3) | instskip(SKIP_1) | instid1(VALU_DEP_2)
	v_sub_nc_u32_e32 v21, 0x71, v20
	v_cmp_gt_u32_e32 vcc_lo, 0x72, v20
	v_cndmask_b32_e32 v21, 0, v21, vcc_lo
	v_cmp_eq_u32_e32 vcc_lo, 0, v20
	s_delay_alu instid0(VALU_DEP_2) | instskip(NEXT) | instid1(VALU_DEP_1)
	v_cndmask_b32_e64 v21, v21, 0x70, vcc_lo
	v_dual_cndmask_b32 v80, v30, v14, vcc_lo :: v_dual_add_nc_u32 v24, 21, v21
	v_add_nc_u32_e32 v82, 20, v21
	s_delay_alu instid0(VALU_DEP_2) | instskip(NEXT) | instid1(VALU_DEP_2)
	v_lshlrev_b64_e64 v[24:25], v24, -1
	v_lshlrev_b64_e64 v[82:83], v82, 1
	s_delay_alu instid0(VALU_DEP_2) | instskip(SKIP_1) | instid1(VALU_DEP_4)
	v_bfi_b32 v24, v24, 0, v80
	v_lshrrev_b64 v[80:81], v21, v[80:81]
	v_bfi_b32 v25, v25, 0, 0
	s_delay_alu instid0(VALU_DEP_1) | instskip(NEXT) | instid1(VALU_DEP_3)
	v_cmp_eq_u64_e64 s10, v[24:25], v[82:83]
	v_mov_b64_e32 v[82:83], v[80:81]
	s_and_saveexec_b32 s29, s10
; %bb.12436:                            ;   in Loop: Header=BB4_12210 Depth=2
	v_bfe_u32 v24, v80, 21, 1
	v_mov_b32_e32 v25, v15
	s_delay_alu instid0(VALU_DEP_1) | instskip(NEXT) | instid1(VALU_DEP_1)
	v_add_nc_u64_e32 v[24:25], v[80:81], v[24:25]
	v_add_nc_u64_e32 v[82:83], -1, v[24:25]
; %bb.12437:                            ;   in Loop: Header=BB4_12210 Depth=2
	s_or_b32 exec_lo, exec_lo, s29
	v_add_nc_u32_e32 v14, 0xffffff81, v20
	v_lshrrev_b32_e32 v20, 23, v80
	s_mov_b32 s10, exec_lo
	s_delay_alu instid0(VALU_DEP_2) | instskip(NEXT) | instid1(VALU_DEP_1)
	v_cndmask_b32_e64 v14, v14, 0xffffff82, vcc_lo
	v_add3_u32 v21, v21, v14, v20
	v_and_b32_e32 v14, 0x1fffff, v82
                                        ; implicit-def: $vgpr20
	s_delay_alu instid0(VALU_DEP_1) | instskip(NEXT) | instid1(VALU_DEP_1)
	v_dual_add_nc_u32 v30, 14, v21 :: v_dual_add_nc_u32 v14, v14, v80
                                        ; implicit-def: $vgpr80_vgpr81
	v_cmpx_ne_u32_e32 0, v30
	s_xor_b32 s10, exec_lo, s10
; %bb.12438:                            ;   in Loop: Header=BB4_12210 Depth=2
	s_delay_alu instid0(VALU_DEP_2) | instskip(SKIP_2) | instid1(VALU_DEP_2)
	v_cmp_lt_u64_e32 vcc_lo, 0xffffff, v[14:15]
	v_add_nc_u32_e32 v20, 15, v21
	v_cndmask_b32_e64 v21, 0, 1, vcc_lo
	v_cndmask_b32_e32 v20, v30, v20, vcc_lo
	s_delay_alu instid0(VALU_DEP_2)
	v_lshrrev_b64 v[80:81], v21, v[14:15]
; %bb.12439:                            ;   in Loop: Header=BB4_12210 Depth=2
	s_and_not1_saveexec_b32 s10, s10
; %bb.12440:                            ;   in Loop: Header=BB4_12210 Depth=2
	v_mov_b64_e32 v[80:81], v[14:15]
	v_bfe_u32 v20, v14, 23, 1
; %bb.12441:                            ;   in Loop: Header=BB4_12210 Depth=2
	s_or_b32 exec_lo, exec_lo, s10
	s_delay_alu instid0(VALU_DEP_2) | instskip(NEXT) | instid1(VALU_DEP_2)
	v_lshrrev_b64 v[24:25], 21, v[80:81]
	v_cmp_gt_i32_e32 vcc_lo, 32, v20
	v_cmp_ne_u32_e64 s10, 0, v20
                                        ; implicit-def: $vgpr112
	s_delay_alu instid0(VALU_DEP_3) | instskip(NEXT) | instid1(VALU_DEP_1)
	v_dual_cndmask_b32 v81, 0, v25 :: v_dual_cndmask_b32 v80, 3, v24
	v_cmp_ne_u64_e32 vcc_lo, 0, v[80:81]
	s_or_b32 s10, s10, vcc_lo
	s_delay_alu instid0(SALU_CYCLE_1) | instskip(NEXT) | instid1(SALU_CYCLE_1)
	s_and_saveexec_b32 s29, s10
	s_xor_b32 s10, exec_lo, s29
; %bb.12442:                            ;   in Loop: Header=BB4_12210 Depth=2
	v_min_i32_e32 v14, 31, v20
	s_delay_alu instid0(VALU_DEP_1) | instskip(NEXT) | instid1(VALU_DEP_1)
	v_lshl_or_b32 v2, v14, 2, v2
	v_and_or_b32 v112, v80, 3, v2
                                        ; implicit-def: $vgpr2
; %bb.12443:                            ;   in Loop: Header=BB4_12210 Depth=2
	s_and_not1_saveexec_b32 s10, s10
; %bb.12444:                            ;   in Loop: Header=BB4_12210 Depth=2
	v_mov_b32_e32 v112, v2
; %bb.12445:                            ;   in Loop: Header=BB4_12210 Depth=2
	s_or_b32 exec_lo, exec_lo, s10
.LBB4_12446:                            ;   in Loop: Header=BB4_12210 Depth=2
	s_delay_alu instid0(SALU_CYCLE_1)
	s_or_b32 exec_lo, exec_lo, s28
                                        ; implicit-def: $vgpr2
.LBB4_12447:                            ;   in Loop: Header=BB4_12210 Depth=2
	s_and_not1_saveexec_b32 s10, s27
; %bb.12448:                            ;   in Loop: Header=BB4_12210 Depth=2
	v_or_b32_e32 v112, 0x7b, v2
; %bb.12449:                            ;   in Loop: Header=BB4_12210 Depth=2
	s_or_b32 exec_lo, exec_lo, s10
                                        ; implicit-def: $vgpr30
.LBB4_12450:                            ;   in Loop: Header=BB4_12210 Depth=2
	s_and_not1_saveexec_b32 s10, s11
	s_cbranch_execz .LBB4_12456
; %bb.12451:                            ;   in Loop: Header=BB4_12210 Depth=2
	s_mov_b32 s11, exec_lo
                                        ; implicit-def: $vgpr112
	v_cmpx_ne_u64_e32 0, v[14:15]
	s_xor_b32 s11, exec_lo, s11
; %bb.12452:                            ;   in Loop: Header=BB4_12210 Depth=2
	v_lshrrev_b32_e32 v2, 24, v30
                                        ; implicit-def: $vgpr30
	s_delay_alu instid0(VALU_DEP_1)
	v_or_b32_e32 v112, 0x7f, v2
; %bb.12453:                            ;   in Loop: Header=BB4_12210 Depth=2
	s_and_not1_saveexec_b32 s11, s11
; %bb.12454:                            ;   in Loop: Header=BB4_12210 Depth=2
	v_cmp_lt_i32_e32 vcc_lo, -1, v30
	v_cndmask_b32_e64 v112, -4, 0x7c, vcc_lo
; %bb.12455:                            ;   in Loop: Header=BB4_12210 Depth=2
	s_or_b32 exec_lo, exec_lo, s11
.LBB4_12456:                            ;   in Loop: Header=BB4_12210 Depth=2
	s_delay_alu instid0(SALU_CYCLE_1)
	s_or_b32 exec_lo, exec_lo, s10
	flat_load_i8 v80, v[12:13] offset:224 th:TH_LOAD_NT
	v_mov_b32_e32 v14, 0
	s_mov_b32 s10, exec_lo
	s_wait_loadcnt_dscnt 0x0
	v_cmpx_ne_u16_e32 0, v80
	s_cbranch_execz .LBB4_12466
; %bb.12457:                            ;   in Loop: Header=BB4_12210 Depth=2
	v_bfrev_b32_e32 v14, 1
	s_mov_b32 s11, exec_lo
	v_cmpx_ne_u16_e32 0xff80, v80
	s_cbranch_execz .LBB4_12465
; %bb.12458:                            ;   in Loop: Header=BB4_12210 Depth=2
	v_and_b32_e32 v14, 0x7c, v80
	v_and_b32_e32 v2, 3, v80
	s_delay_alu instid0(VALU_DEP_2) | instskip(SKIP_1) | instid1(SALU_CYCLE_1)
	v_cmp_ne_u32_e32 vcc_lo, 0x7c, v14
                                        ; implicit-def: $vgpr14
	s_and_saveexec_b32 s27, vcc_lo
	s_xor_b32 s27, exec_lo, s27
	s_cbranch_execz .LBB4_12462
; %bb.12459:                            ;   in Loop: Header=BB4_12210 Depth=2
	v_and_b32_e32 v14, 0xff, v80
	s_mov_b32 s28, exec_lo
	s_delay_alu instid0(VALU_DEP_1) | instskip(NEXT) | instid1(VALU_DEP_1)
	v_bfe_u32 v14, v14, 2, 5
	v_cmpx_eq_u32_e32 0, v14
; %bb.12460:                            ;   in Loop: Header=BB4_12210 Depth=2
	v_clz_i32_u32_e32 v2, v2
	s_delay_alu instid0(VALU_DEP_1) | instskip(SKIP_1) | instid1(VALU_DEP_2)
	v_min_u32_e32 v2, 32, v2
	v_mov_b32_e32 v81, v15
	v_subrev_nc_u32_e32 v14, 29, v2
	s_delay_alu instid0(VALU_DEP_1) | instskip(NEXT) | instid1(VALU_DEP_1)
	v_lshlrev_b64_e32 v[20:21], v14, v[80:81]
	v_dual_sub_nc_u32 v14, 30, v2 :: v_dual_bitop2_b32 v2, 3, v20 bitop3:0x40
; %bb.12461:                            ;   in Loop: Header=BB4_12210 Depth=2
	s_or_b32 exec_lo, exec_lo, s28
	v_bfe_i32 v20, v80, 0, 16
                                        ; implicit-def: $vgpr80
	s_delay_alu instid0(VALU_DEP_1) | instskip(NEXT) | instid1(VALU_DEP_1)
	v_and_b32_e32 v20, 0x80000000, v20
	v_lshl_add_u32 v14, v14, 23, v20
	s_delay_alu instid0(VALU_DEP_1) | instskip(NEXT) | instid1(VALU_DEP_1)
	v_lshl_or_b32 v2, v2, 21, v14
	v_add_nc_u32_e32 v14, 0x38000000, v2
                                        ; implicit-def: $vgpr2
.LBB4_12462:                            ;   in Loop: Header=BB4_12210 Depth=2
	s_and_not1_saveexec_b32 s27, s27
; %bb.12463:                            ;   in Loop: Header=BB4_12210 Depth=2
	v_cmp_lt_i16_e32 vcc_lo, -1, v80
	v_cndmask_b32_e32 v14, 0xff800000, v100, vcc_lo
	v_cmp_eq_u32_e32 vcc_lo, 0, v2
	s_delay_alu instid0(VALU_DEP_2)
	v_cndmask_b32_e32 v14, 0x7f800001, v14, vcc_lo
; %bb.12464:                            ;   in Loop: Header=BB4_12210 Depth=2
	s_or_b32 exec_lo, exec_lo, s27
.LBB4_12465:                            ;   in Loop: Header=BB4_12210 Depth=2
	s_delay_alu instid0(SALU_CYCLE_1)
	s_or_b32 exec_lo, exec_lo, s11
.LBB4_12466:                            ;   in Loop: Header=BB4_12210 Depth=2
	s_delay_alu instid0(SALU_CYCLE_1) | instskip(NEXT) | instid1(VALU_DEP_1)
	s_or_b32 exec_lo, exec_lo, s10
	v_dual_mul_f32 v30, s26, v14 :: v_dual_mov_b32 v21, v15
                                        ; implicit-def: $vgpr113
	s_mov_b32 s10, exec_lo
	s_delay_alu instid0(VALU_DEP_1) | instskip(SKIP_1) | instid1(VALU_DEP_2)
	v_and_b32_e32 v20, 0x7f800000, v30
	v_and_b32_e32 v14, 0x7fffff, v30
	v_cmpx_ne_u64_e32 0x7f800000, v[20:21]
	s_xor_b32 s11, exec_lo, s10
	s_cbranch_execz .LBB4_12484
; %bb.12467:                            ;   in Loop: Header=BB4_12210 Depth=2
	v_dual_mov_b32 v21, v15 :: v_dual_lshrrev_b32 v2, 24, v30
	v_and_b32_e32 v20, 0x7fffffff, v30
                                        ; implicit-def: $vgpr113
	s_mov_b32 s10, exec_lo
	s_delay_alu instid0(VALU_DEP_2) | instskip(NEXT) | instid1(VALU_DEP_2)
	v_and_b32_e32 v2, 0x80, v2
	v_cmpx_gt_u64_e32 0x47600001, v[20:21]
	s_xor_b32 s27, exec_lo, s10
	s_cbranch_execz .LBB4_12481
; %bb.12468:                            ;   in Loop: Header=BB4_12210 Depth=2
	v_mov_b32_e32 v113, 0
	s_mov_b32 s28, exec_lo
	v_cmpx_ne_u32_e32 0, v30
	s_cbranch_execz .LBB4_12480
; %bb.12469:                            ;   in Loop: Header=BB4_12210 Depth=2
	v_bfe_u32 v20, v30, 23, 8
	v_or_b32_e32 v30, 0x800000, v14
	v_mov_b32_e32 v81, v15
	s_delay_alu instid0(VALU_DEP_3) | instskip(SKIP_1) | instid1(VALU_DEP_2)
	v_sub_nc_u32_e32 v21, 0x71, v20
	v_cmp_gt_u32_e32 vcc_lo, 0x72, v20
	v_cndmask_b32_e32 v21, 0, v21, vcc_lo
	v_cmp_eq_u32_e32 vcc_lo, 0, v20
	s_delay_alu instid0(VALU_DEP_2) | instskip(NEXT) | instid1(VALU_DEP_1)
	v_cndmask_b32_e64 v21, v21, 0x70, vcc_lo
	v_dual_cndmask_b32 v80, v30, v14, vcc_lo :: v_dual_add_nc_u32 v24, 21, v21
	v_add_nc_u32_e32 v82, 20, v21
	s_delay_alu instid0(VALU_DEP_2) | instskip(NEXT) | instid1(VALU_DEP_2)
	v_lshlrev_b64_e64 v[24:25], v24, -1
	v_lshlrev_b64_e64 v[82:83], v82, 1
	s_delay_alu instid0(VALU_DEP_2) | instskip(SKIP_1) | instid1(VALU_DEP_4)
	v_bfi_b32 v24, v24, 0, v80
	v_lshrrev_b64 v[80:81], v21, v[80:81]
	v_bfi_b32 v25, v25, 0, 0
	s_delay_alu instid0(VALU_DEP_1) | instskip(NEXT) | instid1(VALU_DEP_3)
	v_cmp_eq_u64_e64 s10, v[24:25], v[82:83]
	v_mov_b64_e32 v[82:83], v[80:81]
	s_and_saveexec_b32 s29, s10
; %bb.12470:                            ;   in Loop: Header=BB4_12210 Depth=2
	v_bfe_u32 v24, v80, 21, 1
	v_mov_b32_e32 v25, v15
	s_delay_alu instid0(VALU_DEP_1) | instskip(NEXT) | instid1(VALU_DEP_1)
	v_add_nc_u64_e32 v[24:25], v[80:81], v[24:25]
	v_add_nc_u64_e32 v[82:83], -1, v[24:25]
; %bb.12471:                            ;   in Loop: Header=BB4_12210 Depth=2
	s_or_b32 exec_lo, exec_lo, s29
	v_add_nc_u32_e32 v14, 0xffffff81, v20
	v_lshrrev_b32_e32 v20, 23, v80
	s_mov_b32 s10, exec_lo
	s_delay_alu instid0(VALU_DEP_2) | instskip(NEXT) | instid1(VALU_DEP_1)
	v_cndmask_b32_e64 v14, v14, 0xffffff82, vcc_lo
	v_add3_u32 v21, v21, v14, v20
	v_and_b32_e32 v14, 0x1fffff, v82
                                        ; implicit-def: $vgpr20
	s_delay_alu instid0(VALU_DEP_1) | instskip(NEXT) | instid1(VALU_DEP_1)
	v_dual_add_nc_u32 v30, 14, v21 :: v_dual_add_nc_u32 v14, v14, v80
                                        ; implicit-def: $vgpr80_vgpr81
	v_cmpx_ne_u32_e32 0, v30
	s_xor_b32 s10, exec_lo, s10
; %bb.12472:                            ;   in Loop: Header=BB4_12210 Depth=2
	s_delay_alu instid0(VALU_DEP_2) | instskip(SKIP_2) | instid1(VALU_DEP_2)
	v_cmp_lt_u64_e32 vcc_lo, 0xffffff, v[14:15]
	v_add_nc_u32_e32 v20, 15, v21
	v_cndmask_b32_e64 v21, 0, 1, vcc_lo
	v_cndmask_b32_e32 v20, v30, v20, vcc_lo
	s_delay_alu instid0(VALU_DEP_2)
	v_lshrrev_b64 v[80:81], v21, v[14:15]
; %bb.12473:                            ;   in Loop: Header=BB4_12210 Depth=2
	s_and_not1_saveexec_b32 s10, s10
; %bb.12474:                            ;   in Loop: Header=BB4_12210 Depth=2
	v_mov_b64_e32 v[80:81], v[14:15]
	v_bfe_u32 v20, v14, 23, 1
; %bb.12475:                            ;   in Loop: Header=BB4_12210 Depth=2
	s_or_b32 exec_lo, exec_lo, s10
	s_delay_alu instid0(VALU_DEP_2) | instskip(NEXT) | instid1(VALU_DEP_2)
	v_lshrrev_b64 v[24:25], 21, v[80:81]
	v_cmp_gt_i32_e32 vcc_lo, 32, v20
	v_cmp_ne_u32_e64 s10, 0, v20
                                        ; implicit-def: $vgpr113
	s_delay_alu instid0(VALU_DEP_3) | instskip(NEXT) | instid1(VALU_DEP_1)
	v_dual_cndmask_b32 v81, 0, v25 :: v_dual_cndmask_b32 v80, 3, v24
	v_cmp_ne_u64_e32 vcc_lo, 0, v[80:81]
	s_or_b32 s10, s10, vcc_lo
	s_delay_alu instid0(SALU_CYCLE_1) | instskip(NEXT) | instid1(SALU_CYCLE_1)
	s_and_saveexec_b32 s29, s10
	s_xor_b32 s10, exec_lo, s29
; %bb.12476:                            ;   in Loop: Header=BB4_12210 Depth=2
	v_min_i32_e32 v14, 31, v20
	s_delay_alu instid0(VALU_DEP_1) | instskip(NEXT) | instid1(VALU_DEP_1)
	v_lshl_or_b32 v2, v14, 2, v2
	v_and_or_b32 v113, v80, 3, v2
                                        ; implicit-def: $vgpr2
; %bb.12477:                            ;   in Loop: Header=BB4_12210 Depth=2
	s_and_not1_saveexec_b32 s10, s10
; %bb.12478:                            ;   in Loop: Header=BB4_12210 Depth=2
	v_mov_b32_e32 v113, v2
; %bb.12479:                            ;   in Loop: Header=BB4_12210 Depth=2
	s_or_b32 exec_lo, exec_lo, s10
.LBB4_12480:                            ;   in Loop: Header=BB4_12210 Depth=2
	s_delay_alu instid0(SALU_CYCLE_1)
	s_or_b32 exec_lo, exec_lo, s28
                                        ; implicit-def: $vgpr2
.LBB4_12481:                            ;   in Loop: Header=BB4_12210 Depth=2
	s_and_not1_saveexec_b32 s10, s27
; %bb.12482:                            ;   in Loop: Header=BB4_12210 Depth=2
	v_or_b32_e32 v113, 0x7b, v2
; %bb.12483:                            ;   in Loop: Header=BB4_12210 Depth=2
	s_or_b32 exec_lo, exec_lo, s10
                                        ; implicit-def: $vgpr30
.LBB4_12484:                            ;   in Loop: Header=BB4_12210 Depth=2
	s_and_not1_saveexec_b32 s10, s11
	s_cbranch_execz .LBB4_12490
; %bb.12485:                            ;   in Loop: Header=BB4_12210 Depth=2
	s_mov_b32 s11, exec_lo
                                        ; implicit-def: $vgpr113
	v_cmpx_ne_u64_e32 0, v[14:15]
	s_xor_b32 s11, exec_lo, s11
; %bb.12486:                            ;   in Loop: Header=BB4_12210 Depth=2
	v_lshrrev_b32_e32 v2, 24, v30
                                        ; implicit-def: $vgpr30
	s_delay_alu instid0(VALU_DEP_1)
	v_or_b32_e32 v113, 0x7f, v2
; %bb.12487:                            ;   in Loop: Header=BB4_12210 Depth=2
	s_and_not1_saveexec_b32 s11, s11
; %bb.12488:                            ;   in Loop: Header=BB4_12210 Depth=2
	v_cmp_lt_i32_e32 vcc_lo, -1, v30
	v_cndmask_b32_e64 v113, -4, 0x7c, vcc_lo
; %bb.12489:                            ;   in Loop: Header=BB4_12210 Depth=2
	s_or_b32 exec_lo, exec_lo, s11
.LBB4_12490:                            ;   in Loop: Header=BB4_12210 Depth=2
	s_delay_alu instid0(SALU_CYCLE_1)
	s_or_b32 exec_lo, exec_lo, s10
	flat_load_i8 v80, v[12:13] offset:256 th:TH_LOAD_NT
	v_mov_b32_e32 v14, 0
	s_mov_b32 s10, exec_lo
	s_wait_loadcnt_dscnt 0x0
	v_cmpx_ne_u16_e32 0, v80
	s_cbranch_execz .LBB4_12500
; %bb.12491:                            ;   in Loop: Header=BB4_12210 Depth=2
	v_bfrev_b32_e32 v14, 1
	s_mov_b32 s11, exec_lo
	v_cmpx_ne_u16_e32 0xff80, v80
	s_cbranch_execz .LBB4_12499
; %bb.12492:                            ;   in Loop: Header=BB4_12210 Depth=2
	v_and_b32_e32 v14, 0x7c, v80
	v_and_b32_e32 v2, 3, v80
	s_delay_alu instid0(VALU_DEP_2) | instskip(SKIP_1) | instid1(SALU_CYCLE_1)
	v_cmp_ne_u32_e32 vcc_lo, 0x7c, v14
                                        ; implicit-def: $vgpr14
	s_and_saveexec_b32 s27, vcc_lo
	s_xor_b32 s27, exec_lo, s27
	s_cbranch_execz .LBB4_12496
; %bb.12493:                            ;   in Loop: Header=BB4_12210 Depth=2
	v_and_b32_e32 v14, 0xff, v80
	s_mov_b32 s28, exec_lo
	s_delay_alu instid0(VALU_DEP_1) | instskip(NEXT) | instid1(VALU_DEP_1)
	v_bfe_u32 v14, v14, 2, 5
	v_cmpx_eq_u32_e32 0, v14
; %bb.12494:                            ;   in Loop: Header=BB4_12210 Depth=2
	v_clz_i32_u32_e32 v2, v2
	s_delay_alu instid0(VALU_DEP_1) | instskip(SKIP_1) | instid1(VALU_DEP_2)
	v_min_u32_e32 v2, 32, v2
	v_mov_b32_e32 v81, v15
	v_subrev_nc_u32_e32 v14, 29, v2
	s_delay_alu instid0(VALU_DEP_1) | instskip(NEXT) | instid1(VALU_DEP_1)
	v_lshlrev_b64_e32 v[20:21], v14, v[80:81]
	v_dual_sub_nc_u32 v14, 30, v2 :: v_dual_bitop2_b32 v2, 3, v20 bitop3:0x40
; %bb.12495:                            ;   in Loop: Header=BB4_12210 Depth=2
	s_or_b32 exec_lo, exec_lo, s28
	v_bfe_i32 v20, v80, 0, 16
                                        ; implicit-def: $vgpr80
	s_delay_alu instid0(VALU_DEP_1) | instskip(NEXT) | instid1(VALU_DEP_1)
	v_and_b32_e32 v20, 0x80000000, v20
	v_lshl_add_u32 v14, v14, 23, v20
	s_delay_alu instid0(VALU_DEP_1) | instskip(NEXT) | instid1(VALU_DEP_1)
	v_lshl_or_b32 v2, v2, 21, v14
	v_add_nc_u32_e32 v14, 0x38000000, v2
                                        ; implicit-def: $vgpr2
.LBB4_12496:                            ;   in Loop: Header=BB4_12210 Depth=2
	s_and_not1_saveexec_b32 s27, s27
; %bb.12497:                            ;   in Loop: Header=BB4_12210 Depth=2
	v_cmp_lt_i16_e32 vcc_lo, -1, v80
	v_cndmask_b32_e32 v14, 0xff800000, v100, vcc_lo
	v_cmp_eq_u32_e32 vcc_lo, 0, v2
	s_delay_alu instid0(VALU_DEP_2)
	v_cndmask_b32_e32 v14, 0x7f800001, v14, vcc_lo
; %bb.12498:                            ;   in Loop: Header=BB4_12210 Depth=2
	s_or_b32 exec_lo, exec_lo, s27
.LBB4_12499:                            ;   in Loop: Header=BB4_12210 Depth=2
	s_delay_alu instid0(SALU_CYCLE_1)
	s_or_b32 exec_lo, exec_lo, s11
.LBB4_12500:                            ;   in Loop: Header=BB4_12210 Depth=2
	s_delay_alu instid0(SALU_CYCLE_1) | instskip(NEXT) | instid1(VALU_DEP_1)
	s_or_b32 exec_lo, exec_lo, s10
	v_dual_mul_f32 v30, s26, v14 :: v_dual_mov_b32 v21, v15
                                        ; implicit-def: $vgpr114
	s_mov_b32 s10, exec_lo
	s_delay_alu instid0(VALU_DEP_1) | instskip(SKIP_1) | instid1(VALU_DEP_2)
	v_and_b32_e32 v20, 0x7f800000, v30
	v_and_b32_e32 v14, 0x7fffff, v30
	v_cmpx_ne_u64_e32 0x7f800000, v[20:21]
	s_xor_b32 s11, exec_lo, s10
	s_cbranch_execz .LBB4_12518
; %bb.12501:                            ;   in Loop: Header=BB4_12210 Depth=2
	v_dual_mov_b32 v21, v15 :: v_dual_lshrrev_b32 v2, 24, v30
	v_and_b32_e32 v20, 0x7fffffff, v30
                                        ; implicit-def: $vgpr114
	s_mov_b32 s10, exec_lo
	s_delay_alu instid0(VALU_DEP_2) | instskip(NEXT) | instid1(VALU_DEP_2)
	v_and_b32_e32 v2, 0x80, v2
	v_cmpx_gt_u64_e32 0x47600001, v[20:21]
	s_xor_b32 s27, exec_lo, s10
	s_cbranch_execz .LBB4_12515
; %bb.12502:                            ;   in Loop: Header=BB4_12210 Depth=2
	v_mov_b32_e32 v114, 0
	s_mov_b32 s28, exec_lo
	v_cmpx_ne_u32_e32 0, v30
	s_cbranch_execz .LBB4_12514
; %bb.12503:                            ;   in Loop: Header=BB4_12210 Depth=2
	v_bfe_u32 v20, v30, 23, 8
	v_or_b32_e32 v30, 0x800000, v14
	v_mov_b32_e32 v81, v15
	s_delay_alu instid0(VALU_DEP_3) | instskip(SKIP_1) | instid1(VALU_DEP_2)
	v_sub_nc_u32_e32 v21, 0x71, v20
	v_cmp_gt_u32_e32 vcc_lo, 0x72, v20
	v_cndmask_b32_e32 v21, 0, v21, vcc_lo
	v_cmp_eq_u32_e32 vcc_lo, 0, v20
	s_delay_alu instid0(VALU_DEP_2) | instskip(NEXT) | instid1(VALU_DEP_1)
	v_cndmask_b32_e64 v21, v21, 0x70, vcc_lo
	v_dual_cndmask_b32 v80, v30, v14, vcc_lo :: v_dual_add_nc_u32 v24, 21, v21
	v_add_nc_u32_e32 v82, 20, v21
	s_delay_alu instid0(VALU_DEP_2) | instskip(NEXT) | instid1(VALU_DEP_2)
	v_lshlrev_b64_e64 v[24:25], v24, -1
	v_lshlrev_b64_e64 v[82:83], v82, 1
	s_delay_alu instid0(VALU_DEP_2) | instskip(SKIP_1) | instid1(VALU_DEP_4)
	v_bfi_b32 v24, v24, 0, v80
	v_lshrrev_b64 v[80:81], v21, v[80:81]
	v_bfi_b32 v25, v25, 0, 0
	s_delay_alu instid0(VALU_DEP_1) | instskip(NEXT) | instid1(VALU_DEP_3)
	v_cmp_eq_u64_e64 s10, v[24:25], v[82:83]
	v_mov_b64_e32 v[82:83], v[80:81]
	s_and_saveexec_b32 s29, s10
; %bb.12504:                            ;   in Loop: Header=BB4_12210 Depth=2
	v_bfe_u32 v24, v80, 21, 1
	v_mov_b32_e32 v25, v15
	s_delay_alu instid0(VALU_DEP_1) | instskip(NEXT) | instid1(VALU_DEP_1)
	v_add_nc_u64_e32 v[24:25], v[80:81], v[24:25]
	v_add_nc_u64_e32 v[82:83], -1, v[24:25]
; %bb.12505:                            ;   in Loop: Header=BB4_12210 Depth=2
	s_or_b32 exec_lo, exec_lo, s29
	v_add_nc_u32_e32 v14, 0xffffff81, v20
	s_delay_alu instid0(VALU_DEP_2) | instskip(SKIP_2) | instid1(VALU_DEP_3)
	v_and_b32_e32 v24, 0x1fffff, v82
	v_lshrrev_b32_e32 v20, 23, v80
	s_mov_b32 s10, exec_lo
	v_cndmask_b32_e64 v14, v14, 0xffffff82, vcc_lo
	s_delay_alu instid0(VALU_DEP_1) | instskip(SKIP_1) | instid1(VALU_DEP_2)
	v_add3_u32 v21, v21, v14, v20
	v_add_nc_u32_e32 v14, v24, v80
                                        ; implicit-def: $vgpr80_vgpr81
                                        ; implicit-def: $vgpr20
	v_add_nc_u32_e32 v30, 14, v21
	s_delay_alu instid0(VALU_DEP_1)
	v_cmpx_ne_u32_e32 0, v30
	s_xor_b32 s10, exec_lo, s10
; %bb.12506:                            ;   in Loop: Header=BB4_12210 Depth=2
	s_delay_alu instid0(VALU_DEP_3) | instskip(SKIP_2) | instid1(VALU_DEP_2)
	v_cmp_lt_u64_e32 vcc_lo, 0xffffff, v[14:15]
	v_add_nc_u32_e32 v20, 15, v21
	v_cndmask_b32_e64 v21, 0, 1, vcc_lo
	v_cndmask_b32_e32 v20, v30, v20, vcc_lo
	s_delay_alu instid0(VALU_DEP_2)
	v_lshrrev_b64 v[80:81], v21, v[14:15]
; %bb.12507:                            ;   in Loop: Header=BB4_12210 Depth=2
	s_and_not1_saveexec_b32 s10, s10
; %bb.12508:                            ;   in Loop: Header=BB4_12210 Depth=2
	v_mov_b64_e32 v[80:81], v[14:15]
	v_bfe_u32 v20, v14, 23, 1
; %bb.12509:                            ;   in Loop: Header=BB4_12210 Depth=2
	s_or_b32 exec_lo, exec_lo, s10
	s_delay_alu instid0(VALU_DEP_2) | instskip(NEXT) | instid1(VALU_DEP_2)
	v_lshrrev_b64 v[24:25], 21, v[80:81]
	v_cmp_gt_i32_e32 vcc_lo, 32, v20
	v_cmp_ne_u32_e64 s10, 0, v20
                                        ; implicit-def: $vgpr114
	s_delay_alu instid0(VALU_DEP_3) | instskip(NEXT) | instid1(VALU_DEP_1)
	v_dual_cndmask_b32 v81, 0, v25 :: v_dual_cndmask_b32 v80, 3, v24
	v_cmp_ne_u64_e32 vcc_lo, 0, v[80:81]
	s_or_b32 s10, s10, vcc_lo
	s_delay_alu instid0(SALU_CYCLE_1) | instskip(NEXT) | instid1(SALU_CYCLE_1)
	s_and_saveexec_b32 s29, s10
	s_xor_b32 s10, exec_lo, s29
; %bb.12510:                            ;   in Loop: Header=BB4_12210 Depth=2
	v_min_i32_e32 v14, 31, v20
	s_delay_alu instid0(VALU_DEP_1) | instskip(NEXT) | instid1(VALU_DEP_1)
	v_lshl_or_b32 v2, v14, 2, v2
	v_and_or_b32 v114, v80, 3, v2
                                        ; implicit-def: $vgpr2
; %bb.12511:                            ;   in Loop: Header=BB4_12210 Depth=2
	s_and_not1_saveexec_b32 s10, s10
; %bb.12512:                            ;   in Loop: Header=BB4_12210 Depth=2
	v_mov_b32_e32 v114, v2
; %bb.12513:                            ;   in Loop: Header=BB4_12210 Depth=2
	s_or_b32 exec_lo, exec_lo, s10
.LBB4_12514:                            ;   in Loop: Header=BB4_12210 Depth=2
	s_delay_alu instid0(SALU_CYCLE_1)
	s_or_b32 exec_lo, exec_lo, s28
                                        ; implicit-def: $vgpr2
.LBB4_12515:                            ;   in Loop: Header=BB4_12210 Depth=2
	s_and_not1_saveexec_b32 s10, s27
; %bb.12516:                            ;   in Loop: Header=BB4_12210 Depth=2
	v_or_b32_e32 v114, 0x7b, v2
; %bb.12517:                            ;   in Loop: Header=BB4_12210 Depth=2
	s_or_b32 exec_lo, exec_lo, s10
                                        ; implicit-def: $vgpr30
.LBB4_12518:                            ;   in Loop: Header=BB4_12210 Depth=2
	s_and_not1_saveexec_b32 s10, s11
	s_cbranch_execz .LBB4_12524
; %bb.12519:                            ;   in Loop: Header=BB4_12210 Depth=2
	s_mov_b32 s11, exec_lo
                                        ; implicit-def: $vgpr114
	v_cmpx_ne_u64_e32 0, v[14:15]
	s_xor_b32 s11, exec_lo, s11
; %bb.12520:                            ;   in Loop: Header=BB4_12210 Depth=2
	v_lshrrev_b32_e32 v2, 24, v30
                                        ; implicit-def: $vgpr30
	s_delay_alu instid0(VALU_DEP_1)
	v_or_b32_e32 v114, 0x7f, v2
; %bb.12521:                            ;   in Loop: Header=BB4_12210 Depth=2
	s_and_not1_saveexec_b32 s11, s11
; %bb.12522:                            ;   in Loop: Header=BB4_12210 Depth=2
	v_cmp_lt_i32_e32 vcc_lo, -1, v30
	v_cndmask_b32_e64 v114, -4, 0x7c, vcc_lo
; %bb.12523:                            ;   in Loop: Header=BB4_12210 Depth=2
	s_or_b32 exec_lo, exec_lo, s11
.LBB4_12524:                            ;   in Loop: Header=BB4_12210 Depth=2
	s_delay_alu instid0(SALU_CYCLE_1)
	s_or_b32 exec_lo, exec_lo, s10
	flat_load_i8 v80, v[12:13] offset:288 th:TH_LOAD_NT
	v_mov_b32_e32 v14, 0
	s_mov_b32 s10, exec_lo
	s_wait_loadcnt_dscnt 0x0
	v_cmpx_ne_u16_e32 0, v80
	s_cbranch_execz .LBB4_12534
; %bb.12525:                            ;   in Loop: Header=BB4_12210 Depth=2
	v_bfrev_b32_e32 v14, 1
	s_mov_b32 s11, exec_lo
	v_cmpx_ne_u16_e32 0xff80, v80
	s_cbranch_execz .LBB4_12533
; %bb.12526:                            ;   in Loop: Header=BB4_12210 Depth=2
	v_and_b32_e32 v14, 0x7c, v80
	v_and_b32_e32 v2, 3, v80
	s_delay_alu instid0(VALU_DEP_2) | instskip(SKIP_1) | instid1(SALU_CYCLE_1)
	v_cmp_ne_u32_e32 vcc_lo, 0x7c, v14
                                        ; implicit-def: $vgpr14
	s_and_saveexec_b32 s27, vcc_lo
	s_xor_b32 s27, exec_lo, s27
	s_cbranch_execz .LBB4_12530
; %bb.12527:                            ;   in Loop: Header=BB4_12210 Depth=2
	v_and_b32_e32 v14, 0xff, v80
	s_mov_b32 s28, exec_lo
	s_delay_alu instid0(VALU_DEP_1) | instskip(NEXT) | instid1(VALU_DEP_1)
	v_bfe_u32 v14, v14, 2, 5
	v_cmpx_eq_u32_e32 0, v14
; %bb.12528:                            ;   in Loop: Header=BB4_12210 Depth=2
	v_clz_i32_u32_e32 v2, v2
	s_delay_alu instid0(VALU_DEP_1) | instskip(SKIP_1) | instid1(VALU_DEP_2)
	v_min_u32_e32 v2, 32, v2
	v_mov_b32_e32 v81, v15
	v_subrev_nc_u32_e32 v14, 29, v2
	s_delay_alu instid0(VALU_DEP_1) | instskip(NEXT) | instid1(VALU_DEP_1)
	v_lshlrev_b64_e32 v[20:21], v14, v[80:81]
	v_dual_sub_nc_u32 v14, 30, v2 :: v_dual_bitop2_b32 v2, 3, v20 bitop3:0x40
; %bb.12529:                            ;   in Loop: Header=BB4_12210 Depth=2
	s_or_b32 exec_lo, exec_lo, s28
	v_bfe_i32 v20, v80, 0, 16
                                        ; implicit-def: $vgpr80
	s_delay_alu instid0(VALU_DEP_1) | instskip(NEXT) | instid1(VALU_DEP_1)
	v_and_b32_e32 v20, 0x80000000, v20
	v_lshl_add_u32 v14, v14, 23, v20
	s_delay_alu instid0(VALU_DEP_1) | instskip(NEXT) | instid1(VALU_DEP_1)
	v_lshl_or_b32 v2, v2, 21, v14
	v_add_nc_u32_e32 v14, 0x38000000, v2
                                        ; implicit-def: $vgpr2
.LBB4_12530:                            ;   in Loop: Header=BB4_12210 Depth=2
	s_and_not1_saveexec_b32 s27, s27
; %bb.12531:                            ;   in Loop: Header=BB4_12210 Depth=2
	v_cmp_lt_i16_e32 vcc_lo, -1, v80
	v_cndmask_b32_e32 v14, 0xff800000, v100, vcc_lo
	v_cmp_eq_u32_e32 vcc_lo, 0, v2
	s_delay_alu instid0(VALU_DEP_2)
	v_cndmask_b32_e32 v14, 0x7f800001, v14, vcc_lo
; %bb.12532:                            ;   in Loop: Header=BB4_12210 Depth=2
	s_or_b32 exec_lo, exec_lo, s27
.LBB4_12533:                            ;   in Loop: Header=BB4_12210 Depth=2
	s_delay_alu instid0(SALU_CYCLE_1)
	s_or_b32 exec_lo, exec_lo, s11
.LBB4_12534:                            ;   in Loop: Header=BB4_12210 Depth=2
	s_delay_alu instid0(SALU_CYCLE_1) | instskip(NEXT) | instid1(VALU_DEP_1)
	s_or_b32 exec_lo, exec_lo, s10
	v_dual_mul_f32 v30, s26, v14 :: v_dual_mov_b32 v21, v15
                                        ; implicit-def: $vgpr115
	s_mov_b32 s10, exec_lo
	s_delay_alu instid0(VALU_DEP_1) | instskip(SKIP_1) | instid1(VALU_DEP_2)
	v_and_b32_e32 v20, 0x7f800000, v30
	v_and_b32_e32 v14, 0x7fffff, v30
	v_cmpx_ne_u64_e32 0x7f800000, v[20:21]
	s_xor_b32 s11, exec_lo, s10
	s_cbranch_execz .LBB4_12552
; %bb.12535:                            ;   in Loop: Header=BB4_12210 Depth=2
	v_dual_mov_b32 v21, v15 :: v_dual_lshrrev_b32 v2, 24, v30
	v_and_b32_e32 v20, 0x7fffffff, v30
                                        ; implicit-def: $vgpr115
	s_mov_b32 s10, exec_lo
	s_delay_alu instid0(VALU_DEP_2) | instskip(NEXT) | instid1(VALU_DEP_2)
	v_and_b32_e32 v2, 0x80, v2
	v_cmpx_gt_u64_e32 0x47600001, v[20:21]
	s_xor_b32 s27, exec_lo, s10
	s_cbranch_execz .LBB4_12549
; %bb.12536:                            ;   in Loop: Header=BB4_12210 Depth=2
	v_mov_b32_e32 v115, 0
	s_mov_b32 s28, exec_lo
	v_cmpx_ne_u32_e32 0, v30
	s_cbranch_execz .LBB4_12548
; %bb.12537:                            ;   in Loop: Header=BB4_12210 Depth=2
	v_bfe_u32 v20, v30, 23, 8
	v_or_b32_e32 v30, 0x800000, v14
	v_mov_b32_e32 v81, v15
	s_delay_alu instid0(VALU_DEP_3) | instskip(SKIP_1) | instid1(VALU_DEP_2)
	v_sub_nc_u32_e32 v21, 0x71, v20
	v_cmp_gt_u32_e32 vcc_lo, 0x72, v20
	v_cndmask_b32_e32 v21, 0, v21, vcc_lo
	v_cmp_eq_u32_e32 vcc_lo, 0, v20
	s_delay_alu instid0(VALU_DEP_2) | instskip(NEXT) | instid1(VALU_DEP_1)
	v_cndmask_b32_e64 v21, v21, 0x70, vcc_lo
	v_dual_cndmask_b32 v80, v30, v14, vcc_lo :: v_dual_add_nc_u32 v24, 21, v21
	v_add_nc_u32_e32 v82, 20, v21
	s_delay_alu instid0(VALU_DEP_2) | instskip(NEXT) | instid1(VALU_DEP_2)
	v_lshlrev_b64_e64 v[24:25], v24, -1
	v_lshlrev_b64_e64 v[82:83], v82, 1
	s_delay_alu instid0(VALU_DEP_2) | instskip(SKIP_1) | instid1(VALU_DEP_4)
	v_bfi_b32 v24, v24, 0, v80
	v_lshrrev_b64 v[80:81], v21, v[80:81]
	v_bfi_b32 v25, v25, 0, 0
	s_delay_alu instid0(VALU_DEP_1) | instskip(NEXT) | instid1(VALU_DEP_3)
	v_cmp_eq_u64_e64 s10, v[24:25], v[82:83]
	v_mov_b64_e32 v[82:83], v[80:81]
	s_and_saveexec_b32 s29, s10
; %bb.12538:                            ;   in Loop: Header=BB4_12210 Depth=2
	v_bfe_u32 v24, v80, 21, 1
	v_mov_b32_e32 v25, v15
	s_delay_alu instid0(VALU_DEP_1) | instskip(NEXT) | instid1(VALU_DEP_1)
	v_add_nc_u64_e32 v[24:25], v[80:81], v[24:25]
	v_add_nc_u64_e32 v[82:83], -1, v[24:25]
; %bb.12539:                            ;   in Loop: Header=BB4_12210 Depth=2
	s_or_b32 exec_lo, exec_lo, s29
	v_add_nc_u32_e32 v14, 0xffffff81, v20
	s_delay_alu instid0(VALU_DEP_2) | instskip(SKIP_2) | instid1(VALU_DEP_3)
	v_and_b32_e32 v24, 0x1fffff, v82
	v_lshrrev_b32_e32 v20, 23, v80
	s_mov_b32 s10, exec_lo
	v_cndmask_b32_e64 v14, v14, 0xffffff82, vcc_lo
	s_delay_alu instid0(VALU_DEP_1) | instskip(SKIP_1) | instid1(VALU_DEP_2)
	v_add3_u32 v21, v21, v14, v20
	v_add_nc_u32_e32 v14, v24, v80
                                        ; implicit-def: $vgpr80_vgpr81
                                        ; implicit-def: $vgpr20
	v_add_nc_u32_e32 v30, 14, v21
	s_delay_alu instid0(VALU_DEP_1)
	v_cmpx_ne_u32_e32 0, v30
	s_xor_b32 s10, exec_lo, s10
; %bb.12540:                            ;   in Loop: Header=BB4_12210 Depth=2
	s_delay_alu instid0(VALU_DEP_3) | instskip(SKIP_2) | instid1(VALU_DEP_2)
	v_cmp_lt_u64_e32 vcc_lo, 0xffffff, v[14:15]
	v_add_nc_u32_e32 v20, 15, v21
	v_cndmask_b32_e64 v21, 0, 1, vcc_lo
	v_cndmask_b32_e32 v20, v30, v20, vcc_lo
	s_delay_alu instid0(VALU_DEP_2)
	v_lshrrev_b64 v[80:81], v21, v[14:15]
; %bb.12541:                            ;   in Loop: Header=BB4_12210 Depth=2
	s_and_not1_saveexec_b32 s10, s10
; %bb.12542:                            ;   in Loop: Header=BB4_12210 Depth=2
	v_mov_b64_e32 v[80:81], v[14:15]
	v_bfe_u32 v20, v14, 23, 1
; %bb.12543:                            ;   in Loop: Header=BB4_12210 Depth=2
	s_or_b32 exec_lo, exec_lo, s10
	s_delay_alu instid0(VALU_DEP_2) | instskip(NEXT) | instid1(VALU_DEP_2)
	v_lshrrev_b64 v[24:25], 21, v[80:81]
	v_cmp_gt_i32_e32 vcc_lo, 32, v20
	v_cmp_ne_u32_e64 s10, 0, v20
                                        ; implicit-def: $vgpr115
	s_delay_alu instid0(VALU_DEP_3) | instskip(NEXT) | instid1(VALU_DEP_1)
	v_dual_cndmask_b32 v81, 0, v25 :: v_dual_cndmask_b32 v80, 3, v24
	v_cmp_ne_u64_e32 vcc_lo, 0, v[80:81]
	s_or_b32 s10, s10, vcc_lo
	s_delay_alu instid0(SALU_CYCLE_1) | instskip(NEXT) | instid1(SALU_CYCLE_1)
	s_and_saveexec_b32 s29, s10
	s_xor_b32 s10, exec_lo, s29
; %bb.12544:                            ;   in Loop: Header=BB4_12210 Depth=2
	v_min_i32_e32 v14, 31, v20
	s_delay_alu instid0(VALU_DEP_1) | instskip(NEXT) | instid1(VALU_DEP_1)
	v_lshl_or_b32 v2, v14, 2, v2
	v_and_or_b32 v115, v80, 3, v2
                                        ; implicit-def: $vgpr2
; %bb.12545:                            ;   in Loop: Header=BB4_12210 Depth=2
	s_and_not1_saveexec_b32 s10, s10
; %bb.12546:                            ;   in Loop: Header=BB4_12210 Depth=2
	v_mov_b32_e32 v115, v2
; %bb.12547:                            ;   in Loop: Header=BB4_12210 Depth=2
	s_or_b32 exec_lo, exec_lo, s10
.LBB4_12548:                            ;   in Loop: Header=BB4_12210 Depth=2
	s_delay_alu instid0(SALU_CYCLE_1)
	s_or_b32 exec_lo, exec_lo, s28
                                        ; implicit-def: $vgpr2
.LBB4_12549:                            ;   in Loop: Header=BB4_12210 Depth=2
	s_and_not1_saveexec_b32 s10, s27
; %bb.12550:                            ;   in Loop: Header=BB4_12210 Depth=2
	v_or_b32_e32 v115, 0x7b, v2
; %bb.12551:                            ;   in Loop: Header=BB4_12210 Depth=2
	s_or_b32 exec_lo, exec_lo, s10
                                        ; implicit-def: $vgpr30
.LBB4_12552:                            ;   in Loop: Header=BB4_12210 Depth=2
	s_and_not1_saveexec_b32 s10, s11
	s_cbranch_execz .LBB4_12558
; %bb.12553:                            ;   in Loop: Header=BB4_12210 Depth=2
	s_mov_b32 s11, exec_lo
                                        ; implicit-def: $vgpr115
	v_cmpx_ne_u64_e32 0, v[14:15]
	s_xor_b32 s11, exec_lo, s11
; %bb.12554:                            ;   in Loop: Header=BB4_12210 Depth=2
	v_lshrrev_b32_e32 v2, 24, v30
                                        ; implicit-def: $vgpr30
	s_delay_alu instid0(VALU_DEP_1)
	v_or_b32_e32 v115, 0x7f, v2
; %bb.12555:                            ;   in Loop: Header=BB4_12210 Depth=2
	s_and_not1_saveexec_b32 s11, s11
; %bb.12556:                            ;   in Loop: Header=BB4_12210 Depth=2
	v_cmp_lt_i32_e32 vcc_lo, -1, v30
	v_cndmask_b32_e64 v115, -4, 0x7c, vcc_lo
; %bb.12557:                            ;   in Loop: Header=BB4_12210 Depth=2
	s_or_b32 exec_lo, exec_lo, s11
.LBB4_12558:                            ;   in Loop: Header=BB4_12210 Depth=2
	s_delay_alu instid0(SALU_CYCLE_1)
	s_or_b32 exec_lo, exec_lo, s10
	flat_load_i8 v80, v[12:13] offset:320 th:TH_LOAD_NT
	v_mov_b32_e32 v14, 0
	s_mov_b32 s10, exec_lo
	s_wait_loadcnt_dscnt 0x0
	v_cmpx_ne_u16_e32 0, v80
	s_cbranch_execz .LBB4_12568
; %bb.12559:                            ;   in Loop: Header=BB4_12210 Depth=2
	v_bfrev_b32_e32 v14, 1
	s_mov_b32 s11, exec_lo
	v_cmpx_ne_u16_e32 0xff80, v80
	s_cbranch_execz .LBB4_12567
; %bb.12560:                            ;   in Loop: Header=BB4_12210 Depth=2
	v_and_b32_e32 v14, 0x7c, v80
	v_and_b32_e32 v2, 3, v80
	s_delay_alu instid0(VALU_DEP_2) | instskip(SKIP_1) | instid1(SALU_CYCLE_1)
	v_cmp_ne_u32_e32 vcc_lo, 0x7c, v14
                                        ; implicit-def: $vgpr14
	s_and_saveexec_b32 s27, vcc_lo
	s_xor_b32 s27, exec_lo, s27
	s_cbranch_execz .LBB4_12564
; %bb.12561:                            ;   in Loop: Header=BB4_12210 Depth=2
	v_and_b32_e32 v14, 0xff, v80
	s_mov_b32 s28, exec_lo
	s_delay_alu instid0(VALU_DEP_1) | instskip(NEXT) | instid1(VALU_DEP_1)
	v_bfe_u32 v14, v14, 2, 5
	v_cmpx_eq_u32_e32 0, v14
; %bb.12562:                            ;   in Loop: Header=BB4_12210 Depth=2
	v_clz_i32_u32_e32 v2, v2
	s_delay_alu instid0(VALU_DEP_1) | instskip(SKIP_1) | instid1(VALU_DEP_2)
	v_min_u32_e32 v2, 32, v2
	v_mov_b32_e32 v81, v15
	v_subrev_nc_u32_e32 v14, 29, v2
	s_delay_alu instid0(VALU_DEP_1) | instskip(NEXT) | instid1(VALU_DEP_1)
	v_lshlrev_b64_e32 v[20:21], v14, v[80:81]
	v_dual_sub_nc_u32 v14, 30, v2 :: v_dual_bitop2_b32 v2, 3, v20 bitop3:0x40
; %bb.12563:                            ;   in Loop: Header=BB4_12210 Depth=2
	s_or_b32 exec_lo, exec_lo, s28
	v_bfe_i32 v20, v80, 0, 16
                                        ; implicit-def: $vgpr80
	s_delay_alu instid0(VALU_DEP_1) | instskip(NEXT) | instid1(VALU_DEP_1)
	v_and_b32_e32 v20, 0x80000000, v20
	v_lshl_add_u32 v14, v14, 23, v20
	s_delay_alu instid0(VALU_DEP_1) | instskip(NEXT) | instid1(VALU_DEP_1)
	v_lshl_or_b32 v2, v2, 21, v14
	v_add_nc_u32_e32 v14, 0x38000000, v2
                                        ; implicit-def: $vgpr2
.LBB4_12564:                            ;   in Loop: Header=BB4_12210 Depth=2
	s_and_not1_saveexec_b32 s27, s27
; %bb.12565:                            ;   in Loop: Header=BB4_12210 Depth=2
	v_cmp_lt_i16_e32 vcc_lo, -1, v80
	v_cndmask_b32_e32 v14, 0xff800000, v100, vcc_lo
	v_cmp_eq_u32_e32 vcc_lo, 0, v2
	s_delay_alu instid0(VALU_DEP_2)
	v_cndmask_b32_e32 v14, 0x7f800001, v14, vcc_lo
; %bb.12566:                            ;   in Loop: Header=BB4_12210 Depth=2
	s_or_b32 exec_lo, exec_lo, s27
.LBB4_12567:                            ;   in Loop: Header=BB4_12210 Depth=2
	s_delay_alu instid0(SALU_CYCLE_1)
	s_or_b32 exec_lo, exec_lo, s11
.LBB4_12568:                            ;   in Loop: Header=BB4_12210 Depth=2
	s_delay_alu instid0(SALU_CYCLE_1) | instskip(NEXT) | instid1(VALU_DEP_1)
	s_or_b32 exec_lo, exec_lo, s10
	v_dual_mul_f32 v30, s26, v14 :: v_dual_mov_b32 v21, v15
                                        ; implicit-def: $vgpr116
	s_mov_b32 s10, exec_lo
	s_delay_alu instid0(VALU_DEP_1) | instskip(SKIP_1) | instid1(VALU_DEP_2)
	v_and_b32_e32 v20, 0x7f800000, v30
	v_and_b32_e32 v14, 0x7fffff, v30
	v_cmpx_ne_u64_e32 0x7f800000, v[20:21]
	s_xor_b32 s11, exec_lo, s10
	s_cbranch_execz .LBB4_12586
; %bb.12569:                            ;   in Loop: Header=BB4_12210 Depth=2
	v_dual_mov_b32 v21, v15 :: v_dual_lshrrev_b32 v2, 24, v30
	v_and_b32_e32 v20, 0x7fffffff, v30
                                        ; implicit-def: $vgpr116
	s_mov_b32 s10, exec_lo
	s_delay_alu instid0(VALU_DEP_2) | instskip(NEXT) | instid1(VALU_DEP_2)
	v_and_b32_e32 v2, 0x80, v2
	v_cmpx_gt_u64_e32 0x47600001, v[20:21]
	s_xor_b32 s27, exec_lo, s10
	s_cbranch_execz .LBB4_12583
; %bb.12570:                            ;   in Loop: Header=BB4_12210 Depth=2
	v_mov_b32_e32 v116, 0
	s_mov_b32 s28, exec_lo
	v_cmpx_ne_u32_e32 0, v30
	s_cbranch_execz .LBB4_12582
; %bb.12571:                            ;   in Loop: Header=BB4_12210 Depth=2
	v_bfe_u32 v20, v30, 23, 8
	v_or_b32_e32 v30, 0x800000, v14
	v_mov_b32_e32 v81, v15
	s_delay_alu instid0(VALU_DEP_3) | instskip(SKIP_1) | instid1(VALU_DEP_2)
	v_sub_nc_u32_e32 v21, 0x71, v20
	v_cmp_gt_u32_e32 vcc_lo, 0x72, v20
	v_cndmask_b32_e32 v21, 0, v21, vcc_lo
	v_cmp_eq_u32_e32 vcc_lo, 0, v20
	s_delay_alu instid0(VALU_DEP_2) | instskip(NEXT) | instid1(VALU_DEP_1)
	v_cndmask_b32_e64 v21, v21, 0x70, vcc_lo
	v_dual_cndmask_b32 v80, v30, v14, vcc_lo :: v_dual_add_nc_u32 v24, 21, v21
	v_add_nc_u32_e32 v82, 20, v21
	s_delay_alu instid0(VALU_DEP_2) | instskip(NEXT) | instid1(VALU_DEP_2)
	v_lshlrev_b64_e64 v[24:25], v24, -1
	v_lshlrev_b64_e64 v[82:83], v82, 1
	s_delay_alu instid0(VALU_DEP_2) | instskip(SKIP_1) | instid1(VALU_DEP_4)
	v_bfi_b32 v24, v24, 0, v80
	v_lshrrev_b64 v[80:81], v21, v[80:81]
	v_bfi_b32 v25, v25, 0, 0
	s_delay_alu instid0(VALU_DEP_1) | instskip(NEXT) | instid1(VALU_DEP_3)
	v_cmp_eq_u64_e64 s10, v[24:25], v[82:83]
	v_mov_b64_e32 v[82:83], v[80:81]
	s_and_saveexec_b32 s29, s10
; %bb.12572:                            ;   in Loop: Header=BB4_12210 Depth=2
	v_bfe_u32 v24, v80, 21, 1
	v_mov_b32_e32 v25, v15
	s_delay_alu instid0(VALU_DEP_1) | instskip(NEXT) | instid1(VALU_DEP_1)
	v_add_nc_u64_e32 v[24:25], v[80:81], v[24:25]
	v_add_nc_u64_e32 v[82:83], -1, v[24:25]
; %bb.12573:                            ;   in Loop: Header=BB4_12210 Depth=2
	s_or_b32 exec_lo, exec_lo, s29
	v_add_nc_u32_e32 v14, 0xffffff81, v20
	s_delay_alu instid0(VALU_DEP_2) | instskip(SKIP_2) | instid1(VALU_DEP_3)
	v_and_b32_e32 v24, 0x1fffff, v82
	v_lshrrev_b32_e32 v20, 23, v80
	s_mov_b32 s10, exec_lo
	v_cndmask_b32_e64 v14, v14, 0xffffff82, vcc_lo
	s_delay_alu instid0(VALU_DEP_1) | instskip(SKIP_1) | instid1(VALU_DEP_2)
	v_add3_u32 v21, v21, v14, v20
	v_add_nc_u32_e32 v14, v24, v80
                                        ; implicit-def: $vgpr80_vgpr81
                                        ; implicit-def: $vgpr20
	v_add_nc_u32_e32 v30, 14, v21
	s_delay_alu instid0(VALU_DEP_1)
	v_cmpx_ne_u32_e32 0, v30
	s_xor_b32 s10, exec_lo, s10
; %bb.12574:                            ;   in Loop: Header=BB4_12210 Depth=2
	s_delay_alu instid0(VALU_DEP_3) | instskip(SKIP_2) | instid1(VALU_DEP_2)
	v_cmp_lt_u64_e32 vcc_lo, 0xffffff, v[14:15]
	v_add_nc_u32_e32 v20, 15, v21
	v_cndmask_b32_e64 v21, 0, 1, vcc_lo
	v_cndmask_b32_e32 v20, v30, v20, vcc_lo
	s_delay_alu instid0(VALU_DEP_2)
	v_lshrrev_b64 v[80:81], v21, v[14:15]
; %bb.12575:                            ;   in Loop: Header=BB4_12210 Depth=2
	s_and_not1_saveexec_b32 s10, s10
; %bb.12576:                            ;   in Loop: Header=BB4_12210 Depth=2
	v_mov_b64_e32 v[80:81], v[14:15]
	v_bfe_u32 v20, v14, 23, 1
; %bb.12577:                            ;   in Loop: Header=BB4_12210 Depth=2
	s_or_b32 exec_lo, exec_lo, s10
	s_delay_alu instid0(VALU_DEP_2) | instskip(NEXT) | instid1(VALU_DEP_2)
	v_lshrrev_b64 v[24:25], 21, v[80:81]
	v_cmp_gt_i32_e32 vcc_lo, 32, v20
	v_cmp_ne_u32_e64 s10, 0, v20
                                        ; implicit-def: $vgpr116
	s_delay_alu instid0(VALU_DEP_3) | instskip(NEXT) | instid1(VALU_DEP_1)
	v_dual_cndmask_b32 v81, 0, v25 :: v_dual_cndmask_b32 v80, 3, v24
	v_cmp_ne_u64_e32 vcc_lo, 0, v[80:81]
	s_or_b32 s10, s10, vcc_lo
	s_delay_alu instid0(SALU_CYCLE_1) | instskip(NEXT) | instid1(SALU_CYCLE_1)
	s_and_saveexec_b32 s29, s10
	s_xor_b32 s10, exec_lo, s29
; %bb.12578:                            ;   in Loop: Header=BB4_12210 Depth=2
	v_min_i32_e32 v14, 31, v20
	s_delay_alu instid0(VALU_DEP_1) | instskip(NEXT) | instid1(VALU_DEP_1)
	v_lshl_or_b32 v2, v14, 2, v2
	v_and_or_b32 v116, v80, 3, v2
                                        ; implicit-def: $vgpr2
; %bb.12579:                            ;   in Loop: Header=BB4_12210 Depth=2
	s_and_not1_saveexec_b32 s10, s10
; %bb.12580:                            ;   in Loop: Header=BB4_12210 Depth=2
	v_mov_b32_e32 v116, v2
; %bb.12581:                            ;   in Loop: Header=BB4_12210 Depth=2
	s_or_b32 exec_lo, exec_lo, s10
.LBB4_12582:                            ;   in Loop: Header=BB4_12210 Depth=2
	s_delay_alu instid0(SALU_CYCLE_1)
	s_or_b32 exec_lo, exec_lo, s28
                                        ; implicit-def: $vgpr2
.LBB4_12583:                            ;   in Loop: Header=BB4_12210 Depth=2
	s_and_not1_saveexec_b32 s10, s27
; %bb.12584:                            ;   in Loop: Header=BB4_12210 Depth=2
	v_or_b32_e32 v116, 0x7b, v2
; %bb.12585:                            ;   in Loop: Header=BB4_12210 Depth=2
	s_or_b32 exec_lo, exec_lo, s10
                                        ; implicit-def: $vgpr30
.LBB4_12586:                            ;   in Loop: Header=BB4_12210 Depth=2
	s_and_not1_saveexec_b32 s10, s11
	s_cbranch_execz .LBB4_12592
; %bb.12587:                            ;   in Loop: Header=BB4_12210 Depth=2
	s_mov_b32 s11, exec_lo
                                        ; implicit-def: $vgpr116
	v_cmpx_ne_u64_e32 0, v[14:15]
	s_xor_b32 s11, exec_lo, s11
; %bb.12588:                            ;   in Loop: Header=BB4_12210 Depth=2
	v_lshrrev_b32_e32 v2, 24, v30
                                        ; implicit-def: $vgpr30
	s_delay_alu instid0(VALU_DEP_1)
	v_or_b32_e32 v116, 0x7f, v2
; %bb.12589:                            ;   in Loop: Header=BB4_12210 Depth=2
	s_and_not1_saveexec_b32 s11, s11
; %bb.12590:                            ;   in Loop: Header=BB4_12210 Depth=2
	v_cmp_lt_i32_e32 vcc_lo, -1, v30
	v_cndmask_b32_e64 v116, -4, 0x7c, vcc_lo
; %bb.12591:                            ;   in Loop: Header=BB4_12210 Depth=2
	s_or_b32 exec_lo, exec_lo, s11
.LBB4_12592:                            ;   in Loop: Header=BB4_12210 Depth=2
	s_delay_alu instid0(SALU_CYCLE_1)
	s_or_b32 exec_lo, exec_lo, s10
	flat_load_i8 v80, v[12:13] offset:352 th:TH_LOAD_NT
	v_mov_b32_e32 v14, 0
	s_mov_b32 s10, exec_lo
	s_wait_loadcnt_dscnt 0x0
	v_cmpx_ne_u16_e32 0, v80
	s_cbranch_execz .LBB4_12602
; %bb.12593:                            ;   in Loop: Header=BB4_12210 Depth=2
	v_bfrev_b32_e32 v14, 1
	s_mov_b32 s11, exec_lo
	v_cmpx_ne_u16_e32 0xff80, v80
	s_cbranch_execz .LBB4_12601
; %bb.12594:                            ;   in Loop: Header=BB4_12210 Depth=2
	v_and_b32_e32 v14, 0x7c, v80
	v_and_b32_e32 v2, 3, v80
	s_delay_alu instid0(VALU_DEP_2) | instskip(SKIP_1) | instid1(SALU_CYCLE_1)
	v_cmp_ne_u32_e32 vcc_lo, 0x7c, v14
                                        ; implicit-def: $vgpr14
	s_and_saveexec_b32 s27, vcc_lo
	s_xor_b32 s27, exec_lo, s27
	s_cbranch_execz .LBB4_12598
; %bb.12595:                            ;   in Loop: Header=BB4_12210 Depth=2
	v_and_b32_e32 v14, 0xff, v80
	s_mov_b32 s28, exec_lo
	s_delay_alu instid0(VALU_DEP_1) | instskip(NEXT) | instid1(VALU_DEP_1)
	v_bfe_u32 v14, v14, 2, 5
	v_cmpx_eq_u32_e32 0, v14
; %bb.12596:                            ;   in Loop: Header=BB4_12210 Depth=2
	v_clz_i32_u32_e32 v2, v2
	s_delay_alu instid0(VALU_DEP_1) | instskip(SKIP_1) | instid1(VALU_DEP_2)
	v_min_u32_e32 v2, 32, v2
	v_mov_b32_e32 v81, v15
	v_subrev_nc_u32_e32 v14, 29, v2
	s_delay_alu instid0(VALU_DEP_1) | instskip(NEXT) | instid1(VALU_DEP_1)
	v_lshlrev_b64_e32 v[20:21], v14, v[80:81]
	v_dual_sub_nc_u32 v14, 30, v2 :: v_dual_bitop2_b32 v2, 3, v20 bitop3:0x40
; %bb.12597:                            ;   in Loop: Header=BB4_12210 Depth=2
	s_or_b32 exec_lo, exec_lo, s28
	v_bfe_i32 v20, v80, 0, 16
                                        ; implicit-def: $vgpr80
	s_delay_alu instid0(VALU_DEP_1) | instskip(NEXT) | instid1(VALU_DEP_1)
	v_and_b32_e32 v20, 0x80000000, v20
	v_lshl_add_u32 v14, v14, 23, v20
	s_delay_alu instid0(VALU_DEP_1) | instskip(NEXT) | instid1(VALU_DEP_1)
	v_lshl_or_b32 v2, v2, 21, v14
	v_add_nc_u32_e32 v14, 0x38000000, v2
                                        ; implicit-def: $vgpr2
.LBB4_12598:                            ;   in Loop: Header=BB4_12210 Depth=2
	s_and_not1_saveexec_b32 s27, s27
; %bb.12599:                            ;   in Loop: Header=BB4_12210 Depth=2
	v_cmp_lt_i16_e32 vcc_lo, -1, v80
	v_cndmask_b32_e32 v14, 0xff800000, v100, vcc_lo
	v_cmp_eq_u32_e32 vcc_lo, 0, v2
	s_delay_alu instid0(VALU_DEP_2)
	v_cndmask_b32_e32 v14, 0x7f800001, v14, vcc_lo
; %bb.12600:                            ;   in Loop: Header=BB4_12210 Depth=2
	s_or_b32 exec_lo, exec_lo, s27
.LBB4_12601:                            ;   in Loop: Header=BB4_12210 Depth=2
	s_delay_alu instid0(SALU_CYCLE_1)
	s_or_b32 exec_lo, exec_lo, s11
.LBB4_12602:                            ;   in Loop: Header=BB4_12210 Depth=2
	s_delay_alu instid0(SALU_CYCLE_1) | instskip(NEXT) | instid1(VALU_DEP_1)
	s_or_b32 exec_lo, exec_lo, s10
	v_dual_mul_f32 v30, s26, v14 :: v_dual_mov_b32 v21, v15
                                        ; implicit-def: $vgpr117
	s_mov_b32 s10, exec_lo
	s_delay_alu instid0(VALU_DEP_1) | instskip(SKIP_1) | instid1(VALU_DEP_2)
	v_and_b32_e32 v20, 0x7f800000, v30
	v_and_b32_e32 v14, 0x7fffff, v30
	v_cmpx_ne_u64_e32 0x7f800000, v[20:21]
	s_xor_b32 s11, exec_lo, s10
	s_cbranch_execz .LBB4_12620
; %bb.12603:                            ;   in Loop: Header=BB4_12210 Depth=2
	v_dual_mov_b32 v21, v15 :: v_dual_lshrrev_b32 v2, 24, v30
	v_and_b32_e32 v20, 0x7fffffff, v30
                                        ; implicit-def: $vgpr117
	s_mov_b32 s10, exec_lo
	s_delay_alu instid0(VALU_DEP_2) | instskip(NEXT) | instid1(VALU_DEP_2)
	v_and_b32_e32 v2, 0x80, v2
	v_cmpx_gt_u64_e32 0x47600001, v[20:21]
	s_xor_b32 s27, exec_lo, s10
	s_cbranch_execz .LBB4_12617
; %bb.12604:                            ;   in Loop: Header=BB4_12210 Depth=2
	v_mov_b32_e32 v117, 0
	s_mov_b32 s28, exec_lo
	v_cmpx_ne_u32_e32 0, v30
	s_cbranch_execz .LBB4_12616
; %bb.12605:                            ;   in Loop: Header=BB4_12210 Depth=2
	v_bfe_u32 v20, v30, 23, 8
	v_or_b32_e32 v30, 0x800000, v14
	v_mov_b32_e32 v81, v15
	s_delay_alu instid0(VALU_DEP_3) | instskip(SKIP_1) | instid1(VALU_DEP_2)
	v_sub_nc_u32_e32 v21, 0x71, v20
	v_cmp_gt_u32_e32 vcc_lo, 0x72, v20
	v_cndmask_b32_e32 v21, 0, v21, vcc_lo
	v_cmp_eq_u32_e32 vcc_lo, 0, v20
	s_delay_alu instid0(VALU_DEP_2) | instskip(NEXT) | instid1(VALU_DEP_1)
	v_cndmask_b32_e64 v21, v21, 0x70, vcc_lo
	v_dual_cndmask_b32 v80, v30, v14, vcc_lo :: v_dual_add_nc_u32 v24, 21, v21
	v_add_nc_u32_e32 v82, 20, v21
	s_delay_alu instid0(VALU_DEP_2) | instskip(NEXT) | instid1(VALU_DEP_2)
	v_lshlrev_b64_e64 v[24:25], v24, -1
	v_lshlrev_b64_e64 v[82:83], v82, 1
	s_delay_alu instid0(VALU_DEP_2) | instskip(SKIP_1) | instid1(VALU_DEP_4)
	v_bfi_b32 v24, v24, 0, v80
	v_lshrrev_b64 v[80:81], v21, v[80:81]
	v_bfi_b32 v25, v25, 0, 0
	s_delay_alu instid0(VALU_DEP_1) | instskip(NEXT) | instid1(VALU_DEP_3)
	v_cmp_eq_u64_e64 s10, v[24:25], v[82:83]
	v_mov_b64_e32 v[82:83], v[80:81]
	s_and_saveexec_b32 s29, s10
; %bb.12606:                            ;   in Loop: Header=BB4_12210 Depth=2
	v_bfe_u32 v24, v80, 21, 1
	v_mov_b32_e32 v25, v15
	s_delay_alu instid0(VALU_DEP_1) | instskip(NEXT) | instid1(VALU_DEP_1)
	v_add_nc_u64_e32 v[24:25], v[80:81], v[24:25]
	v_add_nc_u64_e32 v[82:83], -1, v[24:25]
; %bb.12607:                            ;   in Loop: Header=BB4_12210 Depth=2
	s_or_b32 exec_lo, exec_lo, s29
	v_add_nc_u32_e32 v14, 0xffffff81, v20
	s_delay_alu instid0(VALU_DEP_2) | instskip(SKIP_2) | instid1(VALU_DEP_3)
	v_and_b32_e32 v24, 0x1fffff, v82
	v_lshrrev_b32_e32 v20, 23, v80
	s_mov_b32 s10, exec_lo
	v_cndmask_b32_e64 v14, v14, 0xffffff82, vcc_lo
	s_delay_alu instid0(VALU_DEP_1) | instskip(SKIP_1) | instid1(VALU_DEP_2)
	v_add3_u32 v21, v21, v14, v20
	v_add_nc_u32_e32 v14, v24, v80
                                        ; implicit-def: $vgpr80_vgpr81
                                        ; implicit-def: $vgpr20
	v_add_nc_u32_e32 v30, 14, v21
	s_delay_alu instid0(VALU_DEP_1)
	v_cmpx_ne_u32_e32 0, v30
	s_xor_b32 s10, exec_lo, s10
; %bb.12608:                            ;   in Loop: Header=BB4_12210 Depth=2
	s_delay_alu instid0(VALU_DEP_3) | instskip(SKIP_2) | instid1(VALU_DEP_2)
	v_cmp_lt_u64_e32 vcc_lo, 0xffffff, v[14:15]
	v_add_nc_u32_e32 v20, 15, v21
	v_cndmask_b32_e64 v21, 0, 1, vcc_lo
	v_cndmask_b32_e32 v20, v30, v20, vcc_lo
	s_delay_alu instid0(VALU_DEP_2)
	v_lshrrev_b64 v[80:81], v21, v[14:15]
; %bb.12609:                            ;   in Loop: Header=BB4_12210 Depth=2
	s_and_not1_saveexec_b32 s10, s10
; %bb.12610:                            ;   in Loop: Header=BB4_12210 Depth=2
	v_mov_b64_e32 v[80:81], v[14:15]
	v_bfe_u32 v20, v14, 23, 1
; %bb.12611:                            ;   in Loop: Header=BB4_12210 Depth=2
	s_or_b32 exec_lo, exec_lo, s10
	s_delay_alu instid0(VALU_DEP_2) | instskip(NEXT) | instid1(VALU_DEP_2)
	v_lshrrev_b64 v[24:25], 21, v[80:81]
	v_cmp_gt_i32_e32 vcc_lo, 32, v20
	v_cmp_ne_u32_e64 s10, 0, v20
                                        ; implicit-def: $vgpr117
	s_delay_alu instid0(VALU_DEP_3) | instskip(NEXT) | instid1(VALU_DEP_1)
	v_dual_cndmask_b32 v81, 0, v25 :: v_dual_cndmask_b32 v80, 3, v24
	v_cmp_ne_u64_e32 vcc_lo, 0, v[80:81]
	s_or_b32 s10, s10, vcc_lo
	s_delay_alu instid0(SALU_CYCLE_1) | instskip(NEXT) | instid1(SALU_CYCLE_1)
	s_and_saveexec_b32 s29, s10
	s_xor_b32 s10, exec_lo, s29
; %bb.12612:                            ;   in Loop: Header=BB4_12210 Depth=2
	v_min_i32_e32 v14, 31, v20
	s_delay_alu instid0(VALU_DEP_1) | instskip(NEXT) | instid1(VALU_DEP_1)
	v_lshl_or_b32 v2, v14, 2, v2
	v_and_or_b32 v117, v80, 3, v2
                                        ; implicit-def: $vgpr2
; %bb.12613:                            ;   in Loop: Header=BB4_12210 Depth=2
	s_and_not1_saveexec_b32 s10, s10
; %bb.12614:                            ;   in Loop: Header=BB4_12210 Depth=2
	v_mov_b32_e32 v117, v2
; %bb.12615:                            ;   in Loop: Header=BB4_12210 Depth=2
	s_or_b32 exec_lo, exec_lo, s10
.LBB4_12616:                            ;   in Loop: Header=BB4_12210 Depth=2
	s_delay_alu instid0(SALU_CYCLE_1)
	s_or_b32 exec_lo, exec_lo, s28
                                        ; implicit-def: $vgpr2
.LBB4_12617:                            ;   in Loop: Header=BB4_12210 Depth=2
	s_and_not1_saveexec_b32 s10, s27
; %bb.12618:                            ;   in Loop: Header=BB4_12210 Depth=2
	v_or_b32_e32 v117, 0x7b, v2
; %bb.12619:                            ;   in Loop: Header=BB4_12210 Depth=2
	s_or_b32 exec_lo, exec_lo, s10
                                        ; implicit-def: $vgpr30
.LBB4_12620:                            ;   in Loop: Header=BB4_12210 Depth=2
	s_and_not1_saveexec_b32 s10, s11
	s_cbranch_execz .LBB4_12626
; %bb.12621:                            ;   in Loop: Header=BB4_12210 Depth=2
	s_mov_b32 s11, exec_lo
                                        ; implicit-def: $vgpr117
	v_cmpx_ne_u64_e32 0, v[14:15]
	s_xor_b32 s11, exec_lo, s11
; %bb.12622:                            ;   in Loop: Header=BB4_12210 Depth=2
	v_lshrrev_b32_e32 v2, 24, v30
                                        ; implicit-def: $vgpr30
	s_delay_alu instid0(VALU_DEP_1)
	v_or_b32_e32 v117, 0x7f, v2
; %bb.12623:                            ;   in Loop: Header=BB4_12210 Depth=2
	s_and_not1_saveexec_b32 s11, s11
; %bb.12624:                            ;   in Loop: Header=BB4_12210 Depth=2
	v_cmp_lt_i32_e32 vcc_lo, -1, v30
	v_cndmask_b32_e64 v117, -4, 0x7c, vcc_lo
; %bb.12625:                            ;   in Loop: Header=BB4_12210 Depth=2
	s_or_b32 exec_lo, exec_lo, s11
.LBB4_12626:                            ;   in Loop: Header=BB4_12210 Depth=2
	s_delay_alu instid0(SALU_CYCLE_1)
	s_or_b32 exec_lo, exec_lo, s10
	flat_load_i8 v80, v[12:13] offset:384 th:TH_LOAD_NT
	v_mov_b32_e32 v14, 0
	s_mov_b32 s10, exec_lo
	s_wait_loadcnt_dscnt 0x0
	v_cmpx_ne_u16_e32 0, v80
	s_cbranch_execz .LBB4_12636
; %bb.12627:                            ;   in Loop: Header=BB4_12210 Depth=2
	v_bfrev_b32_e32 v14, 1
	s_mov_b32 s11, exec_lo
	v_cmpx_ne_u16_e32 0xff80, v80
	s_cbranch_execz .LBB4_12635
; %bb.12628:                            ;   in Loop: Header=BB4_12210 Depth=2
	v_and_b32_e32 v14, 0x7c, v80
	v_and_b32_e32 v2, 3, v80
	s_delay_alu instid0(VALU_DEP_2) | instskip(SKIP_1) | instid1(SALU_CYCLE_1)
	v_cmp_ne_u32_e32 vcc_lo, 0x7c, v14
                                        ; implicit-def: $vgpr14
	s_and_saveexec_b32 s27, vcc_lo
	s_xor_b32 s27, exec_lo, s27
	s_cbranch_execz .LBB4_12632
; %bb.12629:                            ;   in Loop: Header=BB4_12210 Depth=2
	v_and_b32_e32 v14, 0xff, v80
	s_mov_b32 s28, exec_lo
	s_delay_alu instid0(VALU_DEP_1) | instskip(NEXT) | instid1(VALU_DEP_1)
	v_bfe_u32 v14, v14, 2, 5
	v_cmpx_eq_u32_e32 0, v14
; %bb.12630:                            ;   in Loop: Header=BB4_12210 Depth=2
	v_clz_i32_u32_e32 v2, v2
	s_delay_alu instid0(VALU_DEP_1) | instskip(SKIP_1) | instid1(VALU_DEP_2)
	v_min_u32_e32 v2, 32, v2
	v_mov_b32_e32 v81, v15
	v_subrev_nc_u32_e32 v14, 29, v2
	s_delay_alu instid0(VALU_DEP_1) | instskip(NEXT) | instid1(VALU_DEP_1)
	v_lshlrev_b64_e32 v[20:21], v14, v[80:81]
	v_dual_sub_nc_u32 v14, 30, v2 :: v_dual_bitop2_b32 v2, 3, v20 bitop3:0x40
; %bb.12631:                            ;   in Loop: Header=BB4_12210 Depth=2
	s_or_b32 exec_lo, exec_lo, s28
	v_bfe_i32 v20, v80, 0, 16
                                        ; implicit-def: $vgpr80
	s_delay_alu instid0(VALU_DEP_1) | instskip(NEXT) | instid1(VALU_DEP_1)
	v_and_b32_e32 v20, 0x80000000, v20
	v_lshl_add_u32 v14, v14, 23, v20
	s_delay_alu instid0(VALU_DEP_1) | instskip(NEXT) | instid1(VALU_DEP_1)
	v_lshl_or_b32 v2, v2, 21, v14
	v_add_nc_u32_e32 v14, 0x38000000, v2
                                        ; implicit-def: $vgpr2
.LBB4_12632:                            ;   in Loop: Header=BB4_12210 Depth=2
	s_and_not1_saveexec_b32 s27, s27
; %bb.12633:                            ;   in Loop: Header=BB4_12210 Depth=2
	v_cmp_lt_i16_e32 vcc_lo, -1, v80
	v_cndmask_b32_e32 v14, 0xff800000, v100, vcc_lo
	v_cmp_eq_u32_e32 vcc_lo, 0, v2
	s_delay_alu instid0(VALU_DEP_2)
	v_cndmask_b32_e32 v14, 0x7f800001, v14, vcc_lo
; %bb.12634:                            ;   in Loop: Header=BB4_12210 Depth=2
	s_or_b32 exec_lo, exec_lo, s27
.LBB4_12635:                            ;   in Loop: Header=BB4_12210 Depth=2
	s_delay_alu instid0(SALU_CYCLE_1)
	s_or_b32 exec_lo, exec_lo, s11
.LBB4_12636:                            ;   in Loop: Header=BB4_12210 Depth=2
	s_delay_alu instid0(SALU_CYCLE_1) | instskip(NEXT) | instid1(VALU_DEP_1)
	s_or_b32 exec_lo, exec_lo, s10
	v_dual_mul_f32 v30, s26, v14 :: v_dual_mov_b32 v21, v15
                                        ; implicit-def: $vgpr118
	s_mov_b32 s10, exec_lo
	s_delay_alu instid0(VALU_DEP_1) | instskip(SKIP_1) | instid1(VALU_DEP_2)
	v_and_b32_e32 v20, 0x7f800000, v30
	v_and_b32_e32 v14, 0x7fffff, v30
	v_cmpx_ne_u64_e32 0x7f800000, v[20:21]
	s_xor_b32 s11, exec_lo, s10
	s_cbranch_execz .LBB4_12654
; %bb.12637:                            ;   in Loop: Header=BB4_12210 Depth=2
	v_dual_mov_b32 v21, v15 :: v_dual_lshrrev_b32 v2, 24, v30
	v_and_b32_e32 v20, 0x7fffffff, v30
                                        ; implicit-def: $vgpr118
	s_mov_b32 s10, exec_lo
	s_delay_alu instid0(VALU_DEP_2) | instskip(NEXT) | instid1(VALU_DEP_2)
	v_and_b32_e32 v2, 0x80, v2
	v_cmpx_gt_u64_e32 0x47600001, v[20:21]
	s_xor_b32 s27, exec_lo, s10
	s_cbranch_execz .LBB4_12651
; %bb.12638:                            ;   in Loop: Header=BB4_12210 Depth=2
	v_mov_b32_e32 v118, 0
	s_mov_b32 s28, exec_lo
	v_cmpx_ne_u32_e32 0, v30
	s_cbranch_execz .LBB4_12650
; %bb.12639:                            ;   in Loop: Header=BB4_12210 Depth=2
	v_bfe_u32 v20, v30, 23, 8
	v_or_b32_e32 v30, 0x800000, v14
	v_mov_b32_e32 v81, v15
	s_delay_alu instid0(VALU_DEP_3) | instskip(SKIP_1) | instid1(VALU_DEP_2)
	v_sub_nc_u32_e32 v21, 0x71, v20
	v_cmp_gt_u32_e32 vcc_lo, 0x72, v20
	v_cndmask_b32_e32 v21, 0, v21, vcc_lo
	v_cmp_eq_u32_e32 vcc_lo, 0, v20
	s_delay_alu instid0(VALU_DEP_2) | instskip(NEXT) | instid1(VALU_DEP_1)
	v_cndmask_b32_e64 v21, v21, 0x70, vcc_lo
	v_dual_cndmask_b32 v80, v30, v14, vcc_lo :: v_dual_add_nc_u32 v24, 21, v21
	v_add_nc_u32_e32 v82, 20, v21
	s_delay_alu instid0(VALU_DEP_2) | instskip(NEXT) | instid1(VALU_DEP_2)
	v_lshlrev_b64_e64 v[24:25], v24, -1
	v_lshlrev_b64_e64 v[82:83], v82, 1
	s_delay_alu instid0(VALU_DEP_2) | instskip(SKIP_1) | instid1(VALU_DEP_4)
	v_bfi_b32 v24, v24, 0, v80
	v_lshrrev_b64 v[80:81], v21, v[80:81]
	v_bfi_b32 v25, v25, 0, 0
	s_delay_alu instid0(VALU_DEP_1) | instskip(NEXT) | instid1(VALU_DEP_3)
	v_cmp_eq_u64_e64 s10, v[24:25], v[82:83]
	v_mov_b64_e32 v[82:83], v[80:81]
	s_and_saveexec_b32 s29, s10
; %bb.12640:                            ;   in Loop: Header=BB4_12210 Depth=2
	v_bfe_u32 v24, v80, 21, 1
	v_mov_b32_e32 v25, v15
	s_delay_alu instid0(VALU_DEP_1) | instskip(NEXT) | instid1(VALU_DEP_1)
	v_add_nc_u64_e32 v[24:25], v[80:81], v[24:25]
	v_add_nc_u64_e32 v[82:83], -1, v[24:25]
; %bb.12641:                            ;   in Loop: Header=BB4_12210 Depth=2
	s_or_b32 exec_lo, exec_lo, s29
	v_add_nc_u32_e32 v14, 0xffffff81, v20
	s_delay_alu instid0(VALU_DEP_2) | instskip(SKIP_2) | instid1(VALU_DEP_3)
	v_and_b32_e32 v24, 0x1fffff, v82
	v_lshrrev_b32_e32 v20, 23, v80
	s_mov_b32 s10, exec_lo
	v_cndmask_b32_e64 v14, v14, 0xffffff82, vcc_lo
	s_delay_alu instid0(VALU_DEP_1) | instskip(SKIP_1) | instid1(VALU_DEP_2)
	v_add3_u32 v21, v21, v14, v20
	v_add_nc_u32_e32 v14, v24, v80
                                        ; implicit-def: $vgpr80_vgpr81
                                        ; implicit-def: $vgpr20
	v_add_nc_u32_e32 v30, 14, v21
	s_delay_alu instid0(VALU_DEP_1)
	v_cmpx_ne_u32_e32 0, v30
	s_xor_b32 s10, exec_lo, s10
; %bb.12642:                            ;   in Loop: Header=BB4_12210 Depth=2
	s_delay_alu instid0(VALU_DEP_3) | instskip(SKIP_2) | instid1(VALU_DEP_2)
	v_cmp_lt_u64_e32 vcc_lo, 0xffffff, v[14:15]
	v_add_nc_u32_e32 v20, 15, v21
	v_cndmask_b32_e64 v21, 0, 1, vcc_lo
	v_cndmask_b32_e32 v20, v30, v20, vcc_lo
	s_delay_alu instid0(VALU_DEP_2)
	v_lshrrev_b64 v[80:81], v21, v[14:15]
; %bb.12643:                            ;   in Loop: Header=BB4_12210 Depth=2
	s_and_not1_saveexec_b32 s10, s10
; %bb.12644:                            ;   in Loop: Header=BB4_12210 Depth=2
	v_mov_b64_e32 v[80:81], v[14:15]
	v_bfe_u32 v20, v14, 23, 1
; %bb.12645:                            ;   in Loop: Header=BB4_12210 Depth=2
	s_or_b32 exec_lo, exec_lo, s10
	s_delay_alu instid0(VALU_DEP_2) | instskip(NEXT) | instid1(VALU_DEP_2)
	v_lshrrev_b64 v[24:25], 21, v[80:81]
	v_cmp_gt_i32_e32 vcc_lo, 32, v20
	v_cmp_ne_u32_e64 s10, 0, v20
                                        ; implicit-def: $vgpr118
	s_delay_alu instid0(VALU_DEP_3) | instskip(NEXT) | instid1(VALU_DEP_1)
	v_dual_cndmask_b32 v81, 0, v25 :: v_dual_cndmask_b32 v80, 3, v24
	v_cmp_ne_u64_e32 vcc_lo, 0, v[80:81]
	s_or_b32 s10, s10, vcc_lo
	s_delay_alu instid0(SALU_CYCLE_1) | instskip(NEXT) | instid1(SALU_CYCLE_1)
	s_and_saveexec_b32 s29, s10
	s_xor_b32 s10, exec_lo, s29
; %bb.12646:                            ;   in Loop: Header=BB4_12210 Depth=2
	v_min_i32_e32 v14, 31, v20
	s_delay_alu instid0(VALU_DEP_1) | instskip(NEXT) | instid1(VALU_DEP_1)
	v_lshl_or_b32 v2, v14, 2, v2
	v_and_or_b32 v118, v80, 3, v2
                                        ; implicit-def: $vgpr2
; %bb.12647:                            ;   in Loop: Header=BB4_12210 Depth=2
	s_and_not1_saveexec_b32 s10, s10
; %bb.12648:                            ;   in Loop: Header=BB4_12210 Depth=2
	v_mov_b32_e32 v118, v2
; %bb.12649:                            ;   in Loop: Header=BB4_12210 Depth=2
	s_or_b32 exec_lo, exec_lo, s10
.LBB4_12650:                            ;   in Loop: Header=BB4_12210 Depth=2
	s_delay_alu instid0(SALU_CYCLE_1)
	s_or_b32 exec_lo, exec_lo, s28
                                        ; implicit-def: $vgpr2
.LBB4_12651:                            ;   in Loop: Header=BB4_12210 Depth=2
	s_and_not1_saveexec_b32 s10, s27
; %bb.12652:                            ;   in Loop: Header=BB4_12210 Depth=2
	v_or_b32_e32 v118, 0x7b, v2
; %bb.12653:                            ;   in Loop: Header=BB4_12210 Depth=2
	s_or_b32 exec_lo, exec_lo, s10
                                        ; implicit-def: $vgpr30
.LBB4_12654:                            ;   in Loop: Header=BB4_12210 Depth=2
	s_and_not1_saveexec_b32 s10, s11
	s_cbranch_execz .LBB4_12660
; %bb.12655:                            ;   in Loop: Header=BB4_12210 Depth=2
	s_mov_b32 s11, exec_lo
                                        ; implicit-def: $vgpr118
	v_cmpx_ne_u64_e32 0, v[14:15]
	s_xor_b32 s11, exec_lo, s11
; %bb.12656:                            ;   in Loop: Header=BB4_12210 Depth=2
	v_lshrrev_b32_e32 v2, 24, v30
                                        ; implicit-def: $vgpr30
	s_delay_alu instid0(VALU_DEP_1)
	v_or_b32_e32 v118, 0x7f, v2
; %bb.12657:                            ;   in Loop: Header=BB4_12210 Depth=2
	s_and_not1_saveexec_b32 s11, s11
; %bb.12658:                            ;   in Loop: Header=BB4_12210 Depth=2
	v_cmp_lt_i32_e32 vcc_lo, -1, v30
	v_cndmask_b32_e64 v118, -4, 0x7c, vcc_lo
; %bb.12659:                            ;   in Loop: Header=BB4_12210 Depth=2
	s_or_b32 exec_lo, exec_lo, s11
.LBB4_12660:                            ;   in Loop: Header=BB4_12210 Depth=2
	s_delay_alu instid0(SALU_CYCLE_1)
	s_or_b32 exec_lo, exec_lo, s10
	flat_load_i8 v80, v[12:13] offset:416 th:TH_LOAD_NT
	v_mov_b32_e32 v14, 0
	s_mov_b32 s10, exec_lo
	s_wait_loadcnt_dscnt 0x0
	v_cmpx_ne_u16_e32 0, v80
	s_cbranch_execz .LBB4_12670
; %bb.12661:                            ;   in Loop: Header=BB4_12210 Depth=2
	v_bfrev_b32_e32 v14, 1
	s_mov_b32 s11, exec_lo
	v_cmpx_ne_u16_e32 0xff80, v80
	s_cbranch_execz .LBB4_12669
; %bb.12662:                            ;   in Loop: Header=BB4_12210 Depth=2
	v_and_b32_e32 v14, 0x7c, v80
	v_and_b32_e32 v2, 3, v80
	s_delay_alu instid0(VALU_DEP_2) | instskip(SKIP_1) | instid1(SALU_CYCLE_1)
	v_cmp_ne_u32_e32 vcc_lo, 0x7c, v14
                                        ; implicit-def: $vgpr14
	s_and_saveexec_b32 s27, vcc_lo
	s_xor_b32 s27, exec_lo, s27
	s_cbranch_execz .LBB4_12666
; %bb.12663:                            ;   in Loop: Header=BB4_12210 Depth=2
	v_and_b32_e32 v14, 0xff, v80
	s_mov_b32 s28, exec_lo
	s_delay_alu instid0(VALU_DEP_1) | instskip(NEXT) | instid1(VALU_DEP_1)
	v_bfe_u32 v14, v14, 2, 5
	v_cmpx_eq_u32_e32 0, v14
; %bb.12664:                            ;   in Loop: Header=BB4_12210 Depth=2
	v_clz_i32_u32_e32 v2, v2
	s_delay_alu instid0(VALU_DEP_1) | instskip(SKIP_1) | instid1(VALU_DEP_2)
	v_min_u32_e32 v2, 32, v2
	v_mov_b32_e32 v81, v15
	v_subrev_nc_u32_e32 v14, 29, v2
	s_delay_alu instid0(VALU_DEP_1) | instskip(NEXT) | instid1(VALU_DEP_1)
	v_lshlrev_b64_e32 v[20:21], v14, v[80:81]
	v_dual_sub_nc_u32 v14, 30, v2 :: v_dual_bitop2_b32 v2, 3, v20 bitop3:0x40
; %bb.12665:                            ;   in Loop: Header=BB4_12210 Depth=2
	s_or_b32 exec_lo, exec_lo, s28
	v_bfe_i32 v20, v80, 0, 16
                                        ; implicit-def: $vgpr80
	s_delay_alu instid0(VALU_DEP_1) | instskip(NEXT) | instid1(VALU_DEP_1)
	v_and_b32_e32 v20, 0x80000000, v20
	v_lshl_add_u32 v14, v14, 23, v20
	s_delay_alu instid0(VALU_DEP_1) | instskip(NEXT) | instid1(VALU_DEP_1)
	v_lshl_or_b32 v2, v2, 21, v14
	v_add_nc_u32_e32 v14, 0x38000000, v2
                                        ; implicit-def: $vgpr2
.LBB4_12666:                            ;   in Loop: Header=BB4_12210 Depth=2
	s_and_not1_saveexec_b32 s27, s27
; %bb.12667:                            ;   in Loop: Header=BB4_12210 Depth=2
	v_cmp_lt_i16_e32 vcc_lo, -1, v80
	v_cndmask_b32_e32 v14, 0xff800000, v100, vcc_lo
	v_cmp_eq_u32_e32 vcc_lo, 0, v2
	s_delay_alu instid0(VALU_DEP_2)
	v_cndmask_b32_e32 v14, 0x7f800001, v14, vcc_lo
; %bb.12668:                            ;   in Loop: Header=BB4_12210 Depth=2
	s_or_b32 exec_lo, exec_lo, s27
.LBB4_12669:                            ;   in Loop: Header=BB4_12210 Depth=2
	s_delay_alu instid0(SALU_CYCLE_1)
	s_or_b32 exec_lo, exec_lo, s11
.LBB4_12670:                            ;   in Loop: Header=BB4_12210 Depth=2
	s_delay_alu instid0(SALU_CYCLE_1) | instskip(NEXT) | instid1(VALU_DEP_1)
	s_or_b32 exec_lo, exec_lo, s10
	v_dual_mul_f32 v30, s26, v14 :: v_dual_mov_b32 v21, v15
                                        ; implicit-def: $vgpr2
	s_mov_b32 s10, exec_lo
	s_delay_alu instid0(VALU_DEP_1) | instskip(SKIP_1) | instid1(VALU_DEP_2)
	v_and_b32_e32 v20, 0x7f800000, v30
	v_and_b32_e32 v14, 0x7fffff, v30
	v_cmpx_ne_u64_e32 0x7f800000, v[20:21]
	s_xor_b32 s11, exec_lo, s10
	s_cbranch_execz .LBB4_12688
; %bb.12671:                            ;   in Loop: Header=BB4_12210 Depth=2
	v_dual_mov_b32 v21, v15 :: v_dual_lshrrev_b32 v2, 24, v30
	v_and_b32_e32 v20, 0x7fffffff, v30
	s_mov_b32 s10, exec_lo
	s_delay_alu instid0(VALU_DEP_2) | instskip(NEXT) | instid1(VALU_DEP_2)
	v_and_b32_e32 v98, 0x80, v2
                                        ; implicit-def: $vgpr2
	v_cmpx_gt_u64_e32 0x47600001, v[20:21]
	s_xor_b32 s27, exec_lo, s10
	s_cbranch_execz .LBB4_12685
; %bb.12672:                            ;   in Loop: Header=BB4_12210 Depth=2
	v_mov_b32_e32 v2, 0
	s_mov_b32 s28, exec_lo
	v_cmpx_ne_u32_e32 0, v30
	s_cbranch_execz .LBB4_12684
; %bb.12673:                            ;   in Loop: Header=BB4_12210 Depth=2
	v_bfe_u32 v2, v30, 23, 8
	v_or_b32_e32 v30, 0x800000, v14
	s_delay_alu instid0(VALU_DEP_2) | instskip(SKIP_1) | instid1(VALU_DEP_2)
	v_dual_mov_b32 v81, v15 :: v_dual_sub_nc_u32 v20, 0x71, v2
	v_cmp_gt_u32_e32 vcc_lo, 0x72, v2
	v_cndmask_b32_e32 v20, 0, v20, vcc_lo
	v_cmp_eq_u32_e32 vcc_lo, 0, v2
	v_cndmask_b32_e32 v80, v30, v14, vcc_lo
	s_delay_alu instid0(VALU_DEP_3) | instskip(NEXT) | instid1(VALU_DEP_1)
	v_cndmask_b32_e64 v20, v20, 0x70, vcc_lo
	v_add_nc_u32_e32 v21, 21, v20
	s_delay_alu instid0(VALU_DEP_1) | instskip(SKIP_1) | instid1(VALU_DEP_1)
	v_lshlrev_b64_e64 v[24:25], v21, -1
	v_add_nc_u32_e32 v21, 20, v20
	v_lshlrev_b64_e64 v[82:83], v21, 1
	s_delay_alu instid0(VALU_DEP_3) | instskip(SKIP_2) | instid1(VALU_DEP_1)
	v_bfi_b32 v24, v24, 0, v80
	v_lshrrev_b64 v[80:81], v20, v[80:81]
	v_bfi_b32 v25, v25, 0, 0
	v_cmp_eq_u64_e64 s10, v[24:25], v[82:83]
	s_delay_alu instid0(VALU_DEP_3)
	v_mov_b64_e32 v[82:83], v[80:81]
	s_and_saveexec_b32 s29, s10
; %bb.12674:                            ;   in Loop: Header=BB4_12210 Depth=2
	v_bfe_u32 v24, v80, 21, 1
	v_mov_b32_e32 v25, v15
	s_delay_alu instid0(VALU_DEP_1) | instskip(NEXT) | instid1(VALU_DEP_1)
	v_add_nc_u64_e32 v[24:25], v[80:81], v[24:25]
	v_add_nc_u64_e32 v[82:83], -1, v[24:25]
; %bb.12675:                            ;   in Loop: Header=BB4_12210 Depth=2
	s_or_b32 exec_lo, exec_lo, s29
	v_add_nc_u32_e32 v2, 0xffffff81, v2
	v_lshrrev_b32_e32 v14, 23, v80
	s_delay_alu instid0(VALU_DEP_3) | instskip(SKIP_1) | instid1(VALU_DEP_3)
	v_and_b32_e32 v21, 0x1fffff, v82
	s_mov_b32 s10, exec_lo
	v_cndmask_b32_e64 v2, v2, 0xffffff82, vcc_lo
	s_delay_alu instid0(VALU_DEP_1) | instskip(NEXT) | instid1(VALU_DEP_3)
	v_add3_u32 v2, v20, v2, v14
	v_add_nc_u32_e32 v14, v21, v80
                                        ; implicit-def: $vgpr80_vgpr81
                                        ; implicit-def: $vgpr20
	s_delay_alu instid0(VALU_DEP_2) | instskip(NEXT) | instid1(VALU_DEP_1)
	v_add_nc_u32_e32 v21, 14, v2
	v_cmpx_ne_u32_e32 0, v21
	s_xor_b32 s10, exec_lo, s10
; %bb.12676:                            ;   in Loop: Header=BB4_12210 Depth=2
	s_delay_alu instid0(VALU_DEP_3) | instskip(SKIP_1) | instid1(VALU_DEP_1)
	v_cmp_lt_u64_e32 vcc_lo, 0xffffff, v[14:15]
	v_add_nc_u32_e32 v2, 15, v2
	v_cndmask_b32_e32 v20, v21, v2, vcc_lo
	v_cndmask_b32_e64 v2, 0, 1, vcc_lo
	s_delay_alu instid0(VALU_DEP_1)
	v_lshrrev_b64 v[80:81], v2, v[14:15]
; %bb.12677:                            ;   in Loop: Header=BB4_12210 Depth=2
	s_and_not1_saveexec_b32 s10, s10
; %bb.12678:                            ;   in Loop: Header=BB4_12210 Depth=2
	v_mov_b64_e32 v[80:81], v[14:15]
	v_bfe_u32 v20, v14, 23, 1
; %bb.12679:                            ;   in Loop: Header=BB4_12210 Depth=2
	s_or_b32 exec_lo, exec_lo, s10
	s_delay_alu instid0(VALU_DEP_2) | instskip(NEXT) | instid1(VALU_DEP_2)
	v_lshrrev_b64 v[24:25], 21, v[80:81]
	v_cmp_gt_i32_e32 vcc_lo, 32, v20
	v_cmp_ne_u32_e64 s10, 0, v20
                                        ; implicit-def: $vgpr2
	s_delay_alu instid0(VALU_DEP_3) | instskip(NEXT) | instid1(VALU_DEP_1)
	v_dual_cndmask_b32 v81, 0, v25 :: v_dual_cndmask_b32 v80, 3, v24
	v_cmp_ne_u64_e32 vcc_lo, 0, v[80:81]
	s_or_b32 s10, s10, vcc_lo
	s_delay_alu instid0(SALU_CYCLE_1) | instskip(NEXT) | instid1(SALU_CYCLE_1)
	s_and_saveexec_b32 s29, s10
	s_xor_b32 s10, exec_lo, s29
; %bb.12680:                            ;   in Loop: Header=BB4_12210 Depth=2
	v_min_i32_e32 v2, 31, v20
	s_delay_alu instid0(VALU_DEP_1) | instskip(NEXT) | instid1(VALU_DEP_1)
	v_lshl_or_b32 v2, v2, 2, v98
                                        ; implicit-def: $vgpr98
	v_and_or_b32 v2, v80, 3, v2
; %bb.12681:                            ;   in Loop: Header=BB4_12210 Depth=2
	s_and_not1_saveexec_b32 s10, s10
; %bb.12682:                            ;   in Loop: Header=BB4_12210 Depth=2
	v_mov_b32_e32 v2, v98
; %bb.12683:                            ;   in Loop: Header=BB4_12210 Depth=2
	s_or_b32 exec_lo, exec_lo, s10
.LBB4_12684:                            ;   in Loop: Header=BB4_12210 Depth=2
	s_delay_alu instid0(SALU_CYCLE_1)
	s_or_b32 exec_lo, exec_lo, s28
                                        ; implicit-def: $vgpr98
.LBB4_12685:                            ;   in Loop: Header=BB4_12210 Depth=2
	s_and_not1_saveexec_b32 s10, s27
; %bb.12686:                            ;   in Loop: Header=BB4_12210 Depth=2
	v_or_b32_e32 v2, 0x7b, v98
; %bb.12687:                            ;   in Loop: Header=BB4_12210 Depth=2
	s_or_b32 exec_lo, exec_lo, s10
                                        ; implicit-def: $vgpr30
.LBB4_12688:                            ;   in Loop: Header=BB4_12210 Depth=2
	s_and_not1_saveexec_b32 s10, s11
	s_cbranch_execz .LBB4_12694
; %bb.12689:                            ;   in Loop: Header=BB4_12210 Depth=2
	s_mov_b32 s11, exec_lo
                                        ; implicit-def: $vgpr2
	v_cmpx_ne_u64_e32 0, v[14:15]
	s_xor_b32 s11, exec_lo, s11
; %bb.12690:                            ;   in Loop: Header=BB4_12210 Depth=2
	v_lshrrev_b32_e32 v2, 24, v30
                                        ; implicit-def: $vgpr30
	s_delay_alu instid0(VALU_DEP_1)
	v_or_b32_e32 v2, 0x7f, v2
; %bb.12691:                            ;   in Loop: Header=BB4_12210 Depth=2
	s_and_not1_saveexec_b32 s11, s11
; %bb.12692:                            ;   in Loop: Header=BB4_12210 Depth=2
	v_cmp_lt_i32_e32 vcc_lo, -1, v30
	v_cndmask_b32_e64 v2, -4, 0x7c, vcc_lo
; %bb.12693:                            ;   in Loop: Header=BB4_12210 Depth=2
	s_or_b32 exec_lo, exec_lo, s11
.LBB4_12694:                            ;   in Loop: Header=BB4_12210 Depth=2
	s_delay_alu instid0(SALU_CYCLE_1)
	s_or_b32 exec_lo, exec_lo, s10
	flat_load_i8 v80, v[12:13] offset:448 th:TH_LOAD_NT
	v_mov_b32_e32 v20, 0
	s_mov_b32 s10, exec_lo
	s_wait_loadcnt_dscnt 0x0
	v_cmpx_ne_u16_e32 0, v80
	s_cbranch_execz .LBB4_12704
; %bb.12695:                            ;   in Loop: Header=BB4_12210 Depth=2
	v_bfrev_b32_e32 v20, 1
	s_mov_b32 s11, exec_lo
	v_cmpx_ne_u16_e32 0xff80, v80
	s_cbranch_execz .LBB4_12703
; %bb.12696:                            ;   in Loop: Header=BB4_12210 Depth=2
	v_and_b32_e32 v20, 0x7c, v80
	v_and_b32_e32 v14, 3, v80
	s_delay_alu instid0(VALU_DEP_2) | instskip(SKIP_1) | instid1(SALU_CYCLE_1)
	v_cmp_ne_u32_e32 vcc_lo, 0x7c, v20
                                        ; implicit-def: $vgpr20
	s_and_saveexec_b32 s27, vcc_lo
	s_xor_b32 s27, exec_lo, s27
	s_cbranch_execz .LBB4_12700
; %bb.12697:                            ;   in Loop: Header=BB4_12210 Depth=2
	v_and_b32_e32 v20, 0xff, v80
	s_mov_b32 s28, exec_lo
	s_delay_alu instid0(VALU_DEP_1) | instskip(NEXT) | instid1(VALU_DEP_1)
	v_bfe_u32 v20, v20, 2, 5
	v_cmpx_eq_u32_e32 0, v20
; %bb.12698:                            ;   in Loop: Header=BB4_12210 Depth=2
	v_clz_i32_u32_e32 v14, v14
	s_delay_alu instid0(VALU_DEP_1) | instskip(SKIP_1) | instid1(VALU_DEP_2)
	v_min_u32_e32 v14, 32, v14
	v_mov_b32_e32 v81, v15
	v_subrev_nc_u32_e32 v20, 29, v14
	s_delay_alu instid0(VALU_DEP_1) | instskip(NEXT) | instid1(VALU_DEP_1)
	v_lshlrev_b64_e32 v[24:25], v20, v[80:81]
	v_dual_sub_nc_u32 v20, 30, v14 :: v_dual_bitop2_b32 v14, 3, v24 bitop3:0x40
; %bb.12699:                            ;   in Loop: Header=BB4_12210 Depth=2
	s_or_b32 exec_lo, exec_lo, s28
	v_bfe_i32 v21, v80, 0, 16
                                        ; implicit-def: $vgpr80
	s_delay_alu instid0(VALU_DEP_1) | instskip(NEXT) | instid1(VALU_DEP_1)
	v_and_b32_e32 v21, 0x80000000, v21
	v_lshl_add_u32 v20, v20, 23, v21
	s_delay_alu instid0(VALU_DEP_1) | instskip(NEXT) | instid1(VALU_DEP_1)
	v_lshl_or_b32 v14, v14, 21, v20
	v_add_nc_u32_e32 v20, 0x38000000, v14
                                        ; implicit-def: $vgpr14
.LBB4_12700:                            ;   in Loop: Header=BB4_12210 Depth=2
	s_and_not1_saveexec_b32 s27, s27
; %bb.12701:                            ;   in Loop: Header=BB4_12210 Depth=2
	v_cmp_lt_i16_e32 vcc_lo, -1, v80
	v_cndmask_b32_e32 v20, 0xff800000, v100, vcc_lo
	v_cmp_eq_u32_e32 vcc_lo, 0, v14
	s_delay_alu instid0(VALU_DEP_2)
	v_cndmask_b32_e32 v20, 0x7f800001, v20, vcc_lo
; %bb.12702:                            ;   in Loop: Header=BB4_12210 Depth=2
	s_or_b32 exec_lo, exec_lo, s27
.LBB4_12703:                            ;   in Loop: Header=BB4_12210 Depth=2
	s_delay_alu instid0(SALU_CYCLE_1)
	s_or_b32 exec_lo, exec_lo, s11
.LBB4_12704:                            ;   in Loop: Header=BB4_12210 Depth=2
	s_delay_alu instid0(SALU_CYCLE_1) | instskip(NEXT) | instid1(VALU_DEP_1)
	s_or_b32 exec_lo, exec_lo, s10
	v_dual_mul_f32 v30, s26, v20 :: v_dual_mov_b32 v21, v15
                                        ; implicit-def: $vgpr82
	s_mov_b32 s10, exec_lo
	s_delay_alu instid0(VALU_DEP_1) | instskip(SKIP_1) | instid1(VALU_DEP_2)
	v_and_b32_e32 v20, 0x7f800000, v30
	v_and_b32_e32 v14, 0x7fffff, v30
	v_cmpx_ne_u64_e32 0x7f800000, v[20:21]
	s_xor_b32 s11, exec_lo, s10
	s_cbranch_execz .LBB4_12722
; %bb.12705:                            ;   in Loop: Header=BB4_12210 Depth=2
	v_dual_mov_b32 v21, v15 :: v_dual_lshrrev_b32 v24, 24, v30
	v_and_b32_e32 v20, 0x7fffffff, v30
                                        ; implicit-def: $vgpr82
	s_mov_b32 s10, exec_lo
	s_delay_alu instid0(VALU_DEP_2) | instskip(NEXT) | instid1(VALU_DEP_2)
	v_and_b32_e32 v98, 0x80, v24
	v_cmpx_gt_u64_e32 0x47600001, v[20:21]
	s_xor_b32 s27, exec_lo, s10
	s_cbranch_execz .LBB4_12719
; %bb.12706:                            ;   in Loop: Header=BB4_12210 Depth=2
	v_mov_b32_e32 v82, 0
	s_mov_b32 s28, exec_lo
	v_cmpx_ne_u32_e32 0, v30
	s_cbranch_execz .LBB4_12718
; %bb.12707:                            ;   in Loop: Header=BB4_12210 Depth=2
	v_bfe_u32 v20, v30, 23, 8
	v_or_b32_e32 v30, 0x800000, v14
	v_mov_b32_e32 v81, v15
	s_delay_alu instid0(VALU_DEP_3) | instskip(SKIP_1) | instid1(VALU_DEP_2)
	v_sub_nc_u32_e32 v21, 0x71, v20
	v_cmp_gt_u32_e32 vcc_lo, 0x72, v20
	v_cndmask_b32_e32 v21, 0, v21, vcc_lo
	v_cmp_eq_u32_e32 vcc_lo, 0, v20
	s_delay_alu instid0(VALU_DEP_2) | instskip(NEXT) | instid1(VALU_DEP_1)
	v_cndmask_b32_e64 v21, v21, 0x70, vcc_lo
	v_dual_cndmask_b32 v80, v30, v14, vcc_lo :: v_dual_add_nc_u32 v24, 21, v21
	v_add_nc_u32_e32 v82, 20, v21
	s_delay_alu instid0(VALU_DEP_2) | instskip(NEXT) | instid1(VALU_DEP_2)
	v_lshlrev_b64_e64 v[24:25], v24, -1
	v_lshlrev_b64_e64 v[82:83], v82, 1
	s_delay_alu instid0(VALU_DEP_2) | instskip(SKIP_1) | instid1(VALU_DEP_4)
	v_bfi_b32 v24, v24, 0, v80
	v_lshrrev_b64 v[80:81], v21, v[80:81]
	v_bfi_b32 v25, v25, 0, 0
	s_delay_alu instid0(VALU_DEP_1) | instskip(NEXT) | instid1(VALU_DEP_3)
	v_cmp_eq_u64_e64 s10, v[24:25], v[82:83]
	v_mov_b64_e32 v[82:83], v[80:81]
	s_and_saveexec_b32 s29, s10
; %bb.12708:                            ;   in Loop: Header=BB4_12210 Depth=2
	v_bfe_u32 v24, v80, 21, 1
	v_mov_b32_e32 v25, v15
	s_delay_alu instid0(VALU_DEP_1) | instskip(NEXT) | instid1(VALU_DEP_1)
	v_add_nc_u64_e32 v[24:25], v[80:81], v[24:25]
	v_add_nc_u64_e32 v[82:83], -1, v[24:25]
; %bb.12709:                            ;   in Loop: Header=BB4_12210 Depth=2
	s_or_b32 exec_lo, exec_lo, s29
	v_add_nc_u32_e32 v14, 0xffffff81, v20
	s_delay_alu instid0(VALU_DEP_2) | instskip(SKIP_2) | instid1(VALU_DEP_3)
	v_and_b32_e32 v24, 0x1fffff, v82
	v_lshrrev_b32_e32 v20, 23, v80
	s_mov_b32 s10, exec_lo
	v_cndmask_b32_e64 v14, v14, 0xffffff82, vcc_lo
	s_delay_alu instid0(VALU_DEP_1) | instskip(SKIP_1) | instid1(VALU_DEP_2)
	v_add3_u32 v21, v21, v14, v20
	v_add_nc_u32_e32 v14, v24, v80
                                        ; implicit-def: $vgpr80_vgpr81
                                        ; implicit-def: $vgpr20
	v_add_nc_u32_e32 v30, 14, v21
	s_delay_alu instid0(VALU_DEP_1)
	v_cmpx_ne_u32_e32 0, v30
	s_xor_b32 s10, exec_lo, s10
; %bb.12710:                            ;   in Loop: Header=BB4_12210 Depth=2
	s_delay_alu instid0(VALU_DEP_3) | instskip(SKIP_2) | instid1(VALU_DEP_2)
	v_cmp_lt_u64_e32 vcc_lo, 0xffffff, v[14:15]
	v_add_nc_u32_e32 v20, 15, v21
	v_cndmask_b32_e64 v21, 0, 1, vcc_lo
	v_cndmask_b32_e32 v20, v30, v20, vcc_lo
	s_delay_alu instid0(VALU_DEP_2)
	v_lshrrev_b64 v[80:81], v21, v[14:15]
; %bb.12711:                            ;   in Loop: Header=BB4_12210 Depth=2
	s_and_not1_saveexec_b32 s10, s10
; %bb.12712:                            ;   in Loop: Header=BB4_12210 Depth=2
	v_mov_b64_e32 v[80:81], v[14:15]
	v_bfe_u32 v20, v14, 23, 1
; %bb.12713:                            ;   in Loop: Header=BB4_12210 Depth=2
	s_or_b32 exec_lo, exec_lo, s10
	s_delay_alu instid0(VALU_DEP_2) | instskip(NEXT) | instid1(VALU_DEP_2)
	v_lshrrev_b64 v[24:25], 21, v[80:81]
	v_cmp_gt_i32_e32 vcc_lo, 32, v20
	v_cmp_ne_u32_e64 s10, 0, v20
                                        ; implicit-def: $vgpr82
	s_delay_alu instid0(VALU_DEP_3) | instskip(NEXT) | instid1(VALU_DEP_1)
	v_dual_cndmask_b32 v81, 0, v25 :: v_dual_cndmask_b32 v80, 3, v24
	v_cmp_ne_u64_e32 vcc_lo, 0, v[80:81]
	s_or_b32 s10, s10, vcc_lo
	s_delay_alu instid0(SALU_CYCLE_1) | instskip(NEXT) | instid1(SALU_CYCLE_1)
	s_and_saveexec_b32 s29, s10
	s_xor_b32 s10, exec_lo, s29
; %bb.12714:                            ;   in Loop: Header=BB4_12210 Depth=2
	v_min_i32_e32 v14, 31, v20
	s_delay_alu instid0(VALU_DEP_1) | instskip(NEXT) | instid1(VALU_DEP_1)
	v_lshl_or_b32 v14, v14, 2, v98
                                        ; implicit-def: $vgpr98
	v_and_or_b32 v82, v80, 3, v14
; %bb.12715:                            ;   in Loop: Header=BB4_12210 Depth=2
	s_and_not1_saveexec_b32 s10, s10
; %bb.12716:                            ;   in Loop: Header=BB4_12210 Depth=2
	v_mov_b32_e32 v82, v98
; %bb.12717:                            ;   in Loop: Header=BB4_12210 Depth=2
	s_or_b32 exec_lo, exec_lo, s10
.LBB4_12718:                            ;   in Loop: Header=BB4_12210 Depth=2
	s_delay_alu instid0(SALU_CYCLE_1)
	s_or_b32 exec_lo, exec_lo, s28
                                        ; implicit-def: $vgpr98
.LBB4_12719:                            ;   in Loop: Header=BB4_12210 Depth=2
	s_and_not1_saveexec_b32 s10, s27
; %bb.12720:                            ;   in Loop: Header=BB4_12210 Depth=2
	v_or_b32_e32 v82, 0x7b, v98
; %bb.12721:                            ;   in Loop: Header=BB4_12210 Depth=2
	s_or_b32 exec_lo, exec_lo, s10
                                        ; implicit-def: $vgpr30
.LBB4_12722:                            ;   in Loop: Header=BB4_12210 Depth=2
	s_and_not1_saveexec_b32 s10, s11
	s_cbranch_execz .LBB4_12728
; %bb.12723:                            ;   in Loop: Header=BB4_12210 Depth=2
	s_mov_b32 s11, exec_lo
                                        ; implicit-def: $vgpr82
	v_cmpx_ne_u64_e32 0, v[14:15]
	s_xor_b32 s11, exec_lo, s11
; %bb.12724:                            ;   in Loop: Header=BB4_12210 Depth=2
	v_lshrrev_b32_e32 v14, 24, v30
                                        ; implicit-def: $vgpr30
	s_delay_alu instid0(VALU_DEP_1)
	v_or_b32_e32 v82, 0x7f, v14
; %bb.12725:                            ;   in Loop: Header=BB4_12210 Depth=2
	s_and_not1_saveexec_b32 s11, s11
; %bb.12726:                            ;   in Loop: Header=BB4_12210 Depth=2
	v_cmp_lt_i32_e32 vcc_lo, -1, v30
	v_cndmask_b32_e64 v82, -4, 0x7c, vcc_lo
; %bb.12727:                            ;   in Loop: Header=BB4_12210 Depth=2
	s_or_b32 exec_lo, exec_lo, s11
.LBB4_12728:                            ;   in Loop: Header=BB4_12210 Depth=2
	s_delay_alu instid0(SALU_CYCLE_1)
	s_or_b32 exec_lo, exec_lo, s10
	flat_load_i8 v12, v[12:13] offset:480 th:TH_LOAD_NT
	v_mov_b32_e32 v14, 0
	s_mov_b32 s10, exec_lo
	s_wait_loadcnt_dscnt 0x0
	v_cmpx_ne_u16_e32 0, v12
	s_cbranch_execz .LBB4_12738
; %bb.12729:                            ;   in Loop: Header=BB4_12210 Depth=2
	v_bfrev_b32_e32 v14, 1
	s_mov_b32 s11, exec_lo
	v_cmpx_ne_u16_e32 0xff80, v12
	s_cbranch_execz .LBB4_12737
; %bb.12730:                            ;   in Loop: Header=BB4_12210 Depth=2
	v_and_b32_e32 v14, 0x7c, v12
	v_and_b32_e32 v13, 3, v12
	s_delay_alu instid0(VALU_DEP_2) | instskip(SKIP_1) | instid1(SALU_CYCLE_1)
	v_cmp_ne_u32_e32 vcc_lo, 0x7c, v14
                                        ; implicit-def: $vgpr14
	s_and_saveexec_b32 s27, vcc_lo
	s_xor_b32 s27, exec_lo, s27
	s_cbranch_execz .LBB4_12734
; %bb.12731:                            ;   in Loop: Header=BB4_12210 Depth=2
	v_and_b32_e32 v14, 0xff, v12
	s_mov_b32 s28, exec_lo
	s_delay_alu instid0(VALU_DEP_1) | instskip(NEXT) | instid1(VALU_DEP_1)
	v_bfe_u32 v14, v14, 2, 5
	v_cmpx_eq_u32_e32 0, v14
	s_cbranch_execz .LBB4_12733
; %bb.12732:                            ;   in Loop: Header=BB4_12210 Depth=2
	v_clz_i32_u32_e32 v13, v13
	s_delay_alu instid0(VALU_DEP_1) | instskip(SKIP_1) | instid1(VALU_DEP_2)
	v_min_u32_e32 v14, 32, v13
	v_mov_b32_e32 v13, v15
	v_subrev_nc_u32_e32 v20, 29, v14
	v_sub_nc_u32_e32 v14, 30, v14
	s_delay_alu instid0(VALU_DEP_2) | instskip(NEXT) | instid1(VALU_DEP_1)
	v_lshlrev_b64_e32 v[20:21], v20, v[12:13]
	v_and_b32_e32 v13, 3, v20
.LBB4_12733:                            ;   in Loop: Header=BB4_12210 Depth=2
	s_or_b32 exec_lo, exec_lo, s28
	v_bfe_i32 v12, v12, 0, 16
	s_delay_alu instid0(VALU_DEP_1) | instskip(NEXT) | instid1(VALU_DEP_1)
	v_and_b32_e32 v12, 0x80000000, v12
	v_lshl_add_u32 v12, v14, 23, v12
	s_delay_alu instid0(VALU_DEP_1) | instskip(NEXT) | instid1(VALU_DEP_1)
	v_lshl_or_b32 v12, v13, 21, v12
                                        ; implicit-def: $vgpr13
	v_add_nc_u32_e32 v14, 0x38000000, v12
                                        ; implicit-def: $vgpr12
.LBB4_12734:                            ;   in Loop: Header=BB4_12210 Depth=2
	s_and_not1_saveexec_b32 s27, s27
; %bb.12735:                            ;   in Loop: Header=BB4_12210 Depth=2
	v_cmp_lt_i16_e32 vcc_lo, -1, v12
	v_cndmask_b32_e32 v12, 0xff800000, v100, vcc_lo
	v_cmp_eq_u32_e32 vcc_lo, 0, v13
	s_delay_alu instid0(VALU_DEP_2)
	v_cndmask_b32_e32 v14, 0x7f800001, v12, vcc_lo
; %bb.12736:                            ;   in Loop: Header=BB4_12210 Depth=2
	s_or_b32 exec_lo, exec_lo, s27
.LBB4_12737:                            ;   in Loop: Header=BB4_12210 Depth=2
	s_delay_alu instid0(SALU_CYCLE_1)
	s_or_b32 exec_lo, exec_lo, s11
.LBB4_12738:                            ;   in Loop: Header=BB4_12210 Depth=2
	s_delay_alu instid0(SALU_CYCLE_1) | instskip(NEXT) | instid1(VALU_DEP_1)
	s_or_b32 exec_lo, exec_lo, s10
	v_dual_mul_f32 v12, s26, v14 :: v_dual_mov_b32 v21, v15
                                        ; implicit-def: $vgpr13
	s_mov_b32 s10, exec_lo
	s_delay_alu instid0(VALU_DEP_1) | instskip(SKIP_1) | instid1(VALU_DEP_2)
	v_and_b32_e32 v20, 0x7f800000, v12
	v_and_b32_e32 v14, 0x7fffff, v12
	v_cmpx_ne_u64_e32 0x7f800000, v[20:21]
	s_xor_b32 s11, exec_lo, s10
	s_cbranch_execz .LBB4_12756
; %bb.12739:                            ;   in Loop: Header=BB4_12210 Depth=2
	v_dual_mov_b32 v21, v15 :: v_dual_lshrrev_b32 v13, 24, v12
	v_and_b32_e32 v20, 0x7fffffff, v12
	s_mov_b32 s10, exec_lo
	s_delay_alu instid0(VALU_DEP_2) | instskip(NEXT) | instid1(VALU_DEP_2)
	v_and_b32_e32 v83, 0x80, v13
                                        ; implicit-def: $vgpr13
	v_cmpx_gt_u64_e32 0x47600001, v[20:21]
	s_xor_b32 s26, exec_lo, s10
	s_cbranch_execz .LBB4_12753
; %bb.12740:                            ;   in Loop: Header=BB4_12210 Depth=2
	v_mov_b32_e32 v13, 0
	s_mov_b32 s27, exec_lo
	v_cmpx_ne_u32_e32 0, v12
	s_cbranch_execz .LBB4_12752
; %bb.12741:                            ;   in Loop: Header=BB4_12210 Depth=2
	v_bfe_u32 v20, v12, 23, 8
	v_or_b32_e32 v24, 0x800000, v14
	s_delay_alu instid0(VALU_DEP_2) | instskip(SKIP_1) | instid1(VALU_DEP_2)
	v_dual_mov_b32 v25, v15 :: v_dual_sub_nc_u32 v12, 0x71, v20
	v_cmp_gt_u32_e32 vcc_lo, 0x72, v20
	v_cndmask_b32_e32 v12, 0, v12, vcc_lo
	v_cmp_eq_u32_e32 vcc_lo, 0, v20
	s_delay_alu instid0(VALU_DEP_2) | instskip(NEXT) | instid1(VALU_DEP_1)
	v_cndmask_b32_e64 v21, v12, 0x70, vcc_lo
	v_dual_cndmask_b32 v24, v24, v14, vcc_lo :: v_dual_add_nc_u32 v12, 21, v21
	v_add_nc_u32_e32 v30, 20, v21
	s_delay_alu instid0(VALU_DEP_2) | instskip(NEXT) | instid1(VALU_DEP_2)
	v_lshlrev_b64_e64 v[12:13], v12, -1
	v_lshlrev_b64_e64 v[80:81], v30, 1
	s_delay_alu instid0(VALU_DEP_2) | instskip(NEXT) | instid1(VALU_DEP_3)
	v_bfi_b32 v99, v13, 0, 0
	v_bfi_b32 v98, v12, 0, v24
	v_lshrrev_b64 v[12:13], v21, v[24:25]
	s_delay_alu instid0(VALU_DEP_2) | instskip(NEXT) | instid1(VALU_DEP_2)
	v_cmp_eq_u64_e64 s10, v[98:99], v[80:81]
	v_mov_b64_e32 v[80:81], v[12:13]
	s_and_saveexec_b32 s28, s10
; %bb.12742:                            ;   in Loop: Header=BB4_12210 Depth=2
	v_bfe_u32 v24, v12, 21, 1
	v_mov_b32_e32 v25, v15
	s_delay_alu instid0(VALU_DEP_1) | instskip(NEXT) | instid1(VALU_DEP_1)
	v_add_nc_u64_e32 v[24:25], v[12:13], v[24:25]
	v_add_nc_u64_e32 v[80:81], -1, v[24:25]
; %bb.12743:                            ;   in Loop: Header=BB4_12210 Depth=2
	s_or_b32 exec_lo, exec_lo, s28
	v_add_nc_u32_e32 v13, 0xffffff81, v20
	v_lshrrev_b32_e32 v14, 23, v12
	s_delay_alu instid0(VALU_DEP_3) | instskip(SKIP_1) | instid1(VALU_DEP_3)
	v_and_b32_e32 v20, 0x1fffff, v80
	s_mov_b32 s10, exec_lo
	v_cndmask_b32_e64 v13, v13, 0xffffff82, vcc_lo
	s_delay_alu instid0(VALU_DEP_1) | instskip(NEXT) | instid1(VALU_DEP_3)
	v_add3_u32 v21, v21, v13, v14
	v_add_nc_u32_e32 v14, v20, v12
                                        ; implicit-def: $vgpr12_vgpr13
                                        ; implicit-def: $vgpr20
	s_delay_alu instid0(VALU_DEP_2) | instskip(NEXT) | instid1(VALU_DEP_1)
	v_add_nc_u32_e32 v30, 14, v21
	v_cmpx_ne_u32_e32 0, v30
	s_xor_b32 s10, exec_lo, s10
; %bb.12744:                            ;   in Loop: Header=BB4_12210 Depth=2
	s_delay_alu instid0(VALU_DEP_3) | instskip(SKIP_1) | instid1(VALU_DEP_1)
	v_cmp_lt_u64_e32 vcc_lo, 0xffffff, v[14:15]
	v_add_nc_u32_e32 v12, 15, v21
	v_cndmask_b32_e32 v20, v30, v12, vcc_lo
	v_cndmask_b32_e64 v12, 0, 1, vcc_lo
	s_delay_alu instid0(VALU_DEP_1)
	v_lshrrev_b64 v[12:13], v12, v[14:15]
; %bb.12745:                            ;   in Loop: Header=BB4_12210 Depth=2
	s_and_not1_saveexec_b32 s10, s10
; %bb.12746:                            ;   in Loop: Header=BB4_12210 Depth=2
	v_mov_b64_e32 v[12:13], v[14:15]
	v_bfe_u32 v20, v14, 23, 1
; %bb.12747:                            ;   in Loop: Header=BB4_12210 Depth=2
	s_or_b32 exec_lo, exec_lo, s10
	s_delay_alu instid0(VALU_DEP_2) | instskip(NEXT) | instid1(VALU_DEP_2)
	v_lshrrev_b64 v[12:13], 21, v[12:13]
	v_cmp_gt_i32_e32 vcc_lo, 32, v20
	v_cmp_ne_u32_e64 s10, 0, v20
	s_delay_alu instid0(VALU_DEP_3) | instskip(NEXT) | instid1(VALU_DEP_1)
	v_dual_cndmask_b32 v13, 0, v13 :: v_dual_cndmask_b32 v12, 3, v12
	v_cmp_ne_u64_e32 vcc_lo, 0, v[12:13]
                                        ; implicit-def: $vgpr13
	s_or_b32 s10, s10, vcc_lo
	s_delay_alu instid0(SALU_CYCLE_1) | instskip(NEXT) | instid1(SALU_CYCLE_1)
	s_and_saveexec_b32 s28, s10
	s_xor_b32 s10, exec_lo, s28
; %bb.12748:                            ;   in Loop: Header=BB4_12210 Depth=2
	v_min_i32_e32 v13, 31, v20
	s_delay_alu instid0(VALU_DEP_1) | instskip(NEXT) | instid1(VALU_DEP_1)
	v_lshl_or_b32 v13, v13, 2, v83
                                        ; implicit-def: $vgpr83
	v_and_or_b32 v13, v12, 3, v13
; %bb.12749:                            ;   in Loop: Header=BB4_12210 Depth=2
	s_and_not1_saveexec_b32 s10, s10
; %bb.12750:                            ;   in Loop: Header=BB4_12210 Depth=2
	v_mov_b32_e32 v13, v83
; %bb.12751:                            ;   in Loop: Header=BB4_12210 Depth=2
	s_or_b32 exec_lo, exec_lo, s10
.LBB4_12752:                            ;   in Loop: Header=BB4_12210 Depth=2
	s_delay_alu instid0(SALU_CYCLE_1)
	s_or_b32 exec_lo, exec_lo, s27
                                        ; implicit-def: $vgpr83
.LBB4_12753:                            ;   in Loop: Header=BB4_12210 Depth=2
	s_and_not1_saveexec_b32 s10, s26
; %bb.12754:                            ;   in Loop: Header=BB4_12210 Depth=2
	v_or_b32_e32 v13, 0x7b, v83
; %bb.12755:                            ;   in Loop: Header=BB4_12210 Depth=2
	s_or_b32 exec_lo, exec_lo, s10
                                        ; implicit-def: $vgpr12
.LBB4_12756:                            ;   in Loop: Header=BB4_12210 Depth=2
	s_and_not1_saveexec_b32 s10, s11
	s_cbranch_execz .LBB4_12209
; %bb.12757:                            ;   in Loop: Header=BB4_12210 Depth=2
	s_mov_b32 s11, exec_lo
                                        ; implicit-def: $vgpr13
	v_cmpx_ne_u64_e32 0, v[14:15]
	s_xor_b32 s11, exec_lo, s11
; %bb.12758:                            ;   in Loop: Header=BB4_12210 Depth=2
	v_lshrrev_b32_e32 v12, 24, v12
	s_delay_alu instid0(VALU_DEP_1)
	v_or_b32_e32 v13, 0x7f, v12
                                        ; implicit-def: $vgpr12
; %bb.12759:                            ;   in Loop: Header=BB4_12210 Depth=2
	s_and_not1_saveexec_b32 s11, s11
	s_cbranch_execz .LBB4_12208
; %bb.12760:                            ;   in Loop: Header=BB4_12210 Depth=2
	v_cmp_lt_i32_e32 vcc_lo, -1, v12
	v_cndmask_b32_e64 v13, -4, 0x7c, vcc_lo
	s_branch .LBB4_12208
.LBB4_12761:                            ;   in Loop: Header=BB4_9707 Depth=1
	s_or_b32 exec_lo, exec_lo, s25
.LBB4_12762:                            ;   in Loop: Header=BB4_9707 Depth=1
	s_delay_alu instid0(SALU_CYCLE_1) | instskip(SKIP_1) | instid1(VALU_DEP_1)
	s_or_b32 exec_lo, exec_lo, s24
	v_and_b32_e32 v12, 0xfffffe00, v3
	v_cmp_ne_u32_e32 vcc_lo, v3, v12
	s_and_b32 exec_lo, exec_lo, vcc_lo
	s_cbranch_execz .LBB4_12808
; %bb.12763:                            ;   in Loop: Header=BB4_9707 Depth=1
	v_dual_lshlrev_b32 v2, 5, v67 :: v_dual_lshlrev_b32 v10, 5, v85
	s_delay_alu instid0(VALU_DEP_1) | instskip(NEXT) | instid1(VALU_DEP_1)
	v_sub_nc_u32_e32 v2, v84, v2
	v_sub_nc_u32_e32 v13, v2, v10
	v_and_b32_e32 v2, 0x1ff, v3
	s_delay_alu instid0(VALU_DEP_1) | instskip(NEXT) | instid1(VALU_DEP_1)
	v_sub_nc_u32_e32 v2, v2, v13
	v_cmp_lt_i32_e32 vcc_lo, 0, v2
	s_and_b32 exec_lo, exec_lo, vcc_lo
	s_cbranch_execz .LBB4_12808
; %bb.12764:                            ;   in Loop: Header=BB4_9707 Depth=1
	s_trap 2
	ds_load_b64 v[10:11], v0
	v_add3_u32 v12, v12, v0, v13
	s_mov_b32 s24, 0
	s_delay_alu instid0(VALU_DEP_1)
	v_ashrrev_i32_e32 v13, 31, v12
	s_branch .LBB4_12767
.LBB4_12765:                            ;   in Loop: Header=BB4_12767 Depth=2
	s_or_b32 exec_lo, exec_lo, s11
.LBB4_12766:                            ;   in Loop: Header=BB4_12767 Depth=2
	s_delay_alu instid0(SALU_CYCLE_1)
	s_or_b32 exec_lo, exec_lo, s10
	v_sub_nc_u32_e32 v2, v2, v50
	v_add_nc_u64_e32 v[12:13], v[12:13], v[50:51]
	flat_store_b8 v[68:69], v3 th:TH_STORE_NT
	v_cmp_gt_i32_e32 vcc_lo, 1, v2
	s_or_b32 s24, vcc_lo, s24
	s_wait_xcnt 0x0
	s_and_not1_b32 exec_lo, exec_lo, s24
	s_cbranch_execz .LBB4_12808
.LBB4_12767:                            ;   Parent Loop BB4_9707 Depth=1
                                        ; =>  This Inner Loop Header: Depth=2
	s_trap 2
	ds_load_b64 v[20:21], v0
	s_mov_b32 s25, 0
	s_wait_dscnt 0x0
	v_and_b32_e32 v0, 0xff, v20
	v_readfirstlane_b32 s10, v20
	v_readfirstlane_b32 s11, v21
	s_delay_alu instid0(VALU_DEP_3)
	v_cmp_eq_u32_e32 vcc_lo, 0, v0
	s_cbranch_vccnz .LBB4_12775
; %bb.12768:                            ;   in Loop: Header=BB4_12767 Depth=2
	s_bfe_i32 s27, s10, 0x80000
	s_delay_alu instid0(SALU_CYCLE_1) | instskip(NEXT) | instid1(SALU_CYCLE_1)
	s_and_b32 s25, 0xffff, s27
	s_cmp_eq_u32 s25, 0xff80
	s_brev_b32 s25, 1
	s_cbranch_scc1 .LBB4_12775
; %bb.12769:                            ;   in Loop: Header=BB4_12767 Depth=2
	s_and_b32 s25, s10, 0x7c
	s_and_b32 s26, s10, 3
	s_mov_b32 s28, -1
	s_cmp_lg_u32 s25, 0x7c
	s_sext_i32_i16 s27, s27
                                        ; implicit-def: $sgpr25
	s_cbranch_scc0 .LBB4_12773
; %bb.12770:                            ;   in Loop: Header=BB4_12767 Depth=2
	s_bfe_u32 s25, s10, 0x50002
	s_mov_b32 s28, s26
	s_cmp_lg_u32 s25, 0
	s_cbranch_scc1 .LBB4_12772
; %bb.12771:                            ;   in Loop: Header=BB4_12767 Depth=2
	s_clz_i32_u32 s25, s26
	s_delay_alu instid0(SALU_CYCLE_1) | instskip(NEXT) | instid1(SALU_CYCLE_1)
	s_min_u32 s25, s25, 32
	s_sub_co_i32 s28, s25, 29
	s_sub_co_i32 s25, 30, s25
	s_lshl_b64 s[10:11], s[10:11], s28
	s_delay_alu instid0(SALU_CYCLE_1)
	s_and_b32 s28, s10, 3
.LBB4_12772:                            ;   in Loop: Header=BB4_12767 Depth=2
	s_and_b32 s10, s27, 0x80000000
	s_lshl_b32 s11, s25, 23
	s_lshl_b32 s25, s28, 21
	s_add_co_i32 s11, s11, s10
	s_mov_b32 s28, 0
	s_or_b32 s10, s11, s25
	s_delay_alu instid0(SALU_CYCLE_1)
	s_add_co_i32 s25, s10, 0x38000000
.LBB4_12773:                            ;   in Loop: Header=BB4_12767 Depth=2
	s_and_b32 vcc_lo, exec_lo, s28
	s_cbranch_vccz .LBB4_12775
; %bb.12774:                            ;   in Loop: Header=BB4_12767 Depth=2
	s_cmp_gt_i32 s27, -1
	s_cselect_b32 s10, s20, 0xff800000
	s_cmp_eq_u32 s26, 0
	s_cselect_b32 s25, s10, 0x7f800001
.LBB4_12775:                            ;   in Loop: Header=BB4_12767 Depth=2
	v_add_nc_u64_e32 v[68:69], v[10:11], v[12:13]
	v_mov_b32_e32 v3, 0
	s_mov_b32 s10, exec_lo
	flat_load_i8 v70, v[68:69] th:TH_LOAD_NT
	s_wait_loadcnt_dscnt 0x0
	v_cmpx_ne_u16_e32 0, v70
	s_cbranch_execz .LBB4_12785
; %bb.12776:                            ;   in Loop: Header=BB4_12767 Depth=2
	v_bfrev_b32_e32 v3, 1
	s_mov_b32 s11, exec_lo
	v_cmpx_ne_u16_e32 0xff80, v70
	s_cbranch_execz .LBB4_12784
; %bb.12777:                            ;   in Loop: Header=BB4_12767 Depth=2
	v_and_b32_e32 v3, 0x7c, v70
	v_and_b32_e32 v0, 3, v70
	s_delay_alu instid0(VALU_DEP_2) | instskip(SKIP_1) | instid1(SALU_CYCLE_1)
	v_cmp_ne_u32_e32 vcc_lo, 0x7c, v3
                                        ; implicit-def: $vgpr3
	s_and_saveexec_b32 s26, vcc_lo
	s_xor_b32 s26, exec_lo, s26
	s_cbranch_execz .LBB4_12781
; %bb.12778:                            ;   in Loop: Header=BB4_12767 Depth=2
	v_and_b32_e32 v3, 0xff, v70
	s_mov_b32 s27, exec_lo
	s_delay_alu instid0(VALU_DEP_1) | instskip(NEXT) | instid1(VALU_DEP_1)
	v_bfe_u32 v3, v3, 2, 5
	v_cmpx_eq_u32_e32 0, v3
	s_cbranch_execz .LBB4_12780
; %bb.12779:                            ;   in Loop: Header=BB4_12767 Depth=2
	v_clz_i32_u32_e32 v0, v0
	s_delay_alu instid0(VALU_DEP_1) | instskip(SKIP_1) | instid1(VALU_DEP_2)
	v_min_u32_e32 v0, 32, v0
	v_mov_b32_e32 v71, v15
	v_subrev_nc_u32_e32 v3, 29, v0
	s_delay_alu instid0(VALU_DEP_1) | instskip(SKIP_1) | instid1(VALU_DEP_2)
	v_lshlrev_b64_e32 v[20:21], v3, v[70:71]
	v_sub_nc_u32_e32 v3, 30, v0
	v_and_b32_e32 v0, 3, v20
.LBB4_12780:                            ;   in Loop: Header=BB4_12767 Depth=2
	s_or_b32 exec_lo, exec_lo, s27
	v_bfe_i32 v14, v70, 0, 16
                                        ; implicit-def: $vgpr70
	s_delay_alu instid0(VALU_DEP_1) | instskip(NEXT) | instid1(VALU_DEP_1)
	v_and_b32_e32 v14, 0x80000000, v14
	v_lshl_add_u32 v3, v3, 23, v14
	s_delay_alu instid0(VALU_DEP_1) | instskip(NEXT) | instid1(VALU_DEP_1)
	v_lshl_or_b32 v0, v0, 21, v3
	v_add_nc_u32_e32 v3, 0x38000000, v0
                                        ; implicit-def: $vgpr0
.LBB4_12781:                            ;   in Loop: Header=BB4_12767 Depth=2
	s_and_not1_saveexec_b32 s26, s26
; %bb.12782:                            ;   in Loop: Header=BB4_12767 Depth=2
	v_cmp_lt_i16_e32 vcc_lo, -1, v70
	v_cndmask_b32_e32 v3, 0xff800000, v100, vcc_lo
	v_cmp_eq_u32_e32 vcc_lo, 0, v0
	s_delay_alu instid0(VALU_DEP_2)
	v_cndmask_b32_e32 v3, 0x7f800001, v3, vcc_lo
; %bb.12783:                            ;   in Loop: Header=BB4_12767 Depth=2
	s_or_b32 exec_lo, exec_lo, s26
.LBB4_12784:                            ;   in Loop: Header=BB4_12767 Depth=2
	s_delay_alu instid0(SALU_CYCLE_1)
	s_or_b32 exec_lo, exec_lo, s11
.LBB4_12785:                            ;   in Loop: Header=BB4_12767 Depth=2
	s_delay_alu instid0(SALU_CYCLE_1) | instskip(NEXT) | instid1(VALU_DEP_1)
	s_or_b32 exec_lo, exec_lo, s10
	v_dual_mul_f32 v30, s25, v3 :: v_dual_mov_b32 v21, v15
                                        ; implicit-def: $vgpr3
	s_mov_b32 s10, exec_lo
	s_delay_alu instid0(VALU_DEP_1) | instskip(SKIP_1) | instid1(VALU_DEP_2)
	v_and_b32_e32 v20, 0x7f800000, v30
	v_and_b32_e32 v14, 0x7fffff, v30
	v_cmpx_ne_u64_e32 0x7f800000, v[20:21]
	s_xor_b32 s11, exec_lo, s10
	s_cbranch_execz .LBB4_12803
; %bb.12786:                            ;   in Loop: Header=BB4_12767 Depth=2
	v_dual_mov_b32 v21, v15 :: v_dual_lshrrev_b32 v0, 24, v30
	v_and_b32_e32 v20, 0x7fffffff, v30
                                        ; implicit-def: $vgpr3
	s_mov_b32 s10, exec_lo
	s_delay_alu instid0(VALU_DEP_2) | instskip(NEXT) | instid1(VALU_DEP_2)
	v_and_b32_e32 v0, 0x80, v0
	v_cmpx_gt_u64_e32 0x47600001, v[20:21]
	s_xor_b32 s25, exec_lo, s10
	s_cbranch_execz .LBB4_12800
; %bb.12787:                            ;   in Loop: Header=BB4_12767 Depth=2
	v_mov_b32_e32 v3, 0
	s_mov_b32 s26, exec_lo
	v_cmpx_ne_u32_e32 0, v30
	s_cbranch_execz .LBB4_12799
; %bb.12788:                            ;   in Loop: Header=BB4_12767 Depth=2
	v_bfe_u32 v3, v30, 23, 8
	v_or_b32_e32 v30, 0x800000, v14
	s_delay_alu instid0(VALU_DEP_2) | instskip(SKIP_1) | instid1(VALU_DEP_2)
	v_dual_mov_b32 v71, v15 :: v_dual_sub_nc_u32 v20, 0x71, v3
	v_cmp_gt_u32_e32 vcc_lo, 0x72, v3
	v_cndmask_b32_e32 v20, 0, v20, vcc_lo
	v_cmp_eq_u32_e32 vcc_lo, 0, v3
	v_cndmask_b32_e32 v70, v30, v14, vcc_lo
	s_delay_alu instid0(VALU_DEP_3) | instskip(NEXT) | instid1(VALU_DEP_1)
	v_cndmask_b32_e64 v20, v20, 0x70, vcc_lo
	v_add_nc_u32_e32 v21, 21, v20
	s_delay_alu instid0(VALU_DEP_1) | instskip(SKIP_1) | instid1(VALU_DEP_1)
	v_lshlrev_b64_e64 v[24:25], v21, -1
	v_add_nc_u32_e32 v21, 20, v20
	v_lshlrev_b64_e64 v[80:81], v21, 1
	s_delay_alu instid0(VALU_DEP_3) | instskip(SKIP_2) | instid1(VALU_DEP_1)
	v_bfi_b32 v24, v24, 0, v70
	v_lshrrev_b64 v[70:71], v20, v[70:71]
	v_bfi_b32 v25, v25, 0, 0
	v_cmp_eq_u64_e64 s10, v[24:25], v[80:81]
	s_delay_alu instid0(VALU_DEP_3)
	v_mov_b64_e32 v[80:81], v[70:71]
	s_and_saveexec_b32 s27, s10
; %bb.12789:                            ;   in Loop: Header=BB4_12767 Depth=2
	v_bfe_u32 v24, v70, 21, 1
	v_mov_b32_e32 v25, v15
	s_delay_alu instid0(VALU_DEP_1) | instskip(NEXT) | instid1(VALU_DEP_1)
	v_add_nc_u64_e32 v[24:25], v[70:71], v[24:25]
	v_add_nc_u64_e32 v[80:81], -1, v[24:25]
; %bb.12790:                            ;   in Loop: Header=BB4_12767 Depth=2
	s_or_b32 exec_lo, exec_lo, s27
	v_add_nc_u32_e32 v3, 0xffffff81, v3
	v_lshrrev_b32_e32 v14, 23, v70
	s_delay_alu instid0(VALU_DEP_3) | instskip(SKIP_1) | instid1(VALU_DEP_3)
	v_and_b32_e32 v21, 0x1fffff, v80
	s_mov_b32 s10, exec_lo
	v_cndmask_b32_e64 v3, v3, 0xffffff82, vcc_lo
	s_delay_alu instid0(VALU_DEP_1) | instskip(NEXT) | instid1(VALU_DEP_3)
	v_add3_u32 v3, v20, v3, v14
	v_add_nc_u32_e32 v14, v21, v70
                                        ; implicit-def: $vgpr70_vgpr71
                                        ; implicit-def: $vgpr20
	s_delay_alu instid0(VALU_DEP_2) | instskip(NEXT) | instid1(VALU_DEP_1)
	v_add_nc_u32_e32 v21, 14, v3
	v_cmpx_ne_u32_e32 0, v21
	s_xor_b32 s10, exec_lo, s10
; %bb.12791:                            ;   in Loop: Header=BB4_12767 Depth=2
	s_delay_alu instid0(VALU_DEP_3) | instskip(SKIP_1) | instid1(VALU_DEP_1)
	v_cmp_lt_u64_e32 vcc_lo, 0xffffff, v[14:15]
	v_add_nc_u32_e32 v3, 15, v3
	v_cndmask_b32_e32 v20, v21, v3, vcc_lo
	v_cndmask_b32_e64 v3, 0, 1, vcc_lo
	s_delay_alu instid0(VALU_DEP_1)
	v_lshrrev_b64 v[70:71], v3, v[14:15]
; %bb.12792:                            ;   in Loop: Header=BB4_12767 Depth=2
	s_and_not1_saveexec_b32 s10, s10
; %bb.12793:                            ;   in Loop: Header=BB4_12767 Depth=2
	v_mov_b64_e32 v[70:71], v[14:15]
	v_bfe_u32 v20, v14, 23, 1
; %bb.12794:                            ;   in Loop: Header=BB4_12767 Depth=2
	s_or_b32 exec_lo, exec_lo, s10
	s_delay_alu instid0(VALU_DEP_2) | instskip(NEXT) | instid1(VALU_DEP_2)
	v_lshrrev_b64 v[24:25], 21, v[70:71]
	v_cmp_gt_i32_e32 vcc_lo, 32, v20
	v_cmp_ne_u32_e64 s10, 0, v20
                                        ; implicit-def: $vgpr3
	s_delay_alu instid0(VALU_DEP_3) | instskip(NEXT) | instid1(VALU_DEP_1)
	v_dual_cndmask_b32 v71, 0, v25 :: v_dual_cndmask_b32 v70, 3, v24
	v_cmp_ne_u64_e32 vcc_lo, 0, v[70:71]
	s_or_b32 s10, s10, vcc_lo
	s_delay_alu instid0(SALU_CYCLE_1) | instskip(NEXT) | instid1(SALU_CYCLE_1)
	s_and_saveexec_b32 s27, s10
	s_xor_b32 s10, exec_lo, s27
; %bb.12795:                            ;   in Loop: Header=BB4_12767 Depth=2
	v_min_i32_e32 v3, 31, v20
	s_delay_alu instid0(VALU_DEP_1) | instskip(NEXT) | instid1(VALU_DEP_1)
	v_lshl_or_b32 v0, v3, 2, v0
	v_and_or_b32 v3, v70, 3, v0
                                        ; implicit-def: $vgpr0
; %bb.12796:                            ;   in Loop: Header=BB4_12767 Depth=2
	s_and_not1_saveexec_b32 s10, s10
; %bb.12797:                            ;   in Loop: Header=BB4_12767 Depth=2
	v_mov_b32_e32 v3, v0
; %bb.12798:                            ;   in Loop: Header=BB4_12767 Depth=2
	s_or_b32 exec_lo, exec_lo, s10
.LBB4_12799:                            ;   in Loop: Header=BB4_12767 Depth=2
	s_delay_alu instid0(SALU_CYCLE_1)
	s_or_b32 exec_lo, exec_lo, s26
                                        ; implicit-def: $vgpr0
.LBB4_12800:                            ;   in Loop: Header=BB4_12767 Depth=2
	s_and_not1_saveexec_b32 s10, s25
; %bb.12801:                            ;   in Loop: Header=BB4_12767 Depth=2
	v_or_b32_e32 v3, 0x7b, v0
; %bb.12802:                            ;   in Loop: Header=BB4_12767 Depth=2
	s_or_b32 exec_lo, exec_lo, s10
                                        ; implicit-def: $vgpr30
.LBB4_12803:                            ;   in Loop: Header=BB4_12767 Depth=2
	s_and_not1_saveexec_b32 s10, s11
	s_cbranch_execz .LBB4_12766
; %bb.12804:                            ;   in Loop: Header=BB4_12767 Depth=2
	s_mov_b32 s11, exec_lo
                                        ; implicit-def: $vgpr3
	v_cmpx_ne_u64_e32 0, v[14:15]
	s_xor_b32 s11, exec_lo, s11
; %bb.12805:                            ;   in Loop: Header=BB4_12767 Depth=2
	v_lshrrev_b32_e32 v0, 24, v30
                                        ; implicit-def: $vgpr30
	s_delay_alu instid0(VALU_DEP_1)
	v_or_b32_e32 v3, 0x7f, v0
; %bb.12806:                            ;   in Loop: Header=BB4_12767 Depth=2
	s_and_not1_saveexec_b32 s11, s11
	s_cbranch_execz .LBB4_12765
; %bb.12807:                            ;   in Loop: Header=BB4_12767 Depth=2
	v_cmp_lt_i32_e32 vcc_lo, -1, v30
	v_cndmask_b32_e64 v3, -4, 0x7c, vcc_lo
	s_branch .LBB4_12765
.LBB4_12808:                            ;   in Loop: Header=BB4_9707 Depth=1
	s_or_b32 exec_lo, exec_lo, s23
	v_cmp_ne_u32_e64 s10, 0, v65
	s_and_saveexec_b32 s11, s2
	s_cbranch_execz .LBB4_12827
.LBB4_12809:                            ;   in Loop: Header=BB4_9707 Depth=1
	s_and_saveexec_b32 s23, s3
	s_delay_alu instid0(SALU_CYCLE_1)
	s_xor_b32 s23, exec_lo, s23
	s_cbranch_execz .LBB4_12824
; %bb.12810:                            ;   in Loop: Header=BB4_9707 Depth=1
	s_and_saveexec_b32 s24, s4
	s_cbranch_execz .LBB4_12823
; %bb.12811:                            ;   in Loop: Header=BB4_9707 Depth=1
	s_mov_b32 s26, exec_lo
	s_mov_b32 s25, exec_lo
	v_mbcnt_lo_u32_b32 v0, s26, 0
	global_wb scope:SCOPE_DEV
	s_wait_storecnt 0x0
	s_wait_loadcnt_dscnt 0x0
	global_inv scope:SCOPE_DEV
	v_cmpx_eq_u32_e32 0, v0
	s_cbranch_execz .LBB4_12813
; %bb.12812:                            ;   in Loop: Header=BB4_9707 Depth=1
	s_bcnt1_i32_b32 s26, s26
	s_delay_alu instid0(SALU_CYCLE_1)
	v_dual_mov_b32 v3, v15 :: v_dual_mov_b32 v2, s26
	s_wait_loadcnt 0x0
	ds_add_u64 v0, v[2:3]
	s_trap 2
.LBB4_12813:                            ;   in Loop: Header=BB4_9707 Depth=1
	s_or_b32 exec_lo, exec_lo, s25
	s_trap 2
	ds_load_b64 v[2:3], v0
	s_wait_dscnt 0x0
	v_add_nc_u64_e32 v[28:29], v[28:29], v[16:17]
	s_mov_b32 s25, exec_lo
	s_delay_alu instid0(VALU_DEP_1)
	v_cmpx_lt_u64_e64 v[2:3], v[28:29]
	s_cbranch_execz .LBB4_12822
; %bb.12814:                            ;   in Loop: Header=BB4_9707 Depth=1
	s_mov_b32 s26, 0
	s_mov_b32 s29, 0
                                        ; implicit-def: $sgpr27
                                        ; implicit-def: $sgpr28
	s_branch .LBB4_12816
.LBB4_12815:                            ;   in Loop: Header=BB4_12816 Depth=2
	s_or_b32 exec_lo, exec_lo, s41
	s_delay_alu instid0(SALU_CYCLE_1) | instskip(NEXT) | instid1(SALU_CYCLE_1)
	s_and_b32 s40, exec_lo, s42
	s_or_b32 s26, s40, s26
	s_and_not1_b32 s27, s27, exec_lo
	s_and_b32 s40, s28, exec_lo
	s_delay_alu instid0(SALU_CYCLE_1)
	s_or_b32 s27, s27, s40
	s_and_not1_b32 exec_lo, exec_lo, s26
	s_cbranch_execz .LBB4_12820
.LBB4_12816:                            ;   Parent Loop BB4_9707 Depth=1
                                        ; =>  This Inner Loop Header: Depth=2
	s_add_co_i32 s29, s29, 1
	s_delay_alu instid0(SALU_CYCLE_1) | instskip(SKIP_1) | instid1(SALU_CYCLE_1)
	s_cmp_lg_u32 s29, 0x2710
	s_cselect_b32 s40, -1, 0
	s_and_b32 vcc_lo, exec_lo, s40
	s_cbranch_vccz .LBB4_12818
; %bb.12817:                            ;   in Loop: Header=BB4_12816 Depth=2
	s_mov_b32 s42, -1
	s_or_b32 s28, s28, exec_lo
	s_and_saveexec_b32 s41, s40
	s_cbranch_execz .LBB4_12815
	s_branch .LBB4_12819
.LBB4_12818:                            ;   in Loop: Header=BB4_12816 Depth=2
	s_trap 2
	ds_load_b64 v[2:3], v0
	s_and_not1_b32 s40, s40, exec_lo
	s_mov_b32 s29, 0
	s_wait_loadcnt_dscnt 0x0
	flat_load_b32 v0, v[2:3] scope:SCOPE_SYS
	s_wait_loadcnt_dscnt 0x0
	global_inv scope:SCOPE_SYS
	v_cmp_eq_u32_e32 vcc_lo, 0, v0
	s_and_b32 s41, vcc_lo, exec_lo
	s_delay_alu instid0(SALU_CYCLE_1)
	s_or_b32 s40, s40, s41
	s_mov_b32 s42, -1
	s_or_b32 s28, s28, exec_lo
	s_and_saveexec_b32 s41, s40
	s_cbranch_execz .LBB4_12815
.LBB4_12819:                            ;   in Loop: Header=BB4_12816 Depth=2
	s_sleep 1
	s_trap 2
	ds_load_b64 v[2:3], v0
	s_wait_dscnt 0x0
	s_and_not1_b32 s28, s28, exec_lo
	v_cmp_ge_u64_e32 vcc_lo, v[2:3], v[28:29]
	s_or_not1_b32 s42, vcc_lo, exec_lo
	s_branch .LBB4_12815
.LBB4_12820:                            ;   in Loop: Header=BB4_9707 Depth=1
	s_or_b32 exec_lo, exec_lo, s26
	s_and_saveexec_b32 s26, s27
	s_delay_alu instid0(SALU_CYCLE_1)
	s_xor_b32 s26, exec_lo, s26
	s_cbranch_execz .LBB4_12822
; %bb.12821:                            ;   in Loop: Header=BB4_9707 Depth=1
	ds_store_b32 v0, v31
	s_trap 2
.LBB4_12822:                            ;   in Loop: Header=BB4_9707 Depth=1
	s_or_b32 exec_lo, exec_lo, s25
	;;#ASMSTART
	s_wakeup
	;;#ASMEND
.LBB4_12823:                            ;   in Loop: Header=BB4_9707 Depth=1
	s_or_b32 exec_lo, exec_lo, s24
.LBB4_12824:                            ;   in Loop: Header=BB4_9707 Depth=1
	s_and_not1_saveexec_b32 s23, s23
	s_cbranch_execz .LBB4_12826
; %bb.12825:                            ;   in Loop: Header=BB4_9707 Depth=1
	global_wb scope:SCOPE_DEV
	s_wait_storecnt 0x0
	s_wait_loadcnt_dscnt 0x0
	global_inv scope:SCOPE_DEV
	s_barrier_signal -1
	s_barrier_wait -1
.LBB4_12826:                            ;   in Loop: Header=BB4_9707 Depth=1
	s_or_b32 exec_lo, exec_lo, s23
.LBB4_12827:                            ;   in Loop: Header=BB4_9707 Depth=1
	s_delay_alu instid0(SALU_CYCLE_1) | instskip(SKIP_1) | instid1(VALU_DEP_1)
	s_or_b32 exec_lo, exec_lo, s11
	v_and_b32_e32 v0, 16, v120
	v_cmp_ne_u32_e32 vcc_lo, 0, v0
	s_and_b32 s11, vcc_lo, s10
	s_delay_alu instid0(SALU_CYCLE_1)
	s_and_saveexec_b32 s10, s11
	s_cbranch_execz .LBB4_12829
; %bb.12828:                            ;   in Loop: Header=BB4_9707 Depth=1
	global_wb scope:SCOPE_SYS
	s_wait_storecnt 0x0
	s_wait_loadcnt_dscnt 0x0
	global_inv scope:SCOPE_SYS
.LBB4_12829:                            ;   in Loop: Header=BB4_9707 Depth=1
	s_or_b32 exec_lo, exec_lo, s10
	s_delay_alu instid0(SALU_CYCLE_1)
	s_mov_b32 s10, exec_lo
	v_cmpx_ne_u32_e32 0, v0
	s_cbranch_execz .LBB4_12833
; %bb.12830:                            ;   in Loop: Header=BB4_9707 Depth=1
	s_and_saveexec_b32 s11, s7
	s_cbranch_execz .LBB4_12832
; %bb.12831:                            ;   in Loop: Header=BB4_9707 Depth=1
	global_wb scope:SCOPE_SYS
	s_wait_storecnt 0x0
	s_wait_loadcnt_dscnt 0x0
	flat_store_b32 v[36:37], v31 scope:SCOPE_SYS
.LBB4_12832:                            ;   in Loop: Header=BB4_9707 Depth=1
	s_wait_xcnt 0x0
	s_or_b32 exec_lo, exec_lo, s11
	v_add_nc_u64_e32 v[8:9], 1, v[8:9]
	global_wb scope:SCOPE_SYS
	s_wait_storecnt 0x0
	s_wait_loadcnt_dscnt 0x0
	flat_store_b64 v[22:23], v[8:9] scope:SCOPE_SYS
.LBB4_12833:                            ;   in Loop: Header=BB4_9707 Depth=1
	s_wait_xcnt 0x0
	s_or_b32 exec_lo, exec_lo, s10
	v_mov_b32_e32 v0, v66
.LBB4_12834:                            ;   in Loop: Header=BB4_9707 Depth=1
	s_or_b32 exec_lo, exec_lo, s22
	s_and_saveexec_b32 s11, s21
	s_cbranch_execz .LBB4_9706
; %bb.12835:                            ;   in Loop: Header=BB4_9707 Depth=1
	s_delay_alu instid0(VALU_DEP_1) | instskip(SKIP_2) | instid1(VALU_DEP_2)
	v_sub_nc_u32_e32 v0, v64, v0
	v_and_b32_e32 v2, 8, v120
	s_mov_b32 s21, exec_lo
	v_min_i32_e32 v10, v66, v0
	s_delay_alu instid0(VALU_DEP_2)
	v_cmpx_ne_u32_e32 0, v2
	s_cbranch_execz .LBB4_12857
; %bb.12836:                            ;   in Loop: Header=BB4_9707 Depth=1
	s_wait_loadcnt 0x0
	v_add_nc_u64_e32 v[2:3], 8, v[32:33]
	v_add_nc_u64_e32 v[12:13], 1, v[8:9]
	s_mov_b32 s22, exec_lo
	s_delay_alu instid0(VALU_DEP_1)
	v_cmpx_lt_u64_e64 v[2:3], v[12:13]
	s_cbranch_execz .LBB4_12848
; %bb.12837:                            ;   in Loop: Header=BB4_9707 Depth=1
	v_and_b32_e32 v0, 64, v120
	s_mov_b32 s23, 0
	s_mov_b32 s27, 0
                                        ; implicit-def: $sgpr24
                                        ; implicit-def: $sgpr25
                                        ; implicit-def: $sgpr26
	s_delay_alu instid0(VALU_DEP_1)
	v_cmp_eq_u32_e32 vcc_lo, 0, v0
	s_branch .LBB4_12840
.LBB4_12838:                            ;   in Loop: Header=BB4_12840 Depth=2
	s_or_b32 exec_lo, exec_lo, s42
	s_delay_alu instid0(SALU_CYCLE_1)
	s_and_not1_b32 s10, s26, exec_lo
	s_and_b32 s26, s40, exec_lo
	s_and_not1_b32 s25, s25, exec_lo
	s_and_b32 s29, s29, exec_lo
	s_or_b32 s26, s10, s26
	s_or_b32 s25, s25, s29
.LBB4_12839:                            ;   in Loop: Header=BB4_12840 Depth=2
	s_or_b32 exec_lo, exec_lo, s28
	s_delay_alu instid0(SALU_CYCLE_1) | instskip(NEXT) | instid1(SALU_CYCLE_1)
	s_and_b32 s10, exec_lo, s25
	s_or_b32 s23, s10, s23
	s_and_not1_b32 s10, s24, exec_lo
	s_and_b32 s24, s26, exec_lo
	s_delay_alu instid0(SALU_CYCLE_1)
	s_or_b32 s24, s10, s24
	s_and_not1_b32 exec_lo, exec_lo, s23
	s_cbranch_execz .LBB4_12845
.LBB4_12840:                            ;   Parent Loop BB4_9707 Depth=1
                                        ; =>  This Inner Loop Header: Depth=2
	s_sleep 1
	s_wait_loadcnt_dscnt 0x0
	flat_load_b64 v[32:33], v[22:23] scope:SCOPE_SYS
	s_or_b32 s26, s26, exec_lo
	s_or_b32 s25, s25, exec_lo
                                        ; implicit-def: $vgpr0
	s_wait_xcnt 0x0
	s_and_saveexec_b32 s28, vcc_lo
	s_cbranch_execz .LBB4_12839
; %bb.12841:                            ;   in Loop: Header=BB4_12840 Depth=2
	s_cmp_lt_i32 s27, 0x270f
	s_mov_b32 s29, -1
	s_cselect_b32 s41, -1, 0
	s_cmp_gt_i32 s27, 0x270e
	s_cbranch_scc0 .LBB4_12843
; %bb.12842:                            ;   in Loop: Header=BB4_12840 Depth=2
	s_trap 2
	ds_load_b64 v[2:3], v0
	s_and_not1_b32 s27, s41, exec_lo
	s_mov_b32 s40, 0
	s_wait_storecnt 0x0
	s_wait_loadcnt_dscnt 0x0
	flat_load_b32 v0, v[2:3] scope:SCOPE_SYS
	s_wait_loadcnt_dscnt 0x0
	global_inv scope:SCOPE_SYS
	v_cmp_eq_u32_e64 s10, 0, v0
	s_and_b32 s10, s10, exec_lo
	s_delay_alu instid0(SALU_CYCLE_1)
	s_or_b32 s41, s27, s10
	s_mov_b32 s27, 0
	s_and_saveexec_b32 s42, s41
	s_cbranch_execz .LBB4_12838
	s_branch .LBB4_12844
.LBB4_12843:                            ;   in Loop: Header=BB4_12840 Depth=2
	s_add_co_i32 s27, s27, 1
	s_mov_b32 s40, -1
                                        ; implicit-def: $vgpr0
	s_and_saveexec_b32 s42, s41
	s_cbranch_execz .LBB4_12838
.LBB4_12844:                            ;   in Loop: Header=BB4_12840 Depth=2
	s_wait_loadcnt_dscnt 0x0
	v_add_nc_u64_e32 v[2:3], 8, v[32:33]
	s_or_b32 s40, s40, exec_lo
	s_delay_alu instid0(VALU_DEP_1)
	v_cmp_ge_u64_e64 s10, v[2:3], v[12:13]
	s_or_not1_b32 s29, s10, exec_lo
	s_branch .LBB4_12838
.LBB4_12845:                            ;   in Loop: Header=BB4_9707 Depth=1
	s_or_b32 exec_lo, exec_lo, s23
	s_xor_b32 s10, s24, -1
	s_delay_alu instid0(SALU_CYCLE_1) | instskip(NEXT) | instid1(SALU_CYCLE_1)
	s_and_saveexec_b32 s23, s10
	s_xor_b32 s10, exec_lo, s23
	s_cbranch_execz .LBB4_12847
; %bb.12846:                            ;   in Loop: Header=BB4_9707 Depth=1
	v_or_b32_e32 v120, 64, v120
	s_wait_storecnt 0x0
	s_wait_loadcnt_dscnt 0x0
	ds_store_b32 v0, v0
	s_trap 2
.LBB4_12847:                            ;   in Loop: Header=BB4_9707 Depth=1
	s_or_b32 exec_lo, exec_lo, s10
.LBB4_12848:                            ;   in Loop: Header=BB4_9707 Depth=1
	s_delay_alu instid0(SALU_CYCLE_1)
	s_or_b32 exec_lo, exec_lo, s22
	v_and_b32_e32 v0, 0x100, v120
	v_dual_mov_b32 v9, v15 :: v_dual_bitop2_b32 v8, 7, v8 bitop3:0x40
	s_mov_b32 s10, -1
	s_mov_b32 s22, exec_lo
	;;#ASMSTART
	s_wakeup
	;;#ASMEND
                                        ; implicit-def: $vgpr64_vgpr65
	v_cmpx_ne_u32_e32 0, v0
	s_cbranch_execz .LBB4_12852
; %bb.12849:                            ;   in Loop: Header=BB4_9707 Depth=1
	v_mad_nc_u64_u32 v[66:67], v8, 24, v[6:7]
	v_ashrrev_i32_e32 v11, 31, v10
	s_mov_b32 s23, exec_lo
                                        ; implicit-def: $vgpr64_vgpr65
	s_clause 0x1
	flat_load_b32 v0, v[66:67]
	flat_store_b64 v[66:67], v[10:11] offset:8
	s_wait_loadcnt_dscnt 0x1
	v_cmp_ne_u32_e32 vcc_lo, 1, v0
	s_wait_xcnt 0x0
	v_cmpx_eq_u32_e32 1, v0
	s_cbranch_execz .LBB4_12851
; %bb.12850:                            ;   in Loop: Header=BB4_9707 Depth=1
	flat_load_b32 v64, v[66:67] offset:4 scope:SCOPE_SYS
	s_wait_loadcnt_dscnt 0x0
	v_ashrrev_i32_e32 v65, 31, v64
.LBB4_12851:                            ;   in Loop: Header=BB4_9707 Depth=1
	s_wait_xcnt 0x0
	s_or_b32 exec_lo, exec_lo, s23
	s_delay_alu instid0(SALU_CYCLE_1)
	s_or_not1_b32 s10, vcc_lo, exec_lo
.LBB4_12852:                            ;   in Loop: Header=BB4_9707 Depth=1
	s_or_b32 exec_lo, exec_lo, s22
	s_and_saveexec_b32 s22, s10
	s_cbranch_execz .LBB4_12854
; %bb.12853:                            ;   in Loop: Header=BB4_9707 Depth=1
	scratch_load_b64 v[2:3], off, s33 offset:188 ; 8-byte Folded Reload
	s_wait_loadcnt 0x0
	v_mul_u64_e32 v[64:65], v[8:9], v[2:3]
.LBB4_12854:                            ;   in Loop: Header=BB4_9707 Depth=1
	s_wait_xcnt 0x0
	s_or_b32 exec_lo, exec_lo, s22
	s_delay_alu instid0(VALU_DEP_1)
	v_add_nc_u64_e32 v[2:3], v[26:27], v[64:65]
	v_and_b32_e32 v0, 0x2000, v120
	s_mov_b32 s10, exec_lo
	ds_store_b64 v0, v[2:3] offset:784
	v_cmpx_ne_u32_e32 0, v0
	s_cbranch_execz .LBB4_12856
; %bb.12855:                            ;   in Loop: Header=BB4_9707 Depth=1
	ds_load_b64 v[2:3], v0 offset:872
	s_wait_dscnt 0x0
	v_add_nc_u64_e32 v[2:3], 1, v[2:3]
	ds_store_b64 v0, v[2:3] offset:872
.LBB4_12856:                            ;   in Loop: Header=BB4_9707 Depth=1
	s_or_b32 exec_lo, exec_lo, s10
	v_mov_b64_e32 v[8:9], v[12:13]
.LBB4_12857:                            ;   in Loop: Header=BB4_9707 Depth=1
	s_or_b32 exec_lo, exec_lo, s21
	s_and_saveexec_b32 s10, s2
	s_cbranch_execz .LBB4_12876
; %bb.12858:                            ;   in Loop: Header=BB4_9707 Depth=1
	s_and_saveexec_b32 s21, s3
	s_delay_alu instid0(SALU_CYCLE_1)
	s_xor_b32 s21, exec_lo, s21
	s_cbranch_execz .LBB4_12873
; %bb.12859:                            ;   in Loop: Header=BB4_9707 Depth=1
	s_and_saveexec_b32 s22, s4
	s_cbranch_execz .LBB4_12872
; %bb.12860:                            ;   in Loop: Header=BB4_9707 Depth=1
	s_mov_b32 s24, exec_lo
	s_mov_b32 s23, exec_lo
	v_mbcnt_lo_u32_b32 v0, s24, 0
	global_wb scope:SCOPE_DEV
	s_wait_storecnt 0x0
	s_wait_loadcnt_dscnt 0x0
	global_inv scope:SCOPE_DEV
	v_cmpx_eq_u32_e32 0, v0
	s_cbranch_execz .LBB4_12862
; %bb.12861:                            ;   in Loop: Header=BB4_9707 Depth=1
	s_bcnt1_i32_b32 s24, s24
	s_delay_alu instid0(SALU_CYCLE_1)
	v_dual_mov_b32 v3, v15 :: v_dual_mov_b32 v2, s24
	s_wait_loadcnt 0x0
	ds_add_u64 v0, v[2:3]
	s_trap 2
.LBB4_12862:                            ;   in Loop: Header=BB4_9707 Depth=1
	s_or_b32 exec_lo, exec_lo, s23
	s_trap 2
	ds_load_b64 v[2:3], v0
	s_wait_dscnt 0x0
	v_add_nc_u64_e32 v[28:29], v[28:29], v[16:17]
	s_mov_b32 s23, exec_lo
	s_delay_alu instid0(VALU_DEP_1)
	v_cmpx_lt_u64_e64 v[2:3], v[28:29]
	s_cbranch_execz .LBB4_12871
; %bb.12863:                            ;   in Loop: Header=BB4_9707 Depth=1
	s_mov_b32 s24, 0
	s_mov_b32 s27, 0
                                        ; implicit-def: $sgpr25
                                        ; implicit-def: $sgpr26
	s_branch .LBB4_12865
.LBB4_12864:                            ;   in Loop: Header=BB4_12865 Depth=2
	s_or_b32 exec_lo, exec_lo, s29
	s_delay_alu instid0(SALU_CYCLE_1) | instskip(NEXT) | instid1(SALU_CYCLE_1)
	s_and_b32 s28, exec_lo, s40
	s_or_b32 s24, s28, s24
	s_and_not1_b32 s25, s25, exec_lo
	s_and_b32 s28, s26, exec_lo
	s_delay_alu instid0(SALU_CYCLE_1)
	s_or_b32 s25, s25, s28
	s_and_not1_b32 exec_lo, exec_lo, s24
	s_cbranch_execz .LBB4_12869
.LBB4_12865:                            ;   Parent Loop BB4_9707 Depth=1
                                        ; =>  This Inner Loop Header: Depth=2
	s_add_co_i32 s27, s27, 1
	s_delay_alu instid0(SALU_CYCLE_1) | instskip(SKIP_1) | instid1(SALU_CYCLE_1)
	s_cmp_lg_u32 s27, 0x2710
	s_cselect_b32 s28, -1, 0
	s_and_b32 vcc_lo, exec_lo, s28
	s_cbranch_vccz .LBB4_12867
; %bb.12866:                            ;   in Loop: Header=BB4_12865 Depth=2
	s_mov_b32 s40, -1
	s_or_b32 s26, s26, exec_lo
	s_and_saveexec_b32 s29, s28
	s_cbranch_execz .LBB4_12864
	s_branch .LBB4_12868
.LBB4_12867:                            ;   in Loop: Header=BB4_12865 Depth=2
	s_trap 2
	ds_load_b64 v[2:3], v0
	s_and_not1_b32 s28, s28, exec_lo
	s_mov_b32 s27, 0
	s_wait_loadcnt_dscnt 0x0
	flat_load_b32 v0, v[2:3] scope:SCOPE_SYS
	s_wait_loadcnt_dscnt 0x0
	global_inv scope:SCOPE_SYS
	v_cmp_eq_u32_e32 vcc_lo, 0, v0
	s_and_b32 s29, vcc_lo, exec_lo
	s_delay_alu instid0(SALU_CYCLE_1)
	s_or_b32 s28, s28, s29
	s_mov_b32 s40, -1
	s_or_b32 s26, s26, exec_lo
	s_and_saveexec_b32 s29, s28
	s_cbranch_execz .LBB4_12864
.LBB4_12868:                            ;   in Loop: Header=BB4_12865 Depth=2
	s_sleep 1
	s_trap 2
	ds_load_b64 v[2:3], v0
	s_wait_dscnt 0x0
	s_and_not1_b32 s26, s26, exec_lo
	v_cmp_ge_u64_e32 vcc_lo, v[2:3], v[28:29]
	s_or_not1_b32 s40, vcc_lo, exec_lo
	s_branch .LBB4_12864
.LBB4_12869:                            ;   in Loop: Header=BB4_9707 Depth=1
	s_or_b32 exec_lo, exec_lo, s24
	s_and_saveexec_b32 s24, s25
	s_delay_alu instid0(SALU_CYCLE_1)
	s_xor_b32 s24, exec_lo, s24
	s_cbranch_execz .LBB4_12871
; %bb.12870:                            ;   in Loop: Header=BB4_9707 Depth=1
	ds_store_b32 v0, v31
	s_trap 2
.LBB4_12871:                            ;   in Loop: Header=BB4_9707 Depth=1
	s_or_b32 exec_lo, exec_lo, s23
	;;#ASMSTART
	s_wakeup
	;;#ASMEND
.LBB4_12872:                            ;   in Loop: Header=BB4_9707 Depth=1
	s_or_b32 exec_lo, exec_lo, s22
.LBB4_12873:                            ;   in Loop: Header=BB4_9707 Depth=1
	s_and_not1_saveexec_b32 s21, s21
	s_cbranch_execz .LBB4_12875
; %bb.12874:                            ;   in Loop: Header=BB4_9707 Depth=1
	global_wb scope:SCOPE_DEV
	s_wait_storecnt 0x0
	s_wait_loadcnt_dscnt 0x0
	global_inv scope:SCOPE_DEV
	s_barrier_signal -1
	s_barrier_wait -1
.LBB4_12875:                            ;   in Loop: Header=BB4_9707 Depth=1
	s_or_b32 exec_lo, exec_lo, s21
.LBB4_12876:                            ;   in Loop: Header=BB4_9707 Depth=1
	s_delay_alu instid0(SALU_CYCLE_1)
	s_or_b32 exec_lo, exec_lo, s10
	s_trap 2
	ds_load_b32 v0, v0
	v_cmp_lt_i32_e32 vcc_lo, 0, v10
	s_wait_dscnt 0x0
	v_readfirstlane_b32 s10, v0
	v_and_b32_e32 v0, 16, v120
	s_cmp_eq_u32 s10, 0
	s_delay_alu instid0(VALU_DEP_1) | instskip(SKIP_1) | instid1(SALU_CYCLE_1)
	v_cmp_ne_u32_e64 s10, 0, v0
	s_cselect_b32 s21, -1, 0
	s_and_b32 s21, vcc_lo, s21
	s_delay_alu instid0(SALU_CYCLE_1) | instskip(NEXT) | instid1(SALU_CYCLE_1)
	s_and_b32 s21, s10, s21
	s_and_saveexec_b32 s10, s21
	s_cbranch_execz .LBB4_12878
; %bb.12877:                            ;   in Loop: Header=BB4_9707 Depth=1
	global_wb scope:SCOPE_SYS
	s_wait_loadcnt 0x0
	s_wait_storecnt 0x0
	global_inv scope:SCOPE_SYS
.LBB4_12878:                            ;   in Loop: Header=BB4_9707 Depth=1
	s_or_b32 exec_lo, exec_lo, s10
	s_delay_alu instid0(SALU_CYCLE_1)
	s_mov_b32 s10, exec_lo
	v_cmpx_ne_u32_e32 0, v0
	s_cbranch_execz .LBB4_9705
; %bb.12879:                            ;   in Loop: Header=BB4_9707 Depth=1
	s_and_saveexec_b32 s21, s7
	s_cbranch_execz .LBB4_9704
; %bb.12880:                            ;   in Loop: Header=BB4_9707 Depth=1
	global_wb scope:SCOPE_SYS
	s_wait_loadcnt 0x0
	s_wait_storecnt 0x0
	flat_store_b32 v[36:37], v31 scope:SCOPE_SYS
	s_branch .LBB4_9704
.LBB4_12881:
	s_or_b32 exec_lo, exec_lo, s18
	s_clause 0x2
	scratch_load_b32 v31, off, s33 offset:204
	scratch_load_b64 v[38:39], off, s33 offset:196
	scratch_load_b32 v10, off, s33 offset:208
.LBB4_12882:
	s_wait_xcnt 0x0
	s_or_b32 exec_lo, exec_lo, s17
.LBB4_12883:
	s_delay_alu instid0(SALU_CYCLE_1) | instskip(SKIP_2) | instid1(VALU_DEP_1)
	s_or_b32 exec_lo, exec_lo, s16
	v_and_b32_e32 v0, 0x800, v120
	s_mov_b32 s1, exec_lo
	v_cmpx_eq_u32_e32 0, v0
	s_cbranch_execz .LBB4_12916
; %bb.12884:
	v_and_b32_e32 v0, 48, v120
	s_mov_b32 s0, exec_lo
	s_delay_alu instid0(VALU_DEP_1)
	v_cmpx_ne_u32_e32 0, v0
	s_cbranch_execz .LBB4_12886
; %bb.12885:
	s_wait_loadcnt 0x0
	flat_store_b64 v[38:39], v[8:9] offset:104
.LBB4_12886:
	s_wait_xcnt 0x0
	s_or_b32 exec_lo, exec_lo, s0
	v_and_b32_e32 v0, 0x88, v120
	s_mov_b32 s2, exec_lo
	s_delay_alu instid0(VALU_DEP_1)
	v_cmpx_eq_u32_e32 0x88, v0
	s_cbranch_execz .LBB4_12896
; %bb.12887:
	v_add_nc_u32_e32 v0, -1, v8
	s_mov_b32 s3, 0
	s_delay_alu instid0(VALU_DEP_1) | instskip(NEXT) | instid1(VALU_DEP_1)
	v_and_b32_e32 v0, 7, v0
	v_mad_nc_u64_u32 v[4:5], v0, 24, v[6:7]
	v_and_b32_e32 v0, 64, v120
	s_delay_alu instid0(VALU_DEP_1)
	v_cmp_eq_u32_e64 s0, 0, v0
	flat_load_b64 v[2:3], v[4:5] offset:8 scope:SCOPE_SYS
	s_wait_loadcnt_dscnt 0x0
	v_cmp_ne_u64_e32 vcc_lo, -1, v[2:3]
	s_and_b32 s0, vcc_lo, s0
	s_wait_xcnt 0x0
	s_and_b32 exec_lo, exec_lo, s0
	s_cbranch_execz .LBB4_12896
; %bb.12888:
	s_mov_b32 s5, 0
                                        ; implicit-def: $sgpr0
                                        ; implicit-def: $sgpr4
	s_branch .LBB4_12890
.LBB4_12889:                            ;   in Loop: Header=BB4_12890 Depth=1
	s_wait_xcnt 0x0
	s_or_b32 exec_lo, exec_lo, s10
	s_delay_alu instid0(SALU_CYCLE_1) | instskip(NEXT) | instid1(SALU_CYCLE_1)
	s_and_b32 s6, exec_lo, s7
	s_or_b32 s3, s6, s3
	s_and_not1_b32 s0, s0, exec_lo
	s_and_b32 s6, s4, exec_lo
	s_delay_alu instid0(SALU_CYCLE_1)
	s_or_b32 s0, s0, s6
	s_and_not1_b32 exec_lo, exec_lo, s3
	s_cbranch_execz .LBB4_12894
.LBB4_12890:                            ; =>This Inner Loop Header: Depth=1
	s_cmp_lt_i32 s5, 0x270f
	s_cselect_b32 s6, -1, 0
	s_delay_alu instid0(SALU_CYCLE_1)
	s_and_b32 vcc_lo, exec_lo, s6
	s_cbranch_vccnz .LBB4_12892
; %bb.12891:                            ;   in Loop: Header=BB4_12890 Depth=1
	s_trap 2
	ds_load_b64 v[2:3], v0
	s_and_not1_b32 s6, s6, exec_lo
	s_mov_b32 s5, 0
	s_wait_storecnt_dscnt 0x0
	flat_load_b32 v0, v[2:3] scope:SCOPE_SYS
	s_wait_loadcnt_dscnt 0x0
	global_inv scope:SCOPE_SYS
	v_cmp_eq_u32_e32 vcc_lo, 0, v0
	s_and_b32 s7, vcc_lo, exec_lo
	s_delay_alu instid0(SALU_CYCLE_1)
	s_or_b32 s6, s6, s7
	s_mov_b32 s7, -1
	s_or_b32 s4, s4, exec_lo
	s_wait_xcnt 0x0
	s_and_saveexec_b32 s10, s6
	s_cbranch_execz .LBB4_12889
	s_branch .LBB4_12893
.LBB4_12892:                            ;   in Loop: Header=BB4_12890 Depth=1
	s_add_co_i32 s5, s5, 1
                                        ; implicit-def: $vgpr0
	s_mov_b32 s7, -1
	s_or_b32 s4, s4, exec_lo
	s_and_saveexec_b32 s10, s6
	s_cbranch_execz .LBB4_12889
.LBB4_12893:                            ;   in Loop: Header=BB4_12890 Depth=1
	flat_load_b64 v[2:3], v[4:5] offset:8 scope:SCOPE_SYS
	s_wait_loadcnt 0x0
	s_and_not1_b32 s4, s4, exec_lo
	s_wait_dscnt 0x0
	v_cmp_eq_u64_e32 vcc_lo, -1, v[2:3]
	s_or_not1_b32 s7, vcc_lo, exec_lo
	s_branch .LBB4_12889
.LBB4_12894:
	s_or_b32 exec_lo, exec_lo, s3
	s_and_saveexec_b32 s3, s0
	s_delay_alu instid0(SALU_CYCLE_1)
	s_xor_b32 s3, exec_lo, s3
	s_cbranch_execz .LBB4_12896
; %bb.12895:
	s_wait_loadcnt 0x0
	s_wait_storecnt 0x0
	ds_store_b32 v0, v0
	s_trap 2
.LBB4_12896:
	s_or_b32 exec_lo, exec_lo, s2
	v_and_b32_e32 v0, 0x2000, v120
	s_mov_b32 s0, exec_lo
	s_delay_alu instid0(VALU_DEP_1)
	v_cmpx_ne_u32_e32 0, v0
	s_cbranch_execz .LBB4_12898
; %bb.12897:
	s_trap 2
	scratch_load_b64 v[4:5], off, s33 offset:212 th:TH_LOAD_LU ; 8-byte Folded Reload
	ds_load_b64 v[2:3], v0
	s_wait_loadcnt_dscnt 0x0
	flat_store_b64 v[4:5], v[2:3] offset:16
.LBB4_12898:
	s_wait_xcnt 0x0
	s_or_b32 exec_lo, exec_lo, s0
	v_cmp_ne_u32_e32 vcc_lo, 32, v1
	s_and_b32 exec_lo, exec_lo, vcc_lo
	s_cbranch_execz .LBB4_12916
; %bb.12899:
	s_mov_b32 s0, exec_lo
	s_wait_loadcnt 0x0
	v_cmpx_ne_u32_e64 v1, v10
	s_xor_b32 s0, exec_lo, s0
	s_cbranch_execz .LBB4_12914
; %bb.12900:
	v_and_b32_e32 v0, 31, v31
	s_mov_b32 s2, exec_lo
	s_delay_alu instid0(VALU_DEP_1)
	v_cmpx_eq_u32_e32 0, v0
	s_cbranch_execz .LBB4_12913
; %bb.12901:
	s_mov_b32 s4, exec_lo
	s_mov_b32 s3, exec_lo
	v_mbcnt_lo_u32_b32 v0, s4, 0
	global_wb scope:SCOPE_DEV
	s_wait_storecnt_dscnt 0x0
	global_inv scope:SCOPE_DEV
	v_cmpx_eq_u32_e32 0, v0
	s_cbranch_execz .LBB4_12903
; %bb.12902:
	s_bcnt1_i32_b32 s4, s4
	s_delay_alu instid0(SALU_CYCLE_1)
	v_dual_mov_b32 v3, 0 :: v_dual_mov_b32 v2, s4
	s_wait_loadcnt 0x0
	ds_add_u64 v0, v[2:3]
	s_trap 2
.LBB4_12903:
	s_or_b32 exec_lo, exec_lo, s3
	s_trap 2
	ds_load_b64 v[2:3], v0
	s_wait_dscnt 0x0
	v_dual_mov_b32 v1, 0 :: v_dual_lshrrev_b32 v0, 5, v1
	s_mov_b32 s3, exec_lo
	s_delay_alu instid0(VALU_DEP_1) | instskip(NEXT) | instid1(VALU_DEP_1)
	v_add_nc_u64_e32 v[0:1], v[28:29], v[0:1]
	v_cmpx_lt_u64_e64 v[2:3], v[0:1]
	s_cbranch_execz .LBB4_12912
; %bb.12904:
	s_mov_b32 s4, 0
	s_mov_b32 s7, 0
                                        ; implicit-def: $sgpr5
                                        ; implicit-def: $sgpr6
	s_branch .LBB4_12906
.LBB4_12905:                            ;   in Loop: Header=BB4_12906 Depth=1
	s_or_b32 exec_lo, exec_lo, s11
	s_delay_alu instid0(SALU_CYCLE_1) | instskip(NEXT) | instid1(SALU_CYCLE_1)
	s_and_b32 s10, exec_lo, s12
	s_or_b32 s4, s10, s4
	s_and_not1_b32 s5, s5, exec_lo
	s_and_b32 s10, s6, exec_lo
	s_delay_alu instid0(SALU_CYCLE_1)
	s_or_b32 s5, s5, s10
	s_and_not1_b32 exec_lo, exec_lo, s4
	s_cbranch_execz .LBB4_12910
.LBB4_12906:                            ; =>This Inner Loop Header: Depth=1
	s_add_co_i32 s7, s7, 1
	s_delay_alu instid0(SALU_CYCLE_1) | instskip(SKIP_1) | instid1(SALU_CYCLE_1)
	s_cmp_lg_u32 s7, 0x2710
	s_cselect_b32 s10, -1, 0
	s_and_b32 vcc_lo, exec_lo, s10
	s_cbranch_vccz .LBB4_12908
; %bb.12907:                            ;   in Loop: Header=BB4_12906 Depth=1
	s_mov_b32 s12, -1
	s_or_b32 s6, s6, exec_lo
	s_and_saveexec_b32 s11, s10
	s_cbranch_execz .LBB4_12905
	s_branch .LBB4_12909
.LBB4_12908:                            ;   in Loop: Header=BB4_12906 Depth=1
	s_trap 2
	ds_load_b64 v[2:3], v0
	s_and_not1_b32 s10, s10, exec_lo
	s_mov_b32 s7, 0
	s_wait_loadcnt_dscnt 0x0
	flat_load_b32 v2, v[2:3] scope:SCOPE_SYS
	s_wait_loadcnt_dscnt 0x0
	global_inv scope:SCOPE_SYS
	v_cmp_eq_u32_e32 vcc_lo, 0, v2
	s_and_b32 s11, vcc_lo, exec_lo
	s_delay_alu instid0(SALU_CYCLE_1)
	s_or_b32 s10, s10, s11
	s_mov_b32 s12, -1
	s_or_b32 s6, s6, exec_lo
	s_and_saveexec_b32 s11, s10
	s_cbranch_execz .LBB4_12905
.LBB4_12909:                            ;   in Loop: Header=BB4_12906 Depth=1
	s_sleep 1
	s_trap 2
	ds_load_b64 v[2:3], v0
	s_wait_dscnt 0x0
	s_and_not1_b32 s6, s6, exec_lo
	v_cmp_ge_u64_e32 vcc_lo, v[2:3], v[0:1]
	s_or_not1_b32 s12, vcc_lo, exec_lo
	s_branch .LBB4_12905
.LBB4_12910:
	s_or_b32 exec_lo, exec_lo, s4
	s_and_saveexec_b32 s4, s5
	s_delay_alu instid0(SALU_CYCLE_1)
	s_xor_b32 s4, exec_lo, s4
	s_cbranch_execz .LBB4_12912
; %bb.12911:
	v_mov_b32_e32 v0, 1
	ds_store_b32 v0, v0
	s_trap 2
.LBB4_12912:
	s_or_b32 exec_lo, exec_lo, s3
	;;#ASMSTART
	s_wakeup
	;;#ASMEND
.LBB4_12913:
	s_or_b32 exec_lo, exec_lo, s2
.LBB4_12914:
	s_and_not1_saveexec_b32 s0, s0
	s_cbranch_execz .LBB4_12916
; %bb.12915:
	global_wb scope:SCOPE_DEV
	s_wait_storecnt 0x0
	s_wait_loadcnt_dscnt 0x0
	global_inv scope:SCOPE_DEV
	s_barrier_signal -1
	s_barrier_wait -1
.LBB4_12916:
	s_or_b32 exec_lo, exec_lo, s1
.LBB4_12917:
	s_and_not1_saveexec_b32 s21, s14
	s_cbranch_execz .LBB4_12919
; %bb.12918:
	s_get_pc_i64 s[0:1]
	s_add_nc_u64 s[0:1], s[0:1], __PRETTY_FUNCTION__._ZN10PrimitivesI14__hip_fp8_e5m213FuncPreMulSumIS0_E12FanSymmetricILi1EELi0E11ProtoSimpleILi1ELi1ELi0ELi2ELi0ELi0EELi0ELb0ELi0ELi0ELi0EEC2EiiPKiS9_PKvPvmhhhP15ncclDevWorkCollP14ncclDevWorkP2pii@rel64+4
	s_get_pc_i64 s[2:3]
	s_add_nc_u64 s[2:3], s[2:3], __assert_fail@rel64+4
	v_dual_mov_b32 v0, s0 :: v_dual_mov_b32 v1, s1
	s_swap_pc_i64 s[30:31], s[2:3]
	; divergent unreachable
.LBB4_12919:
	s_or_b32 exec_lo, exec_lo, s21
	s_clause 0x2e
	scratch_load_b32 v126, off, s33
	scratch_load_b32 v125, off, s33 offset:4
	scratch_load_b32 v124, off, s33 offset:8
	;; [unrolled: 1-line block ×46, first 2 shown]
	v_readlane_b32 s30, v127, 0
	v_readlane_b32 s31, v127, 1
	s_mov_b32 s32, s33
	s_wait_xcnt 0x0
	s_or_saveexec_b32 s0, -1
	scratch_load_b32 v127, off, s33 offset:220 ; 4-byte Folded Reload
	s_wait_xcnt 0x0
	s_mov_b32 exec_lo, s0
	s_mov_b32 s33, s46
	s_wait_loadcnt_dscnt 0x0
	s_set_pc_i64 s[30:31]
.Lfunc_end4:
	.size	_ZN12_GLOBAL__N_17runRingI14__hip_fp8_e5m213FuncPreMulSumIS1_E11ProtoSimpleILi1ELi1ELi0ELi2ELi0ELi0EELi0ELi2ELi0EEEviiP15ncclDevWorkColl, .Lfunc_end4-_ZN12_GLOBAL__N_17runRingI14__hip_fp8_e5m213FuncPreMulSumIS1_E11ProtoSimpleILi1ELi1ELi0ELi2ELi0ELi0EELi0ELi2ELi0EEEviiP15ncclDevWorkColl
                                        ; -- End function
	.set .L_ZN12_GLOBAL__N_17runRingI14__hip_fp8_e5m213FuncPreMulSumIS1_E11ProtoSimpleILi1ELi1ELi0ELi2ELi0ELi0EELi0ELi2ELi0EEEviiP15ncclDevWorkColl.num_vgpr, max(128, .L__assert_fail.num_vgpr)
	.set .L_ZN12_GLOBAL__N_17runRingI14__hip_fp8_e5m213FuncPreMulSumIS1_E11ProtoSimpleILi1ELi1ELi0ELi2ELi0ELi0EELi0ELi2ELi0EEEviiP15ncclDevWorkColl.num_agpr, max(0, .L__assert_fail.num_agpr)
	.set .L_ZN12_GLOBAL__N_17runRingI14__hip_fp8_e5m213FuncPreMulSumIS1_E11ProtoSimpleILi1ELi1ELi0ELi2ELi0ELi0EELi0ELi2ELi0EEEviiP15ncclDevWorkColl.numbered_sgpr, max(47, .L__assert_fail.numbered_sgpr)
	.set .L_ZN12_GLOBAL__N_17runRingI14__hip_fp8_e5m213FuncPreMulSumIS1_E11ProtoSimpleILi1ELi1ELi0ELi2ELi0ELi0EELi0ELi2ELi0EEEviiP15ncclDevWorkColl.num_named_barrier, max(0, .L__assert_fail.num_named_barrier)
	.set .L_ZN12_GLOBAL__N_17runRingI14__hip_fp8_e5m213FuncPreMulSumIS1_E11ProtoSimpleILi1ELi1ELi0ELi2ELi0ELi0EELi0ELi2ELi0EEEviiP15ncclDevWorkColl.private_seg_size, 240+max(.L__assert_fail.private_seg_size)
	.set .L_ZN12_GLOBAL__N_17runRingI14__hip_fp8_e5m213FuncPreMulSumIS1_E11ProtoSimpleILi1ELi1ELi0ELi2ELi0ELi0EELi0ELi2ELi0EEEviiP15ncclDevWorkColl.uses_vcc, or(1, .L__assert_fail.uses_vcc)
	.set .L_ZN12_GLOBAL__N_17runRingI14__hip_fp8_e5m213FuncPreMulSumIS1_E11ProtoSimpleILi1ELi1ELi0ELi2ELi0ELi0EELi0ELi2ELi0EEEviiP15ncclDevWorkColl.uses_flat_scratch, or(1, .L__assert_fail.uses_flat_scratch)
	.set .L_ZN12_GLOBAL__N_17runRingI14__hip_fp8_e5m213FuncPreMulSumIS1_E11ProtoSimpleILi1ELi1ELi0ELi2ELi0ELi0EELi0ELi2ELi0EEEviiP15ncclDevWorkColl.has_dyn_sized_stack, or(0, .L__assert_fail.has_dyn_sized_stack)
	.set .L_ZN12_GLOBAL__N_17runRingI14__hip_fp8_e5m213FuncPreMulSumIS1_E11ProtoSimpleILi1ELi1ELi0ELi2ELi0ELi0EELi0ELi2ELi0EEEviiP15ncclDevWorkColl.has_recursion, or(1, .L__assert_fail.has_recursion)
	.set .L_ZN12_GLOBAL__N_17runRingI14__hip_fp8_e5m213FuncPreMulSumIS1_E11ProtoSimpleILi1ELi1ELi0ELi2ELi0ELi0EELi0ELi2ELi0EEEviiP15ncclDevWorkColl.has_indirect_call, or(0, .L__assert_fail.has_indirect_call)
	.section	.AMDGPU.csdata,"",@progbits
; Function info:
; codeLenInByte = 363076
; TotalNumSgprs: 49
; NumVgprs: 128
; ScratchSize: 304
; MemoryBound: 1
	.text
	.p2align	2                               ; -- Begin function _Z53ncclDevFunc_Reduce_RING_SIMPLE_PreMulSum_f8e5m2_0_0_2v
	.type	_Z53ncclDevFunc_Reduce_RING_SIMPLE_PreMulSum_f8e5m2_0_0_2v,@function
_Z53ncclDevFunc_Reduce_RING_SIMPLE_PreMulSum_f8e5m2_0_0_2v: ; @_Z53ncclDevFunc_Reduce_RING_SIMPLE_PreMulSum_f8e5m2_0_0_2v
; %bb.0:
	s_wait_loadcnt_dscnt 0x0
	s_wait_kmcnt 0x0
	s_mov_b32 s62, s33
	s_mov_b32 s33, s32
	s_or_saveexec_b32 s0, -1
	scratch_store_b32 off, v42, s33 offset:12 ; 4-byte Folded Spill
	s_wait_xcnt 0x0
	s_mov_b32 exec_lo, s0
	s_add_co_i32 s32, s32, 32
	s_clause 0x2
	scratch_store_b32 off, v40, s33 offset:8
	; meta instruction
	scratch_store_b32 off, v41, s33 offset:4
	; meta instruction
	scratch_store_b32 off, v127, s33
	v_writelane_b32 v42, s30, 0
	v_writelane_b32 v42, s31, 1
	s_trap 2
	ds_load_b32 v0, v0
	s_wait_xcnt 0x2
	v_mov_b32_e32 v40, v31
	s_mov_b32 s47, s12
	s_mov_b64 s[56:57], s[8:9]
	s_mov_b32 s2, exec_lo
	s_wait_xcnt 0x1
	v_and_b32_e32 v41, 0x3ff, v40
	s_wait_dscnt 0x0
	s_wait_xcnt 0x0
	s_delay_alu instid0(VALU_DEP_1)
	v_cmpx_lt_i32_e64 v41, v0
	s_cbranch_execz .LBB5_5
; %bb.1:
	s_load_b32 s0, s[56:57], 0x0
	s_bfe_u32 s1, ttmp6, 0x4000c
	s_and_b32 s3, ttmp6, 15
	s_add_co_i32 s1, s1, 1
	s_getreg_b32 s4, hwreg(HW_REG_IB_STS2, 6, 4)
	s_mul_i32 s1, ttmp9, s1
	v_mov_b32_e32 v2, v41
	s_add_co_i32 s3, s3, s1
	s_cmp_eq_u32 s4, 0
                                        ; implicit-def: $vgpr3
	s_cselect_b32 s1, ttmp9, s3
	s_mov_b32 s3, 0
	s_wait_kmcnt 0x0
	s_cmp_lt_u32 s1, s0
	s_mov_b32 s1, 0
	s_cselect_b32 s0, 12, 18
	s_delay_alu instid0(SALU_CYCLE_1)
	s_add_nc_u64 s[4:5], s[56:57], s[0:1]
	s_load_u16 s0, s[4:5], 0x0
	s_trap 2
	ds_load_b32 v1, v0
	s_wait_dscnt 0x0
	s_wait_kmcnt 0x0
	v_mul_lo_u32 v1, v1, s0
	s_branch .LBB5_3
.LBB5_2:                                ;   in Loop: Header=BB5_3 Depth=1
	s_or_b32 exec_lo, exec_lo, s4
	v_dual_add_nc_u32 v2, s0, v2 :: v_dual_add_nc_u32 v3, v3, v1
	s_delay_alu instid0(VALU_DEP_1) | instskip(SKIP_1) | instid1(SALU_CYCLE_1)
	v_cmp_ge_i32_e32 vcc_lo, v2, v0
	s_or_b32 s3, vcc_lo, s3
	s_and_not1_b32 exec_lo, exec_lo, s3
	s_cbranch_execz .LBB5_5
.LBB5_3:                                ; =>This Inner Loop Header: Depth=1
	ds_load_b32 v4, v3
	s_mov_b32 s4, exec_lo
	s_wait_dscnt 0x0
	v_and_b32_e32 v4, 0x1000000, v4
	s_delay_alu instid0(VALU_DEP_1)
	v_cmpx_ne_u32_e32 0, v4
	s_cbranch_execz .LBB5_2
; %bb.4:                                ;   in Loop: Header=BB5_3 Depth=1
	ds_load_b64 v[4:5], v3 offset:104
	s_wait_dscnt 0x0
	flat_load_u8 v4, v[4:5]
	s_wait_xcnt 0x0
	v_mov_b32_e32 v5, s1
	s_wait_loadcnt_dscnt 0x0
	v_and_b32_e32 v4, 0xffff, v4
	ds_store_b64 v3, v[4:5] offset:104
	s_branch .LBB5_2
.LBB5_5:
	s_or_b32 exec_lo, exec_lo, s2
	s_wait_storecnt_dscnt 0x0
	s_barrier_signal -1
	s_barrier_wait -1
	s_trap 2
	ds_load_b32 v0, v0
	s_wait_dscnt 0x0
	v_cmp_gt_i32_e32 vcc_lo, 1, v0
	s_cbranch_vccnz .LBB5_13
; %bb.6:
	s_mov_b32 s60, 0
	s_get_pc_i64 s[58:59]
	s_add_nc_u64 s[58:59], s[58:59], _ZN12_GLOBAL__N_17runRingI14__hip_fp8_e5m213FuncPreMulSumIS1_E11ProtoSimpleILi1ELi1ELi0ELi2ELi0ELi0EELi0ELi2ELi0EEEviiP15ncclDevWorkColl@rel64+4
	s_branch .LBB5_8
.LBB5_7:                                ;   in Loop: Header=BB5_8 Depth=1
	s_or_b32 exec_lo, exec_lo, s61
	s_trap 2
	ds_load_b32 v0, v0
	s_add_co_i32 s60, s60, 1
	s_wait_dscnt 0x0
	v_cmp_lt_i32_e32 vcc_lo, s60, v0
	s_cbranch_vccz .LBB5_13
.LBB5_8:                                ; =>This Inner Loop Header: Depth=1
	s_trap 2
	ds_load_b32 v0, v0
	s_cmp_eq_u32 s60, 0
	s_cbranch_scc1 .LBB5_11
; %bb.9:                                ;   in Loop: Header=BB5_8 Depth=1
	s_trap 2
	s_wait_dscnt 0x0
	ds_load_b32 v1, v0
	s_wait_dscnt 0x0
	v_xor_b32_e32 v1, v1, v0
	s_delay_alu instid0(VALU_DEP_1) | instskip(NEXT) | instid1(VALU_DEP_1)
	v_and_b32_e32 v1, 0xff0000, v1
	v_cmp_eq_u32_e32 vcc_lo, 0, v1
	s_cbranch_vccnz .LBB5_11
; %bb.10:                               ;   in Loop: Header=BB5_8 Depth=1
	s_barrier_signal -1
	s_barrier_wait -1
	ds_load_b32 v0, v0
.LBB5_11:                               ;   in Loop: Header=BB5_8 Depth=1
	s_wait_dscnt 0x0
	v_lshrrev_b32_e32 v0, 11, v0
	s_mov_b32 s61, exec_lo
	s_delay_alu instid0(VALU_DEP_1) | instskip(NEXT) | instid1(VALU_DEP_1)
	v_and_b32_e32 v1, 0x1fe0, v0
	v_cmpx_lt_u32_e64 v41, v1
	s_cbranch_execz .LBB5_7
; %bb.12:                               ;   in Loop: Header=BB5_8 Depth=1
	s_mov_b64 s[0:1], src_shared_base
	v_dual_mov_b32 v31, v40 :: v_dual_mov_b32 v0, v41
	v_mov_b32_e32 v3, s1
	s_mov_b64 s[8:9], s[56:57]
	s_mov_b32 s12, s47
	s_swap_pc_i64 s[30:31], s[58:59]
	s_branch .LBB5_7
.LBB5_13:
	s_clause 0x2
	scratch_load_b32 v127, off, s33
	scratch_load_b32 v41, off, s33 offset:4
	scratch_load_b32 v40, off, s33 offset:8
	v_readlane_b32 s30, v42, 0
	v_readlane_b32 s31, v42, 1
	s_mov_b32 s32, s33
	s_wait_xcnt 0x0
	s_or_saveexec_b32 s0, -1
	scratch_load_b32 v42, off, s33 offset:12 ; 4-byte Folded Reload
	s_wait_xcnt 0x0
	s_mov_b32 exec_lo, s0
	s_mov_b32 s33, s62
	s_wait_loadcnt 0x0
	s_set_pc_i64 s[30:31]
.Lfunc_end5:
	.size	_Z53ncclDevFunc_Reduce_RING_SIMPLE_PreMulSum_f8e5m2_0_0_2v, .Lfunc_end5-_Z53ncclDevFunc_Reduce_RING_SIMPLE_PreMulSum_f8e5m2_0_0_2v
                                        ; -- End function
	.set .L_Z53ncclDevFunc_Reduce_RING_SIMPLE_PreMulSum_f8e5m2_0_0_2v.num_vgpr, max(128, .L_ZN12_GLOBAL__N_17runRingI14__hip_fp8_e5m213FuncPreMulSumIS1_E11ProtoSimpleILi1ELi1ELi0ELi2ELi0ELi0EELi0ELi2ELi0EEEviiP15ncclDevWorkColl.num_vgpr)
	.set .L_Z53ncclDevFunc_Reduce_RING_SIMPLE_PreMulSum_f8e5m2_0_0_2v.num_agpr, max(0, .L_ZN12_GLOBAL__N_17runRingI14__hip_fp8_e5m213FuncPreMulSumIS1_E11ProtoSimpleILi1ELi1ELi0ELi2ELi0ELi0EELi0ELi2ELi0EEEviiP15ncclDevWorkColl.num_agpr)
	.set .L_Z53ncclDevFunc_Reduce_RING_SIMPLE_PreMulSum_f8e5m2_0_0_2v.numbered_sgpr, max(63, .L_ZN12_GLOBAL__N_17runRingI14__hip_fp8_e5m213FuncPreMulSumIS1_E11ProtoSimpleILi1ELi1ELi0ELi2ELi0ELi0EELi0ELi2ELi0EEEviiP15ncclDevWorkColl.numbered_sgpr)
	.set .L_Z53ncclDevFunc_Reduce_RING_SIMPLE_PreMulSum_f8e5m2_0_0_2v.num_named_barrier, max(0, .L_ZN12_GLOBAL__N_17runRingI14__hip_fp8_e5m213FuncPreMulSumIS1_E11ProtoSimpleILi1ELi1ELi0ELi2ELi0ELi0EELi0ELi2ELi0EEEviiP15ncclDevWorkColl.num_named_barrier)
	.set .L_Z53ncclDevFunc_Reduce_RING_SIMPLE_PreMulSum_f8e5m2_0_0_2v.private_seg_size, 32+max(.L_ZN12_GLOBAL__N_17runRingI14__hip_fp8_e5m213FuncPreMulSumIS1_E11ProtoSimpleILi1ELi1ELi0ELi2ELi0ELi0EELi0ELi2ELi0EEEviiP15ncclDevWorkColl.private_seg_size)
	.set .L_Z53ncclDevFunc_Reduce_RING_SIMPLE_PreMulSum_f8e5m2_0_0_2v.uses_vcc, or(1, .L_ZN12_GLOBAL__N_17runRingI14__hip_fp8_e5m213FuncPreMulSumIS1_E11ProtoSimpleILi1ELi1ELi0ELi2ELi0ELi0EELi0ELi2ELi0EEEviiP15ncclDevWorkColl.uses_vcc)
	.set .L_Z53ncclDevFunc_Reduce_RING_SIMPLE_PreMulSum_f8e5m2_0_0_2v.uses_flat_scratch, or(1, .L_ZN12_GLOBAL__N_17runRingI14__hip_fp8_e5m213FuncPreMulSumIS1_E11ProtoSimpleILi1ELi1ELi0ELi2ELi0ELi0EELi0ELi2ELi0EEEviiP15ncclDevWorkColl.uses_flat_scratch)
	.set .L_Z53ncclDevFunc_Reduce_RING_SIMPLE_PreMulSum_f8e5m2_0_0_2v.has_dyn_sized_stack, or(0, .L_ZN12_GLOBAL__N_17runRingI14__hip_fp8_e5m213FuncPreMulSumIS1_E11ProtoSimpleILi1ELi1ELi0ELi2ELi0ELi0EELi0ELi2ELi0EEEviiP15ncclDevWorkColl.has_dyn_sized_stack)
	.set .L_Z53ncclDevFunc_Reduce_RING_SIMPLE_PreMulSum_f8e5m2_0_0_2v.has_recursion, or(1, .L_ZN12_GLOBAL__N_17runRingI14__hip_fp8_e5m213FuncPreMulSumIS1_E11ProtoSimpleILi1ELi1ELi0ELi2ELi0ELi0EELi0ELi2ELi0EEEviiP15ncclDevWorkColl.has_recursion)
	.set .L_Z53ncclDevFunc_Reduce_RING_SIMPLE_PreMulSum_f8e5m2_0_0_2v.has_indirect_call, or(0, .L_ZN12_GLOBAL__N_17runRingI14__hip_fp8_e5m213FuncPreMulSumIS1_E11ProtoSimpleILi1ELi1ELi0ELi2ELi0ELi0EELi0ELi2ELi0EEEviiP15ncclDevWorkColl.has_indirect_call)
	.section	.AMDGPU.csdata,"",@progbits
; Function info:
; codeLenInByte = 756
; TotalNumSgprs: 65
; NumVgprs: 128
; ScratchSize: 336
; MemoryBound: 0
	.text
	.p2align	2                               ; -- Begin function _ZN12_GLOBAL__N_17runRingI14__hip_fp8_e5m213FuncPreMulSumIS1_E11ProtoSimpleILi1ELi1ELi0ELi4ELi0ELi0EELi0ELi4ELi0EEEviiP15ncclDevWorkColl
	.type	_ZN12_GLOBAL__N_17runRingI14__hip_fp8_e5m213FuncPreMulSumIS1_E11ProtoSimpleILi1ELi1ELi0ELi4ELi0ELi0EELi0ELi4ELi0EEEviiP15ncclDevWorkColl,@function
_ZN12_GLOBAL__N_17runRingI14__hip_fp8_e5m213FuncPreMulSumIS1_E11ProtoSimpleILi1ELi1ELi0ELi4ELi0ELi0EELi0ELi4ELi0EEEviiP15ncclDevWorkColl: ; @_ZN12_GLOBAL__N_17runRingI14__hip_fp8_e5m213FuncPreMulSumIS1_E11ProtoSimpleILi1ELi1ELi0ELi4ELi0ELi0EELi0ELi4ELi0EEEviiP15ncclDevWorkColl
; %bb.0:
	s_wait_loadcnt_dscnt 0x0
	s_wait_kmcnt 0x0
	s_mov_b32 s46, s33
	s_mov_b32 s33, s32
	s_or_saveexec_b32 s0, -1
	scratch_store_b32 off, v127, s33 offset:568 ; 4-byte Folded Spill
	s_wait_xcnt 0x0
	s_mov_b32 exec_lo, s0
	s_addk_co_i32 s32, 0x240
	s_clause 0x2e
	scratch_store_b32 off, v40, s33 offset:184
	; meta instruction
	scratch_store_b32 off, v41, s33 offset:180
	; meta instruction
	;; [unrolled: 2-line block ×46, first 2 shown]
	scratch_store_b32 off, v126, s33
	v_writelane_b32 v127, s30, 0
	v_writelane_b32 v127, s31, 1
	s_clause 0x2
	scratch_store_b32 off, v31, s33 offset:500
	scratch_store_b32 off, v1, s33 offset:480
	;; [unrolled: 1-line block ×3, first 2 shown]
	s_trap 2
	s_wait_xcnt 0x0
	ds_load_b64 v[0:1], v0
	flat_load_b64 v[8:9], v[2:3]
                                        ; implicit-def: $vgpr6_vgpr7
                                        ; implicit-def: $vgpr16_vgpr17
                                        ; implicit-def: $vgpr12_vgpr13
                                        ; kill: killed $vgpr12_vgpr13
	s_wait_dscnt 0x1
	v_readfirstlane_b32 s0, v0
	v_readfirstlane_b32 s1, v1
	ds_load_b32 v10, v0
	flat_load_u16 v5, v[2:3] offset:8
	flat_load_b32 v14, v1, s[0:1] offset:-4 scale_offset
	s_wait_xcnt 0x0
	s_mov_b32 s0, exec_lo
	s_wait_loadcnt_dscnt 0x203
	v_and_b32_e32 v1, 0xff, v8
	v_mov_b32_e32 v4, v9
	s_wait_dscnt 0x2
	s_delay_alu instid0(VALU_DEP_2)
	v_cmpx_ne_u32_e64 v10, v1
	s_xor_b32 s0, exec_lo, s0
	s_cbranch_execz .LBB6_6
; %bb.1:
	v_bfe_u32 v8, v8, 8, 8
	v_not_b32_e32 v1, v1
	s_mov_b32 s1, exec_lo
                                        ; implicit-def: $vgpr6_vgpr7
                                        ; implicit-def: $vgpr16_vgpr17
                                        ; implicit-def: $vgpr12_vgpr13
                                        ; kill: killed $vgpr12_vgpr13
	s_delay_alu instid0(VALU_DEP_2)
	v_cmpx_ne_u32_e64 v10, v8
	s_xor_b32 s1, exec_lo, s1
	s_cbranch_execz .LBB6_3
; %bb.2:
	s_clause 0x1
	flat_load_b128 v[6:9], v[2:3] offset:72
	flat_load_b64 v[12:13], v[2:3] offset:96
	v_add_nc_u32_e32 v1, v10, v1
	s_wait_loadcnt_dscnt 0x101
	s_delay_alu instid0(VALU_DEP_1) | instskip(SKIP_1) | instid1(VALU_DEP_2)
	v_mad_nc_u64_u32 v[10:11], v8, v1, v[6:7]
	v_mov_b64_e32 v[16:17], v[8:9]
	v_mad_u32 v6, v9, v1, v11
	v_ashrrev_i32_e32 v1, 31, v1
	s_delay_alu instid0(VALU_DEP_1)
	v_mad_u32 v11, v8, v1, v6
	s_wait_loadcnt_dscnt 0x0
	v_lshrrev_b64 v[6:7], 12, v[12:13]
                                        ; implicit-def: $vgpr8
                                        ; implicit-def: $vgpr1
	scratch_store_b64 off, v[10:11], s33 offset:472 ; 8-byte Folded Spill
.LBB6_3:
	s_wait_xcnt 0x0
	s_and_not1_saveexec_b32 s1, s1
	s_cbranch_execz .LBB6_5
; %bb.4:
	s_clause 0x1
	flat_load_b128 v[10:13], v[2:3] offset:72
	flat_load_b128 v[16:19], v[2:3] offset:88
	v_add_nc_u32_e32 v1, v8, v1
	s_wait_loadcnt_dscnt 0x101
	s_delay_alu instid0(VALU_DEP_1) | instskip(NEXT) | instid1(VALU_DEP_1)
	v_mad_nc_u64_u32 v[8:9], v12, v1, v[10:11]
	v_mad_u32 v6, v13, v1, v9
	v_ashrrev_i32_e32 v1, 31, v1
	s_delay_alu instid0(VALU_DEP_1)
	v_mad_u32 v9, v12, v1, v6
	s_wait_loadcnt_dscnt 0x0
	v_lshrrev_b32_e32 v6, 1, v19
	scratch_store_b64 off, v[8:9], s33 offset:472 ; 8-byte Folded Spill
.LBB6_5:
	s_wait_xcnt 0x0
	s_or_b32 exec_lo, exec_lo, s1
.LBB6_6:
	s_and_not1_saveexec_b32 s0, s0
	s_cbranch_execz .LBB6_8
; %bb.7:
	s_clause 0x1
	flat_load_b64 v[6:7], v[2:3] offset:96
	flat_load_b64 v[16:17], v[2:3] offset:72
	v_mov_b64_e32 v[8:9], 0
	scratch_store_b64 off, v[8:9], s33 offset:472 ; 8-byte Folded Spill
	s_wait_loadcnt_dscnt 0x101
	v_lshlrev_b64_e32 v[6:7], 9, v[6:7]
.LBB6_8:
	s_wait_xcnt 0x0
	s_or_b32 exec_lo, exec_lo, s0
	s_trap 2
	ds_load_b64 v[8:9], v0
	s_mov_b32 s1, 0
	s_mov_b32 s2, exec_lo
	s_wait_dscnt 0x0
	v_cmp_ne_u32_e32 vcc_lo, -1, v8
	scratch_load_b32 v8, off, s33 offset:480 ; 4-byte Folded Reload
	v_cndmask_b32_e64 v7, 0, 1, vcc_lo
	v_cmp_ne_u32_e32 vcc_lo, -1, v9
	s_delay_alu instid0(VALU_DEP_2) | instskip(NEXT) | instid1(VALU_DEP_1)
	v_add_co_ci_u32_e64 v15, null, 0, v7, vcc_lo
	v_lshlrev_b32_e32 v1, 1, v15
	s_wait_loadcnt 0x0
	s_delay_alu instid0(VALU_DEP_1)
	v_cmpx_le_u32_e64 v1, v8
	s_xor_b32 s14, exec_lo, s2
	s_cbranch_execnz .LBB6_9
; %bb.22388:
	s_add_pc_i64 .LBB6_22361-.Lpost_addpc30
.Lpost_addpc30:
.LBB6_9:
	scratch_store_b128 off, v[16:19], s33 offset:408 ; 16-byte Folded Spill
	s_clause 0x1
	flat_load_b128 v[10:13], v[2:3] offset:16
	flat_load_b64 v[8:9], v[2:3] offset:104
	s_trap 2
	s_load_b32 s0, s[8:9], 0x0
	ds_load_b32 v2, v0
	s_bfe_u32 s2, ttmp6, 0x4000c
	s_and_b32 s3, ttmp6, 15
	s_add_co_i32 s2, s2, 1
	s_getreg_b32 s4, hwreg(HW_REG_IB_STS2, 6, 4)
	s_mul_i32 s2, ttmp9, s2
	v_dual_mov_b32 v1, 0 :: v_dual_mov_b32 v101, 4
	s_add_co_i32 s3, s3, s2
	s_cmp_eq_u32 s4, 0
	s_cselect_b32 s2, ttmp9, s3
	s_wait_kmcnt 0x0
	s_cmp_lt_u32 s2, s0
	s_wait_dscnt 0x0
	v_readfirstlane_b32 s15, v2
	s_cselect_b32 s0, 12, 18
	scratch_load_b32 v2, off, s33 offset:456 ; 4-byte Folded Reload
	s_add_nc_u64 s[0:1], s[8:9], s[0:1]
	global_load_u16 v1, v1, s[0:1]
	s_wait_xcnt 0x0
	s_mov_b32 s1, exec_lo
	s_wait_loadcnt 0x1
	v_cmpx_ge_u32_e64 v2, v7
	s_cbranch_execz .LBB6_19
; %bb.10:
	scratch_load_b32 v2, off, s33 offset:456 ; 4-byte Folded Reload
                                        ; implicit-def: $vgpr101
	s_wait_loadcnt 0x0
	v_cmp_ge_u32_e64 s0, v2, v15
	s_wait_xcnt 0x0
	s_and_saveexec_b32 s2, s0
	s_delay_alu instid0(SALU_CYCLE_1)
	s_xor_b32 s0, exec_lo, s2
	s_cbranch_execz .LBB6_16
; %bb.11:
	scratch_load_b32 v3, off, s33 offset:480 ; 4-byte Folded Reload
	v_cndmask_b32_e64 v2, 0, 1, vcc_lo
	s_mov_b32 s2, exec_lo
	s_wait_loadcnt 0x0
	s_delay_alu instid0(VALU_DEP_1)
	v_sub_nc_u32_e32 v2, v3, v2
	scratch_load_b32 v3, off, s33 offset:456 ; 4-byte Folded Reload
	s_wait_loadcnt 0x0
	v_cmpx_ge_u32_e64 v3, v2
	s_xor_b32 s2, exec_lo, s2
; %bb.12:
                                        ; implicit-def: $vgpr15
; %bb.13:
	s_delay_alu instid0(SALU_CYCLE_1)
	s_or_saveexec_b32 s2, s2
	v_mov_b32_e32 v101, 16
	s_xor_b32 exec_lo, exec_lo, s2
	s_cbranch_execz .LBB6_15
; %bb.14:
	s_clause 0x1
	scratch_load_b32 v2, off, s33 offset:480
	scratch_load_b32 v3, off, s33 offset:456
	s_wait_loadcnt 0x1
	v_sub_nc_u32_e32 v2, v2, v15
	s_wait_loadcnt 0x0
	s_delay_alu instid0(VALU_DEP_1)
	v_cmp_lt_i32_e32 vcc_lo, v3, v2
	v_cndmask_b32_e64 v101, 32, 0, vcc_lo
.LBB6_15:
	s_wait_xcnt 0x0
	s_or_b32 exec_lo, exec_lo, s2
.LBB6_16:
	s_and_not1_saveexec_b32 s0, s0
; %bb.17:
	v_mov_b32_e32 v101, 8
; %bb.18:
	s_or_b32 exec_lo, exec_lo, s0
.LBB6_19:
	s_delay_alu instid0(SALU_CYCLE_1) | instskip(NEXT) | instid1(VALU_DEP_1)
	s_or_b32 exec_lo, exec_lo, s1
	v_dual_mov_b32 v15, -1 :: v_dual_bitop2_b32 v2, 36, v101 bitop3:0x40
	s_delay_alu instid0(VALU_DEP_1)
	v_cmp_ne_u32_e32 vcc_lo, 0, v2
	s_and_saveexec_b32 s0, vcc_lo
	s_cbranch_execz .LBB6_21
; %bb.20:
	s_trap 2
	ds_load_b32 v15, v0
.LBB6_21:
	s_or_b32 exec_lo, exec_lo, s0
	v_and_b32_e32 v2, 24, v101
	s_mov_b32 s1, exec_lo
	s_delay_alu instid0(VALU_DEP_1)
	v_cmpx_ne_u32_e32 0, v2
	s_cbranch_execz .LBB6_23
; %bb.22:
	s_trap 2
	s_wait_dscnt 0x0
	ds_load_b32 v15, v0
.LBB6_23:
	s_or_b32 exec_lo, exec_lo, s1
	v_lshrrev_b64 v[2:3], 31, v[4:5]
	v_mov_b64_e32 v[16:17], 0
	s_delay_alu instid0(VALU_DEP_2)
	v_and_b32_e32 v2, 3, v2
	scratch_store_b64 off, v[16:17], s33 offset:492 ; 8-byte Folded Spill
	s_wait_xcnt 0x0
	v_mov_b64_e32 v[16:17], 0
	v_and_b32_e32 v5, 0xffff, v2
                                        ; implicit-def: $vgpr2_vgpr3
                                        ; kill: killed $vgpr2_vgpr3
                                        ; implicit-def: $vgpr2
	s_clause 0x1
	scratch_store_b64 off, v[2:3], s33 offset:460
	; meta instruction
	; meta instruction
	;; [unrolled: 1-line block ×3, first 2 shown]
	scratch_store_b128 off, v[16:19], s33 offset:204
                                        ; kill: killed $vgpr2_vgpr3
                                        ; implicit-def: $vgpr2_vgpr3
                                        ; kill: killed $vgpr2_vgpr3
	s_wait_xcnt 0x0
	s_and_saveexec_b32 s0, vcc_lo
	s_cbranch_execz .LBB6_33
; %bb.24:
	s_trap 2
	ds_load_b64 v[2:3], v0
	s_wait_dscnt 0x0
	v_readfirstlane_b32 s2, v2
	v_readfirstlane_b32 s3, v3
	flat_load_b64 v[2:3], v15, s[2:3] scale_offset
	s_wait_loadcnt_dscnt 0x0
	v_mad_nc_u64_u32 v[2:3], 0xa8, v5, v[2:3]
	flat_load_b32 v16, v[2:3] offset:640
	s_wait_loadcnt_dscnt 0x0
	v_cmp_eq_u32_e32 vcc_lo, 1, v16
                                        ; implicit-def: $vgpr16_vgpr17
                                        ; kill: killed $vgpr16_vgpr17
	s_wait_xcnt 0x0
	s_and_saveexec_b32 s1, vcc_lo
	s_cbranch_execz .LBB6_26
; %bb.25:
	flat_load_b64 v[18:19], v[2:3] offset:648
	v_or_b32_e32 v101, 0x2000, v101
	s_wait_loadcnt_dscnt 0x0
	flat_load_b64 v[16:17], v[18:19]
	s_trap 2
	scratch_store_b64 off, v[18:19], s33 offset:560 ; 8-byte Folded Spill
	s_wait_loadcnt_dscnt 0x0
	ds_store_b64 v0, v[16:17]
	flat_load_b64 v[16:17], v[18:19] offset:8
	s_wait_loadcnt_dscnt 0x0
	ds_store_b64 v0, v[16:17]
	flat_load_b64 v[16:17], v[18:19] offset:16
	s_wait_loadcnt_dscnt 0x0
	ds_store_b64 v0, v[16:17]
.LBB6_26:
	s_wait_xcnt 0x0
	s_or_b32 exec_lo, exec_lo, s1
	flat_load_b64 v[20:21], v[2:3] offset:608
	v_and_b32_e32 v16, 32, v101
	s_delay_alu instid0(VALU_DEP_1)
	v_cmp_ne_u32_e32 vcc_lo, 0, v16
                                        ; implicit-def: $vgpr16_vgpr17
                                        ; kill: killed $vgpr16_vgpr17
	s_wait_xcnt 0x0
	s_and_saveexec_b32 s1, vcc_lo
	s_cbranch_execz .LBB6_28
; %bb.27:
	flat_load_b64 v[16:17], v[2:3] offset:560
	s_wait_loadcnt_dscnt 0x0
	scratch_store_b64 off, v[16:17], s33 offset:196 ; 8-byte Folded Spill
	global_wb scope:SCOPE_SYS
	s_wait_storecnt 0x0
	s_wait_xcnt 0x0
	flat_store_b64 v[16:17], v[20:21] scope:SCOPE_SYS
.LBB6_28:
	s_wait_xcnt 0x0
	s_or_b32 exec_lo, exec_lo, s1
	v_add_nc_u64_e32 v[18:19], 0x1f8, v[2:3]
	v_and_b32_e32 v16, 4, v101
	s_delay_alu instid0(VALU_DEP_1)
	v_cmp_ne_u32_e32 vcc_lo, 0, v16
	scratch_store_b64 off, v[18:19], s33 offset:492 ; 8-byte Folded Spill
	s_wait_xcnt 0x0
	v_mov_b64_e32 v[18:19], 0
                                        ; implicit-def: $vgpr16
	scratch_store_b64 off, v[16:17], s33 offset:460 ; 8-byte Folded Spill
                                        ; implicit-def: $vgpr16_vgpr17
                                        ; kill: killed $vgpr16_vgpr17
                                        ; implicit-def: $vgpr16_vgpr17
                                        ; kill: killed $vgpr16_vgpr17
	s_wait_loadcnt_dscnt 0x0
	scratch_store_b128 off, v[18:21], s33 offset:204 ; 16-byte Folded Spill
	s_wait_xcnt 0x0
	s_and_saveexec_b32 s1, vcc_lo
	s_cbranch_execz .LBB6_32
; %bb.29:
	v_and_b32_e32 v16, 0x800, v101
	s_mov_b32 s2, exec_lo
	s_delay_alu instid0(VALU_DEP_1)
	v_cmpx_eq_u32_e32 0, v16
	s_cbranch_execz .LBB6_31
; %bb.30:
	v_add_nc_u64_e32 v[16:17], 0x1f8, v[2:3]
	s_trap 2
	ds_store_b64 v0, v[16:17]
.LBB6_31:
	s_or_b32 exec_lo, exec_lo, s2
	flat_load_b64 v[16:17], v[2:3] offset:552
                                        ; kill: killed $vgpr2_vgpr3
	s_wait_loadcnt_dscnt 0x0
	scratch_store_b64 off, v[16:17], s33 offset:196 ; 8-byte Folded Spill
	flat_load_b64 v[16:17], v[16:17] scope:SCOPE_SYS
	s_wait_loadcnt_dscnt 0x0
	s_clause 0x1
	scratch_store_b64 off, v[16:17], s33 offset:188
	scratch_load_b128 v[16:19], off, s33 offset:204 th:TH_LOAD_LU
	s_wait_loadcnt 0x0
	s_clause 0x1
	flat_load_b64 v[16:17], v[2:3] offset:600
	flat_load_b32 v20, v[2:3] offset:576
	s_wait_loadcnt_dscnt 0x101
	v_cmp_eq_u64_e32 vcc_lo, 0, v[16:17]
	s_wait_loadcnt_dscnt 0x0
	scratch_store_b64 off, v[20:21], s33 offset:460 ; 8-byte Folded Spill
	flat_load_b64 v[20:21], v[2:3] offset:520
	s_wait_xcnt 0x0
	v_or_b32_e32 v2, 0x100, v101
	scratch_store_b128 off, v[16:19], s33 offset:204 ; 16-byte Folded Spill
	v_cndmask_b32_e32 v101, v2, v101, vcc_lo
	s_wait_loadcnt_dscnt 0x0
	scratch_store_b64 off, v[20:21], s33 offset:448 ; 8-byte Folded Spill
.LBB6_32:
	s_wait_xcnt 0x0
	s_or_b32 exec_lo, exec_lo, s1
.LBB6_33:
	s_delay_alu instid0(SALU_CYCLE_1) | instskip(SKIP_1) | instid1(VALU_DEP_1)
	s_or_b32 exec_lo, exec_lo, s0
	v_and_b32_e32 v2, 24, v101
	v_cmp_ne_u32_e32 vcc_lo, 0, v2
                                        ; implicit-def: $vgpr2_vgpr3
                                        ; kill: killed $vgpr2_vgpr3
	s_and_saveexec_b32 s0, vcc_lo
	s_cbranch_execz .LBB6_41
; %bb.34:
	s_trap 2
	ds_load_b64 v[2:3], v0
	s_wait_dscnt 0x0
	v_readfirstlane_b32 s2, v2
	v_readfirstlane_b32 s3, v3
	flat_load_b64 v[2:3], v15, s[2:3] scale_offset
	s_wait_loadcnt_dscnt 0x0
	v_mad_nc_u64_u32 v[2:3], 0xa8, v5, v[2:3]
	flat_load_b128 v[16:19], v[2:3] offset:96
	scratch_store_b64 off, v[2:3], s33 offset:492 ; 8-byte Folded Spill
	s_wait_xcnt 0x0
	v_or_b32_e32 v2, 0x100, v101
	s_wait_loadcnt_dscnt 0x0
	v_cmp_eq_u64_e32 vcc_lo, 0, v[16:17]
	scratch_store_b128 off, v[16:19], s33 offset:204 ; 16-byte Folded Spill
	v_cndmask_b32_e32 v101, v2, v101, vcc_lo
	s_delay_alu instid0(VALU_DEP_1) | instskip(NEXT) | instid1(VALU_DEP_1)
	v_and_b32_e32 v2, 16, v101
	v_cmp_ne_u32_e32 vcc_lo, 0, v2
                                        ; implicit-def: $vgpr2_vgpr3
                                        ; kill: killed $vgpr2_vgpr3
	s_wait_xcnt 0x0
	s_and_saveexec_b32 s1, vcc_lo
	s_cbranch_execz .LBB6_36
; %bb.35:
	scratch_load_b64 v[2:3], off, s33 offset:492 ; 8-byte Folded Reload
	s_wait_loadcnt 0x0
	flat_load_b64 v[16:17], v[2:3] offset:48
	s_wait_loadcnt_dscnt 0x0
	scratch_store_b64 off, v[16:17], s33 offset:196 ; 8-byte Folded Spill
	s_clause 0x1
	flat_load_b64 v[16:17], v[2:3] offset:120
	flat_load_b64 v[2:3], v[2:3] offset:16
	s_wait_loadcnt_dscnt 0x101
	scratch_store_b64 off, v[16:17], s33 offset:484 ; 8-byte Folded Spill
	s_wait_loadcnt_dscnt 0x0
	scratch_store_b64 off, v[2:3], s33 offset:448 ; 8-byte Folded Spill
.LBB6_36:
	s_wait_xcnt 0x0
	s_or_b32 exec_lo, exec_lo, s1
	v_and_b32_e32 v2, 8, v101
	s_mov_b32 s1, exec_lo
	s_delay_alu instid0(VALU_DEP_1)
	v_cmpx_ne_u32_e32 0, v2
	s_cbranch_execz .LBB6_40
; %bb.37:
	v_and_b32_e32 v2, 0x800, v101
	s_mov_b32 s2, exec_lo
	s_delay_alu instid0(VALU_DEP_1)
	v_cmpx_eq_u32_e32 0, v2
	s_cbranch_execz .LBB6_39
; %bb.38:
	s_trap 2
	scratch_load_b64 v[2:3], off, s33 offset:492 ; 8-byte Folded Reload
	s_wait_loadcnt 0x0
	ds_store_b64 v0, v[2:3]
.LBB6_39:
	s_wait_xcnt 0x0
	s_or_b32 exec_lo, exec_lo, s2
	scratch_load_b64 v[2:3], off, s33 offset:492 ; 8-byte Folded Reload
	s_wait_loadcnt 0x0
	flat_load_b64 v[16:17], v[2:3] offset:56
	s_wait_loadcnt_dscnt 0x0
	scratch_store_b64 off, v[16:17], s33 offset:196 ; 8-byte Folded Spill
	flat_load_b64 v[16:17], v[16:17] scope:SCOPE_SYS
	s_wait_loadcnt_dscnt 0x0
	scratch_store_b64 off, v[16:17], s33 offset:188 ; 8-byte Folded Spill
	s_clause 0x1
	flat_load_b32 v16, v[2:3] offset:72
	flat_load_b64 v[2:3], v[2:3] offset:16
	s_wait_loadcnt_dscnt 0x101
	scratch_store_b64 off, v[16:17], s33 offset:460 ; 8-byte Folded Spill
	s_wait_loadcnt_dscnt 0x0
	scratch_store_b64 off, v[2:3], s33 offset:448 ; 8-byte Folded Spill
.LBB6_40:
	s_wait_xcnt 0x0
	s_or_b32 exec_lo, exec_lo, s1
.LBB6_41:
	s_delay_alu instid0(SALU_CYCLE_1)
	s_or_b32 exec_lo, exec_lo, s0
	scratch_load_b32 v2, off, s33 offset:456 ; 4-byte Folded Reload
	s_wait_loadcnt 0x0
	v_cmp_eq_u32_e64 s0, 0, v2
	s_wait_xcnt 0x0
	s_and_saveexec_b32 s1, s0
	s_cbranch_execz .LBB6_43
; %bb.42:
	v_dual_mov_b32 v2, v12 :: v_dual_mov_b32 v3, v13
	v_mov_b64_e32 v[12:13], 0
	ds_store_2addr_b64 v0, v[2:3], v[10:11] offset1:1
	s_trap 2
	ds_store_b64 v0, v[12:13]
	ds_store_b64 v0, v[8:9]
.LBB6_43:
	s_or_b32 exec_lo, exec_lo, s1
	v_bfe_u32 v2, v4, 1, 30
	v_and_b32_e32 v4, 0x3ffffe00, v6
	v_mov_b32_e32 v5, 0
	v_and_b32_e32 v1, 0xffff, v1
	s_mov_b32 s1, exec_lo
	s_clause 0x1
	scratch_store_b64 off, v[4:5], s33 offset:432
	scratch_store_b32 off, v1, s33 offset:504
                                        ; implicit-def: $vgpr4_vgpr5
                                        ; kill: killed $vgpr4_vgpr5
	s_wait_xcnt 0x0
	v_cmpx_ne_u32_e64 v14, v2
	s_xor_b32 s16, exec_lo, s1
	s_cbranch_execnz .LBB6_44
; %bb.22390:
	s_add_pc_i64 .LBB6_16680-.Lpost_addpc31
.Lpost_addpc31:
.LBB6_44:
	v_cmp_ne_u32_e32 vcc_lo, v0, v2
                                        ; implicit-def: $vgpr0_vgpr1
                                        ; kill: killed $vgpr0_vgpr1
	s_and_saveexec_b32 s1, vcc_lo
	s_delay_alu instid0(SALU_CYCLE_1)
	s_xor_b32 s17, exec_lo, s1
	s_cbranch_execnz .LBB6_45
; %bb.22392:
	s_add_pc_i64 .LBB6_8367-.Lpost_addpc32
.Lpost_addpc32:
.LBB6_45:
	v_mov_b64_e32 v[0:1], 0
	s_mov_b32 s18, exec_lo
	s_clause 0x1
	scratch_store_b64 off, v[0:1], s33 offset:220
	scratch_load_b128 v[0:3], off, s33 offset:408
	s_wait_loadcnt 0x0
	v_cmpx_ne_u64_e32 0, v[0:1]
	s_cbranch_execnz .LBB6_46
; %bb.22394:
	s_add_pc_i64 .LBB6_8366-.Lpost_addpc33
.Lpost_addpc33:
.LBB6_46:
	s_clause 0x2
	scratch_load_b32 v2, off, s33 offset:480
	scratch_load_b32 v3, off, s33 offset:456
	scratch_load_b64 v[0:1], off, s33 offset:460
	s_ashr_i32 s2, s15, 31
	v_mov_b64_e32 v[8:9], 0
	s_lshr_b32 s2, s2, 24
	v_mov_b32_e32 v113, 0x90
	s_add_co_i32 s2, s15, s2
	s_mov_b64 s[12:13], 0xffffffffffffff
	s_ashr_i32 s19, s2, 8
	s_mov_b32 s20, 0
	s_mov_b32 s22, 0x7f800000
	v_mov_b32_e32 v103, 1
	s_wait_loadcnt 0x2
	v_cmp_eq_u32_e32 vcc_lo, 32, v2
	s_wait_loadcnt 0x0
	v_dual_lshrrev_b32 v4, 5, v3 :: v_dual_ashrrev_i32 v1, 31, v0
	v_cmp_ge_u32_e64 s1, v3, v2
	v_cmp_ne_u32_e64 s2, 32, v2
	s_xor_b32 s21, vcc_lo, -1
	s_clause 0x2
	scratch_store_b64 off, v[0:1], s33 offset:460
	scratch_load_b32 v0, off, s33 offset:500
	scratch_load_b32 v1, off, s33 offset:504
	s_wait_loadcnt 0x1
	v_and_b32_e32 v0, 31, v0
	s_wait_loadcnt 0x0
	v_cmp_ne_u32_e64 s3, v2, v1
	v_dual_mov_b32 v1, 0 :: v_dual_bitop2_b32 v3, 31, v3 bitop3:0x40
	s_delay_alu instid0(VALU_DEP_3) | instskip(NEXT) | instid1(VALU_DEP_2)
	v_cmp_eq_u32_e64 s4, 0, v0
	v_dual_mov_b32 v5, v1 :: v_dual_lshlrev_b32 v0, 11, v4
	s_delay_alu instid0(VALU_DEP_3) | instskip(SKIP_2) | instid1(VALU_DEP_4)
	v_cmp_le_u32_e64 s5, v3, v7
	v_cmp_lt_u32_e64 s6, v3, v7
	v_mov_b32_e32 v7, v1
	v_lshl_or_b32 v6, v3, 4, v0
	scratch_store_b32 off, v4, s33 offset:340 ; 4-byte Folded Spill
	s_wait_xcnt 0x0
	v_lshrrev_b32_e32 v4, 5, v2
	v_and_b32_e32 v2, 0x1fe0, v2
	scratch_store_b64 off, v[6:7], s33 offset:368 ; 8-byte Folded Spill
	s_wait_xcnt 0x0
	v_lshlrev_b32_e32 v6, 11, v4
	scratch_store_b32 off, v3, s33 offset:360 ; 4-byte Folded Spill
	s_wait_xcnt 0x0
	v_mov_b32_e32 v3, v1
	scratch_store_b64 off, v[6:7], s33 offset:308 ; 8-byte Folded Spill
	s_wait_xcnt 0x0
	v_lshlrev_b32_e32 v6, 9, v4
	s_clause 0x3
	scratch_store_b64 off, v[6:7], s33 offset:324
	scratch_store_b64 off, v[4:5], s33 offset:276
	;; [unrolled: 1-line block ×3, first 2 shown]
	scratch_load_b64 v[2:3], off, s33 offset:484
	v_lshlrev_b32_e32 v4, 10, v4
	s_wait_loadcnt 0x0
	v_cmp_eq_u64_e64 s7, 0, v[2:3]
	v_mov_b64_e32 v[2:3], 0
	s_clause 0x1
	scratch_store_b64 off, v[4:5], s33 offset:332
	scratch_store_b64 off, v[2:3], s33 offset:220
	s_trap 2
	s_clause 0x1
	scratch_load_b128 v[2:5], off, s33 offset:408
	scratch_load_b64 v[6:7], off, s33 offset:432
	s_branch .LBB6_49
.LBB6_47:                               ;   in Loop: Header=BB6_49 Depth=1
	s_wait_xcnt 0x0
	s_or_b32 exec_lo, exec_lo, s10
.LBB6_48:                               ;   in Loop: Header=BB6_49 Depth=1
	s_delay_alu instid0(SALU_CYCLE_1)
	s_or_b32 exec_lo, exec_lo, s11
	s_clause 0x2
	scratch_load_b64 v[6:7], off, s33 offset:432
	scratch_load_b64 v[8:9], off, s33 offset:292 th:TH_LOAD_LU
	scratch_load_b128 v[2:5], off, s33 offset:408
	s_wait_loadcnt 0x1
	v_add_nc_u64_e32 v[8:9], v[8:9], v[6:7]
	s_wait_loadcnt 0x0
	s_delay_alu instid0(VALU_DEP_1)
	v_cmp_ge_u64_e32 vcc_lo, v[8:9], v[2:3]
	s_or_b32 s20, vcc_lo, s20
	s_wait_xcnt 0x0
	s_and_not1_b32 exec_lo, exec_lo, s20
	s_cbranch_execnz .LBB6_49
; %bb.22396:
	s_add_pc_i64 .LBB6_8365-.Lpost_addpc34
.Lpost_addpc34:
.LBB6_49:                               ; =>This Loop Header: Depth=1
                                        ;     Child Loop BB6_57 Depth 2
                                        ;     Child Loop BB6_86 Depth 2
	;; [unrolled: 1-line block ×10, first 2 shown]
	s_wait_loadcnt 0x1
	v_sub_nc_u64_e32 v[2:3], v[2:3], v[8:9]
	s_wait_loadcnt 0x0
	s_delay_alu instid0(VALU_DEP_1) | instskip(NEXT) | instid1(VALU_DEP_1)
	v_min_u64 v[4:5], v[6:7], v[2:3]
	v_dual_add_nc_u32 v0, 15, v4 :: v_dual_mov_b32 v2, v4
	s_delay_alu instid0(VALU_DEP_2) | instskip(NEXT) | instid1(VALU_DEP_2)
	v_cmp_eq_u64_e32 vcc_lo, 0, v[4:5]
	v_and_b32_e32 v0, 0x7ffffff0, v0
	scratch_store_b64 off, v[2:3], s33 offset:300 ; 8-byte Folded Spill
	s_or_b32 s23, s1, vcc_lo
	v_max_i32_e32 v0, s19, v0
	scratch_store_b64 off, v[8:9], s33 offset:292 ; 8-byte Folded Spill
	s_xor_b32 s10, s23, -1
	scratch_store_b64 off, v[0:1], s33 offset:284 ; 8-byte Folded Spill
	s_wait_xcnt 0x0
	v_mov_b32_e32 v0, v1
	s_and_saveexec_b32 s24, s10
	s_cbranch_execnz .LBB6_50
; %bb.22398:                            ;   in Loop: Header=BB6_49 Depth=1
	s_add_pc_i64 .LBB6_8313-.Lpost_addpc35
.Lpost_addpc35:
.LBB6_50:                               ;   in Loop: Header=BB6_49 Depth=1
	s_and_saveexec_b32 s10, s0
	s_cbranch_execz .LBB6_52
; %bb.51:                               ;   in Loop: Header=BB6_49 Depth=1
	s_trap 2
	scratch_load_b64 v[4:5], off, s33 offset:472 ; 8-byte Folded Reload
	ds_load_b64 v[2:3], v0
	s_wait_loadcnt_dscnt 0x0
	v_add_nc_u64_e32 v[2:3], v[2:3], v[4:5]
	scratch_load_b64 v[4:5], off, s33 offset:292 ; 8-byte Folded Reload
	s_wait_loadcnt 0x0
	v_add_nc_u64_e32 v[2:3], v[2:3], v[4:5]
	v_mov_b64_e32 v[4:5], 0
	ds_store_b64 v0, v[2:3]
	ds_store_b64 v0, v[4:5]
.LBB6_52:                               ;   in Loop: Header=BB6_49 Depth=1
	s_wait_xcnt 0x0
	s_or_b32 exec_lo, exec_lo, s10
	s_clause 0x1
	scratch_load_b64 v[2:3], off, s33 offset:300
	scratch_load_b64 v[4:5], off, s33 offset:284
	v_and_b32_e32 v0, 12, v101
	s_mov_b32 s11, exec_lo
	s_wait_loadcnt 0x0
	v_min_u32_e32 v4, v4, v2
	scratch_store_b64 off, v[4:5], s33 offset:284 ; 8-byte Folded Spill
	s_wait_xcnt 0x0
	v_cmpx_ne_u32_e32 0, v0
	s_cbranch_execz .LBB6_78
; %bb.53:                               ;   in Loop: Header=BB6_49 Depth=1
	s_clause 0x1
	scratch_load_b64 v[4:5], off, s33 offset:188
	scratch_load_b128 v[8:11], off, s33 offset:204
	v_dual_mov_b32 v3, v1 :: v_dual_bitop2_b32 v2, 8, v101 bitop3:0x40
	s_mov_b32 s25, exec_lo
	s_wait_loadcnt 0x1
	s_delay_alu instid0(VALU_DEP_1) | instskip(SKIP_3) | instid1(VALU_DEP_1)
	v_add_nc_u64_e32 v[6:7], v[4:5], v[2:3]
	s_wait_loadcnt 0x0
	v_add_nc_u64_e32 v[4:5], 1, v[10:11]
	s_wait_xcnt 0x0
	v_cmpx_lt_u64_e64 v[6:7], v[4:5]
	s_cbranch_execz .LBB6_65
; %bb.54:                               ;   in Loop: Header=BB6_49 Depth=1
	v_and_b32_e32 v0, 64, v101
	s_mov_b32 s26, 0
	s_mov_b32 s40, 0
                                        ; implicit-def: $sgpr27
                                        ; implicit-def: $sgpr28
                                        ; implicit-def: $sgpr29
	s_delay_alu instid0(VALU_DEP_1)
	v_cmp_eq_u32_e32 vcc_lo, 0, v0
	s_branch .LBB6_57
.LBB6_55:                               ;   in Loop: Header=BB6_57 Depth=2
	s_wait_xcnt 0x0
	s_or_b32 exec_lo, exec_lo, s45
	s_delay_alu instid0(SALU_CYCLE_1)
	s_and_not1_b32 s10, s29, exec_lo
	s_and_b32 s29, s43, exec_lo
	s_and_not1_b32 s28, s28, exec_lo
	s_and_b32 s42, s42, exec_lo
	s_or_b32 s29, s10, s29
	s_or_b32 s28, s28, s42
.LBB6_56:                               ;   in Loop: Header=BB6_57 Depth=2
	s_or_b32 exec_lo, exec_lo, s41
	s_delay_alu instid0(SALU_CYCLE_1) | instskip(NEXT) | instid1(SALU_CYCLE_1)
	s_and_b32 s10, exec_lo, s28
	s_or_b32 s26, s10, s26
	s_and_not1_b32 s10, s27, exec_lo
	s_and_b32 s27, s29, exec_lo
	s_delay_alu instid0(SALU_CYCLE_1)
	s_or_b32 s27, s10, s27
	s_and_not1_b32 exec_lo, exec_lo, s26
	s_cbranch_execz .LBB6_62
.LBB6_57:                               ;   Parent Loop BB6_49 Depth=1
                                        ; =>  This Inner Loop Header: Depth=2
	s_sleep 1
	scratch_load_b64 v[6:7], off, s33 offset:196 ; 8-byte Folded Reload
	s_or_b32 s29, s29, exec_lo
	s_or_b32 s28, s28, exec_lo
                                        ; implicit-def: $vgpr0
	s_wait_loadcnt 0x0
	flat_load_b64 v[6:7], v[6:7] scope:SCOPE_SYS
	s_wait_loadcnt_dscnt 0x0
	scratch_store_b64 off, v[6:7], s33 offset:188 ; 8-byte Folded Spill
	s_wait_xcnt 0x0
	s_and_saveexec_b32 s41, vcc_lo
	s_cbranch_execz .LBB6_56
; %bb.58:                               ;   in Loop: Header=BB6_57 Depth=2
	s_cmp_lt_i32 s40, 0x270f
	s_mov_b32 s42, -1
	s_cselect_b32 s44, -1, 0
	s_cmp_gt_i32 s40, 0x270e
	s_cbranch_scc0 .LBB6_60
; %bb.59:                               ;   in Loop: Header=BB6_57 Depth=2
	s_trap 2
	ds_load_b64 v[6:7], v0
	s_and_not1_b32 s40, s44, exec_lo
	s_mov_b32 s43, 0
	s_wait_storecnt_dscnt 0x0
	flat_load_b32 v0, v[6:7] scope:SCOPE_SYS
	s_wait_loadcnt_dscnt 0x0
	global_inv scope:SCOPE_SYS
	v_cmp_eq_u32_e64 s10, 0, v0
	s_and_b32 s10, s10, exec_lo
	s_delay_alu instid0(SALU_CYCLE_1)
	s_or_b32 s44, s40, s10
	s_mov_b32 s40, 0
	s_wait_xcnt 0x0
	s_and_saveexec_b32 s45, s44
	s_cbranch_execz .LBB6_55
	s_branch .LBB6_61
.LBB6_60:                               ;   in Loop: Header=BB6_57 Depth=2
	s_add_co_i32 s40, s40, 1
	s_mov_b32 s43, -1
                                        ; implicit-def: $vgpr0
	s_and_saveexec_b32 s45, s44
	s_cbranch_execz .LBB6_55
.LBB6_61:                               ;   in Loop: Header=BB6_57 Depth=2
	scratch_load_b64 v[6:7], off, s33 offset:188 ; 8-byte Folded Reload
	s_or_b32 s43, s43, exec_lo
	s_wait_loadcnt 0x0
	v_add_nc_u64_e32 v[6:7], v[6:7], v[2:3]
	s_delay_alu instid0(VALU_DEP_1)
	v_cmp_ge_u64_e64 s10, v[6:7], v[4:5]
	s_or_not1_b32 s42, s10, exec_lo
	s_branch .LBB6_55
.LBB6_62:                               ;   in Loop: Header=BB6_49 Depth=1
	s_or_b32 exec_lo, exec_lo, s26
	s_xor_b32 s10, s27, -1
	s_delay_alu instid0(SALU_CYCLE_1) | instskip(NEXT) | instid1(SALU_CYCLE_1)
	s_and_saveexec_b32 s26, s10
	s_xor_b32 s10, exec_lo, s26
	s_cbranch_execz .LBB6_64
; %bb.63:                               ;   in Loop: Header=BB6_49 Depth=1
	v_or_b32_e32 v101, 64, v101
	s_wait_loadcnt 0x0
	s_wait_storecnt 0x0
	ds_store_b32 v0, v0
	s_trap 2
.LBB6_64:                               ;   in Loop: Header=BB6_49 Depth=1
	s_or_b32 exec_lo, exec_lo, s10
.LBB6_65:                               ;   in Loop: Header=BB6_49 Depth=1
	s_delay_alu instid0(SALU_CYCLE_1)
	s_or_b32 exec_lo, exec_lo, s25
	scratch_load_b128 v[6:9], off, s33 offset:204 ; 16-byte Folded Reload
	v_and_b32_e32 v0, 0x108, v101
	s_mov_b32 s10, exec_lo
	;;#ASMSTART
	s_wakeup
	;;#ASMEND
	s_wait_loadcnt 0x0
	v_and_b32_e32 v6, 7, v8
	s_wait_xcnt 0x0
	v_cmpx_ne_u32_e32 0x108, v0
	s_xor_b32 s10, exec_lo, s10
; %bb.66:                               ;   in Loop: Header=BB6_49 Depth=1
	v_mov_b32_e32 v7, v1
; %bb.67:                               ;   in Loop: Header=BB6_49 Depth=1
	s_and_not1_saveexec_b32 s10, s10
	s_cbranch_execz .LBB6_69
; %bb.68:                               ;   in Loop: Header=BB6_49 Depth=1
	scratch_load_b128 v[8:11], off, s33 offset:204 ; 16-byte Folded Reload
	s_wait_loadcnt 0x0
	scratch_load_b64 v[10:11], off, s33 offset:284 th:TH_LOAD_LU ; 8-byte Folded Reload
	s_wait_loadcnt 0x0
	v_dual_mov_b32 v11, v1 :: v_dual_mov_b32 v7, v1
	v_mad_nc_u64_u32 v[8:9], v6, 24, v[8:9]
	v_mov_b32_e32 v0, v10
	scratch_store_b64 off, v[0:1], s33 offset:284 ; 8-byte Folded Spill
	flat_store_b64 v[8:9], v[10:11] offset:8
.LBB6_69:                               ;   in Loop: Header=BB6_49 Depth=1
	s_wait_xcnt 0x0
	s_or_b32 exec_lo, exec_lo, s10
	v_and_b32_e32 v0, 0x100, v101
	s_mov_b32 s10, -1
	s_mov_b32 s25, exec_lo
                                        ; implicit-def: $vgpr8_vgpr9
	s_delay_alu instid0(VALU_DEP_1)
	v_cmpx_ne_u32_e32 0, v0
	s_cbranch_execz .LBB6_73
; %bb.70:                               ;   in Loop: Header=BB6_49 Depth=1
	scratch_load_b128 v[8:11], off, s33 offset:204 ; 16-byte Folded Reload
	s_mov_b32 s26, exec_lo
	s_wait_loadcnt 0x0
	v_mad_nc_u64_u32 v[10:11], v6, 24, v[8:9]
                                        ; implicit-def: $vgpr8_vgpr9
	s_delay_alu instid0(VALU_DEP_1)
	v_mad_u32 v11, v7, 24, v11
	flat_load_b32 v0, v[10:11]
	s_wait_loadcnt_dscnt 0x0
	v_cmp_ne_u32_e32 vcc_lo, 1, v0
	s_wait_xcnt 0x0
	v_cmpx_eq_u32_e32 1, v0
	s_cbranch_execz .LBB6_72
; %bb.71:                               ;   in Loop: Header=BB6_49 Depth=1
	flat_load_b32 v8, v[10:11] offset:4 scope:SCOPE_SYS
	s_wait_loadcnt_dscnt 0x0
	v_ashrrev_i32_e32 v9, 31, v8
.LBB6_72:                               ;   in Loop: Header=BB6_49 Depth=1
	s_wait_xcnt 0x0
	s_or_b32 exec_lo, exec_lo, s26
	s_delay_alu instid0(SALU_CYCLE_1)
	s_or_not1_b32 s10, vcc_lo, exec_lo
.LBB6_73:                               ;   in Loop: Header=BB6_49 Depth=1
	s_or_b32 exec_lo, exec_lo, s25
	s_and_saveexec_b32 s25, s10
	s_cbranch_execz .LBB6_75
; %bb.74:                               ;   in Loop: Header=BB6_49 Depth=1
	scratch_load_b64 v[8:9], off, s33 offset:460 ; 8-byte Folded Reload
	s_wait_loadcnt 0x0
	v_mul_u64_e32 v[8:9], v[6:7], v[8:9]
.LBB6_75:                               ;   in Loop: Header=BB6_49 Depth=1
	s_wait_xcnt 0x0
	s_or_b32 exec_lo, exec_lo, s25
	v_cmp_eq_u32_e32 vcc_lo, 0, v2
	scratch_load_b64 v[2:3], off, s33 offset:448 ; 8-byte Folded Reload
	v_and_b32_e32 v6, 0x2000, v101
	s_mov_b32 s10, exec_lo
	v_cndmask_b32_e32 v0, 0xc8, v113, vcc_lo
	s_delay_alu instid0(VALU_DEP_1)
	v_add_nc_u32_e32 v0, v0, v0
	s_wait_loadcnt 0x0
	v_add_nc_u64_e32 v[2:3], v[2:3], v[8:9]
	ds_store_b64 v0, v[2:3] offset:584
	s_wait_xcnt 0x0
	v_cmpx_ne_u32_e32 0, v6
	s_cbranch_execz .LBB6_77
; %bb.76:                               ;   in Loop: Header=BB6_49 Depth=1
	ds_load_b64 v[2:3], v0 offset:872
	s_wait_dscnt 0x0
	v_add_nc_u64_e32 v[2:3], 1, v[2:3]
	ds_store_b64 v0, v[2:3] offset:872
.LBB6_77:                               ;   in Loop: Header=BB6_49 Depth=1
	s_or_b32 exec_lo, exec_lo, s10
	scratch_load_b128 v[6:9], off, s33 offset:204 ; 16-byte Folded Reload
	s_wait_loadcnt 0x0
	v_mov_b64_e32 v[8:9], v[4:5]
	scratch_store_b128 off, v[6:9], s33 offset:204 ; 16-byte Folded Spill
.LBB6_78:                               ;   in Loop: Header=BB6_49 Depth=1
	s_wait_xcnt 0x0
	s_or_b32 exec_lo, exec_lo, s11
	s_and_saveexec_b32 s10, s2
	s_cbranch_execz .LBB6_97
; %bb.79:                               ;   in Loop: Header=BB6_49 Depth=1
	s_and_saveexec_b32 s11, s3
	s_delay_alu instid0(SALU_CYCLE_1)
	s_xor_b32 s11, exec_lo, s11
	s_cbranch_execz .LBB6_94
; %bb.80:                               ;   in Loop: Header=BB6_49 Depth=1
	s_and_saveexec_b32 s25, s4
	s_cbranch_execz .LBB6_93
; %bb.81:                               ;   in Loop: Header=BB6_49 Depth=1
	s_mov_b32 s27, exec_lo
	s_mov_b32 s26, exec_lo
	v_mbcnt_lo_u32_b32 v0, s27, 0
	global_wb scope:SCOPE_DEV
	s_wait_storecnt_dscnt 0x0
	global_inv scope:SCOPE_DEV
	v_cmpx_eq_u32_e32 0, v0
	s_cbranch_execz .LBB6_83
; %bb.82:                               ;   in Loop: Header=BB6_49 Depth=1
	s_bcnt1_i32_b32 s27, s27
	s_delay_alu instid0(SALU_CYCLE_1)
	v_dual_mov_b32 v3, v1 :: v_dual_mov_b32 v2, s27
	s_wait_loadcnt 0x0
	ds_add_u64 v0, v[2:3]
	s_trap 2
.LBB6_83:                               ;   in Loop: Header=BB6_49 Depth=1
	s_or_b32 exec_lo, exec_lo, s26
	s_trap 2
	ds_load_b64 v[2:3], v0
	s_wait_dscnt 0x0
	s_clause 0x1
	scratch_load_b64 v[4:5], off, s33 offset:220 th:TH_LOAD_LU
	scratch_load_b64 v[6:7], off, s33 offset:276
	s_mov_b32 s26, exec_lo
	s_wait_loadcnt 0x0
	v_add_nc_u64_e32 v[4:5], v[4:5], v[6:7]
	scratch_store_b64 off, v[4:5], s33 offset:220 ; 8-byte Folded Spill
	s_wait_xcnt 0x0
	v_cmpx_lt_u64_e64 v[2:3], v[4:5]
	s_cbranch_execz .LBB6_92
; %bb.84:                               ;   in Loop: Header=BB6_49 Depth=1
	s_mov_b32 s27, 0
	s_mov_b32 s40, 0
                                        ; implicit-def: $sgpr28
                                        ; implicit-def: $sgpr29
	s_branch .LBB6_86
.LBB6_85:                               ;   in Loop: Header=BB6_86 Depth=2
	s_wait_xcnt 0x0
	s_or_b32 exec_lo, exec_lo, s42
	s_delay_alu instid0(SALU_CYCLE_1) | instskip(NEXT) | instid1(SALU_CYCLE_1)
	s_and_b32 s41, exec_lo, s43
	s_or_b32 s27, s41, s27
	s_and_not1_b32 s28, s28, exec_lo
	s_and_b32 s41, s29, exec_lo
	s_delay_alu instid0(SALU_CYCLE_1)
	s_or_b32 s28, s28, s41
	s_and_not1_b32 exec_lo, exec_lo, s27
	s_cbranch_execz .LBB6_90
.LBB6_86:                               ;   Parent Loop BB6_49 Depth=1
                                        ; =>  This Inner Loop Header: Depth=2
	s_add_co_i32 s40, s40, 1
	s_delay_alu instid0(SALU_CYCLE_1) | instskip(SKIP_1) | instid1(SALU_CYCLE_1)
	s_cmp_lg_u32 s40, 0x2710
	s_cselect_b32 s41, -1, 0
	s_and_b32 vcc_lo, exec_lo, s41
	s_cbranch_vccz .LBB6_88
; %bb.87:                               ;   in Loop: Header=BB6_86 Depth=2
	s_mov_b32 s43, -1
	s_or_b32 s29, s29, exec_lo
	s_and_saveexec_b32 s42, s41
	s_cbranch_execz .LBB6_85
	s_branch .LBB6_89
.LBB6_88:                               ;   in Loop: Header=BB6_86 Depth=2
	s_trap 2
	ds_load_b64 v[2:3], v0
	s_and_not1_b32 s41, s41, exec_lo
	s_mov_b32 s40, 0
	s_wait_storecnt_dscnt 0x0
	flat_load_b32 v0, v[2:3] scope:SCOPE_SYS
	s_wait_loadcnt_dscnt 0x0
	global_inv scope:SCOPE_SYS
	v_cmp_eq_u32_e32 vcc_lo, 0, v0
	s_and_b32 s42, vcc_lo, exec_lo
	s_delay_alu instid0(SALU_CYCLE_1)
	s_or_b32 s41, s41, s42
	s_mov_b32 s43, -1
	s_or_b32 s29, s29, exec_lo
	s_wait_xcnt 0x0
	s_and_saveexec_b32 s42, s41
	s_cbranch_execz .LBB6_85
.LBB6_89:                               ;   in Loop: Header=BB6_86 Depth=2
	s_sleep 1
	s_trap 2
	ds_load_b64 v[2:3], v0
	s_wait_dscnt 0x0
	scratch_load_b64 v[4:5], off, s33 offset:220 ; 8-byte Folded Reload
	s_and_not1_b32 s29, s29, exec_lo
	s_wait_loadcnt 0x0
	v_cmp_ge_u64_e32 vcc_lo, v[2:3], v[4:5]
	s_or_not1_b32 s43, vcc_lo, exec_lo
	s_branch .LBB6_85
.LBB6_90:                               ;   in Loop: Header=BB6_49 Depth=1
	s_or_b32 exec_lo, exec_lo, s27
	s_and_saveexec_b32 s27, s28
	s_delay_alu instid0(SALU_CYCLE_1)
	s_xor_b32 s27, exec_lo, s27
	s_cbranch_execz .LBB6_92
; %bb.91:                               ;   in Loop: Header=BB6_49 Depth=1
	ds_store_b32 v0, v103
	s_trap 2
.LBB6_92:                               ;   in Loop: Header=BB6_49 Depth=1
	s_or_b32 exec_lo, exec_lo, s26
	;;#ASMSTART
	s_wakeup
	;;#ASMEND
.LBB6_93:                               ;   in Loop: Header=BB6_49 Depth=1
	s_or_b32 exec_lo, exec_lo, s25
.LBB6_94:                               ;   in Loop: Header=BB6_49 Depth=1
	s_and_not1_saveexec_b32 s11, s11
	s_cbranch_execz .LBB6_96
; %bb.95:                               ;   in Loop: Header=BB6_49 Depth=1
	global_wb scope:SCOPE_DEV
	s_wait_storecnt 0x0
	s_wait_loadcnt_dscnt 0x0
	global_inv scope:SCOPE_DEV
	s_barrier_signal -1
	s_barrier_wait -1
.LBB6_96:                               ;   in Loop: Header=BB6_49 Depth=1
	s_or_b32 exec_lo, exec_lo, s11
.LBB6_97:                               ;   in Loop: Header=BB6_49 Depth=1
	s_delay_alu instid0(SALU_CYCLE_1) | instskip(SKIP_3) | instid1(VALU_DEP_1)
	s_or_b32 exec_lo, exec_lo, s10
	s_trap 2
	ds_load_b32 v0, v0
	v_and_b32_e32 v2, 0x4000, v101
	v_cmp_ne_u32_e32 vcc_lo, 0, v2
	s_and_b32 s11, s21, vcc_lo
	s_delay_alu instid0(SALU_CYCLE_1)
	s_and_saveexec_b32 s10, s11
	s_cbranch_execz .LBB6_116
; %bb.98:                               ;   in Loop: Header=BB6_49 Depth=1
	s_and_saveexec_b32 s11, s3
	s_delay_alu instid0(SALU_CYCLE_1)
	s_xor_b32 s11, exec_lo, s11
	s_cbranch_execz .LBB6_113
; %bb.99:                               ;   in Loop: Header=BB6_49 Depth=1
	s_and_saveexec_b32 s25, s4
	s_cbranch_execz .LBB6_112
; %bb.100:                              ;   in Loop: Header=BB6_49 Depth=1
	s_mov_b32 s27, exec_lo
	s_mov_b32 s26, exec_lo
	v_mbcnt_lo_u32_b32 v2, s27, 0
	global_wb scope:SCOPE_DEV
	s_wait_storecnt 0x0
	s_wait_loadcnt_dscnt 0x0
	global_inv scope:SCOPE_DEV
	v_cmpx_eq_u32_e32 0, v2
	s_cbranch_execz .LBB6_102
; %bb.101:                              ;   in Loop: Header=BB6_49 Depth=1
	s_bcnt1_i32_b32 s27, s27
	s_delay_alu instid0(SALU_CYCLE_1)
	v_dual_mov_b32 v3, v1 :: v_dual_mov_b32 v2, s27
	s_wait_loadcnt 0x0
	ds_add_u64 v0, v[2:3]
	s_trap 2
.LBB6_102:                              ;   in Loop: Header=BB6_49 Depth=1
	s_or_b32 exec_lo, exec_lo, s26
	s_trap 2
	ds_load_b64 v[2:3], v0
	s_wait_dscnt 0x0
	s_clause 0x1
	scratch_load_b64 v[4:5], off, s33 offset:220 th:TH_LOAD_LU
	scratch_load_b64 v[6:7], off, s33 offset:276
	s_mov_b32 s26, exec_lo
	s_wait_loadcnt 0x0
	v_add_nc_u64_e32 v[4:5], v[4:5], v[6:7]
	scratch_store_b64 off, v[4:5], s33 offset:220 ; 8-byte Folded Spill
	s_wait_xcnt 0x0
	v_cmpx_lt_u64_e64 v[2:3], v[4:5]
	s_cbranch_execz .LBB6_111
; %bb.103:                              ;   in Loop: Header=BB6_49 Depth=1
	s_mov_b32 s27, 0
	s_mov_b32 s40, 0
                                        ; implicit-def: $sgpr28
                                        ; implicit-def: $sgpr29
	s_branch .LBB6_105
.LBB6_104:                              ;   in Loop: Header=BB6_105 Depth=2
	s_wait_xcnt 0x0
	s_or_b32 exec_lo, exec_lo, s42
	s_delay_alu instid0(SALU_CYCLE_1) | instskip(NEXT) | instid1(SALU_CYCLE_1)
	s_and_b32 s41, exec_lo, s43
	s_or_b32 s27, s41, s27
	s_and_not1_b32 s28, s28, exec_lo
	s_and_b32 s41, s29, exec_lo
	s_delay_alu instid0(SALU_CYCLE_1)
	s_or_b32 s28, s28, s41
	s_and_not1_b32 exec_lo, exec_lo, s27
	s_cbranch_execz .LBB6_109
.LBB6_105:                              ;   Parent Loop BB6_49 Depth=1
                                        ; =>  This Inner Loop Header: Depth=2
	s_add_co_i32 s40, s40, 1
	s_delay_alu instid0(SALU_CYCLE_1) | instskip(SKIP_1) | instid1(SALU_CYCLE_1)
	s_cmp_lg_u32 s40, 0x2710
	s_cselect_b32 s41, -1, 0
	s_and_b32 vcc_lo, exec_lo, s41
	s_cbranch_vccz .LBB6_107
; %bb.106:                              ;   in Loop: Header=BB6_105 Depth=2
	s_mov_b32 s43, -1
	s_or_b32 s29, s29, exec_lo
	s_and_saveexec_b32 s42, s41
	s_cbranch_execz .LBB6_104
	s_branch .LBB6_108
.LBB6_107:                              ;   in Loop: Header=BB6_105 Depth=2
	s_trap 2
	ds_load_b64 v[2:3], v0
	s_and_not1_b32 s41, s41, exec_lo
	s_mov_b32 s40, 0
	s_wait_storecnt_dscnt 0x0
	flat_load_b32 v2, v[2:3] scope:SCOPE_SYS
	s_wait_loadcnt_dscnt 0x0
	global_inv scope:SCOPE_SYS
	v_cmp_eq_u32_e32 vcc_lo, 0, v2
	s_and_b32 s42, vcc_lo, exec_lo
	s_delay_alu instid0(SALU_CYCLE_1)
	s_or_b32 s41, s41, s42
	s_mov_b32 s43, -1
	s_or_b32 s29, s29, exec_lo
	s_wait_xcnt 0x0
	s_and_saveexec_b32 s42, s41
	s_cbranch_execz .LBB6_104
.LBB6_108:                              ;   in Loop: Header=BB6_105 Depth=2
	s_sleep 1
	s_trap 2
	ds_load_b64 v[2:3], v0
	s_wait_dscnt 0x0
	scratch_load_b64 v[4:5], off, s33 offset:220 ; 8-byte Folded Reload
	s_and_not1_b32 s29, s29, exec_lo
	s_wait_loadcnt 0x0
	v_cmp_ge_u64_e32 vcc_lo, v[2:3], v[4:5]
	s_or_not1_b32 s43, vcc_lo, exec_lo
	s_branch .LBB6_104
.LBB6_109:                              ;   in Loop: Header=BB6_49 Depth=1
	s_or_b32 exec_lo, exec_lo, s27
	s_and_saveexec_b32 s27, s28
	s_delay_alu instid0(SALU_CYCLE_1)
	s_xor_b32 s27, exec_lo, s27
	s_cbranch_execz .LBB6_111
; %bb.110:                              ;   in Loop: Header=BB6_49 Depth=1
	ds_store_b32 v0, v103
	s_trap 2
.LBB6_111:                              ;   in Loop: Header=BB6_49 Depth=1
	s_or_b32 exec_lo, exec_lo, s26
	;;#ASMSTART
	s_wakeup
	;;#ASMEND
.LBB6_112:                              ;   in Loop: Header=BB6_49 Depth=1
	s_or_b32 exec_lo, exec_lo, s25
.LBB6_113:                              ;   in Loop: Header=BB6_49 Depth=1
	s_and_not1_saveexec_b32 s11, s11
	s_cbranch_execz .LBB6_115
; %bb.114:                              ;   in Loop: Header=BB6_49 Depth=1
	global_wb scope:SCOPE_DEV
	s_wait_storecnt 0x0
	s_wait_loadcnt_dscnt 0x0
	global_inv scope:SCOPE_DEV
	s_barrier_signal -1
	s_barrier_wait -1
.LBB6_115:                              ;   in Loop: Header=BB6_49 Depth=1
	s_or_b32 exec_lo, exec_lo, s11
.LBB6_116:                              ;   in Loop: Header=BB6_49 Depth=1
	s_delay_alu instid0(SALU_CYCLE_1)
	s_or_b32 exec_lo, exec_lo, s10
	s_trap 2
	s_wait_dscnt 0x0
	ds_load_b64 v[98:99], v0
	s_wait_dscnt 0x0
	v_cmp_eq_u64_e32 vcc_lo, 0, v[98:99]
	s_cbranch_vccnz .LBB6_124
; %bb.117:                              ;   in Loop: Header=BB6_49 Depth=1
	scratch_store_b32 off, v101, s33 offset:468 ; 4-byte Folded Spill
	s_trap 2
	s_wait_xcnt 0x0
	ds_load_b64 v[100:101], v0
	s_wait_dscnt 0x0
	v_cmp_eq_u64_e32 vcc_lo, 0, v[100:101]
	s_cbranch_vccnz .LBB6_125
; %bb.118:                              ;   in Loop: Header=BB6_49 Depth=1
	s_mov_b32 s10, -1
	s_and_saveexec_b32 s11, s5
	s_cbranch_execz .LBB6_120
; %bb.119:                              ;   in Loop: Header=BB6_49 Depth=1
	ds_load_b32 v2, v0 offset:720
	s_wait_dscnt 0x0
	v_and_b32_e32 v2, 15, v2
	s_delay_alu instid0(VALU_DEP_1)
	v_cmp_eq_u32_e32 vcc_lo, 0, v2
	s_or_not1_b32 s10, vcc_lo, exec_lo
.LBB6_120:                              ;   in Loop: Header=BB6_49 Depth=1
	s_or_b32 exec_lo, exec_lo, s11
	s_and_saveexec_b32 s11, s6
	s_cbranch_execz .LBB6_122
; %bb.121:                              ;   in Loop: Header=BB6_49 Depth=1
	ds_load_b32 v2, v0 offset:784
	s_wait_dscnt 0x0
	v_and_b32_e32 v2, 15, v2
	s_delay_alu instid0(VALU_DEP_1) | instskip(SKIP_3) | instid1(SALU_CYCLE_1)
	v_cmp_eq_u32_e32 vcc_lo, 0, v2
	s_and_b32 s25, s10, vcc_lo
	s_and_not1_b32 s10, s10, exec_lo
	s_and_b32 s25, s25, exec_lo
	s_or_b32 s10, s10, s25
.LBB6_122:                              ;   in Loop: Header=BB6_49 Depth=1
	s_or_b32 exec_lo, exec_lo, s11
	scratch_load_b64 v[4:5], off, s33 offset:284 ; 8-byte Folded Reload
	s_wait_loadcnt 0x0
	scratch_load_b32 v5, off, s33 offset:456 ; 4-byte Folded Reload
	v_cmp_eq_u32_e32 vcc_lo, 0, v0
	s_xor_b32 s10, s10, -1
	v_mov_b32_e32 v10, 0
	v_cndmask_b32_e64 v2, 0, 1, s10
	s_mov_b32 s10, -1
	v_cndmask_b32_e32 v115, 0, v4, vcc_lo
	s_delay_alu instid0(VALU_DEP_2) | instskip(NEXT) | instid1(VALU_DEP_2)
	v_cmp_ne_u32_e32 vcc_lo, 0, v2
	v_mov_b32_e32 v4, v115
	s_cbranch_vccz .LBB6_126
; %bb.123:                              ;   in Loop: Header=BB6_49 Depth=1
	s_wait_xcnt 0x0
	s_and_saveexec_b32 s25, s10
	s_cbranch_execz .LBB6_22364
; %bb.22400:                            ;   in Loop: Header=BB6_49 Depth=1
	s_add_pc_i64 .LBB6_5689-.Lpost_addpc36
.Lpost_addpc36:
.LBB6_22364:                            ;   in Loop: Header=BB6_49 Depth=1
	s_add_pc_i64 .LBB6_8287-.Lpost_addpc18
.Lpost_addpc18:
.LBB6_124:                              ;   in Loop: Header=BB6_49 Depth=1
	s_mov_b32 s10, 0
	s_and_saveexec_b32 s11, s2
	s_cbranch_execz .LBB6_22366
; %bb.22402:                            ;   in Loop: Header=BB6_49 Depth=1
	s_add_pc_i64 .LBB6_8288-.Lpost_addpc37
.Lpost_addpc37:
.LBB6_22366:                            ;   in Loop: Header=BB6_49 Depth=1
	s_add_pc_i64 .LBB6_8306-.Lpost_addpc19
.Lpost_addpc19:
.LBB6_125:                              ;   in Loop: Header=BB6_49 Depth=1
	scratch_load_b32 v101, off, s33 offset:468 ; 4-byte Folded Reload
	s_mov_b32 s10, 0
	s_wait_xcnt 0x0
	s_and_saveexec_b32 s11, s2
	s_cbranch_execz .LBB6_22368
; %bb.22404:                            ;   in Loop: Header=BB6_49 Depth=1
	s_add_pc_i64 .LBB6_8288-.Lpost_addpc38
.Lpost_addpc38:
.LBB6_22368:                            ;   in Loop: Header=BB6_49 Depth=1
	s_add_pc_i64 .LBB6_8306-.Lpost_addpc20
.Lpost_addpc20:
.LBB6_126:                              ;   in Loop: Header=BB6_49 Depth=1
	scratch_load_b32 v2, off, s33 offset:340 ; 4-byte Folded Reload
	v_lshrrev_b32_e32 v0, 11, v115
	s_mov_b32 s11, exec_lo
	s_wait_loadcnt 0x0
	s_delay_alu instid0(VALU_DEP_1) | instskip(SKIP_1) | instid1(VALU_DEP_1)
	v_sub_nc_u32_e32 v6, v0, v2
	s_wait_xcnt 0x0
	v_cmpx_lt_i32_e32 0, v6
	s_cbranch_execz .LBB6_4618
; %bb.127:                              ;   in Loop: Header=BB6_49 Depth=1
	s_trap 2
	scratch_load_b64 v[4:5], off, s33 offset:368 ; 8-byte Folded Reload
	ds_load_b64 v[2:3], v0
	v_mov_b32_e32 v78, v115
	s_wait_dscnt 0x0
	v_readfirstlane_b32 s26, v2
	v_readfirstlane_b32 s27, v3
	s_and_b32 s25, s26, 3
	s_bfe_i32 s10, s26, 0x80000
	s_clz_i32_u32 s40, s25
	s_bfe_u32 s28, s26, 0x50002
	s_min_u32 s40, s40, 32
	s_and_b32 s29, s26, 0x7c
	s_sub_co_i32 s43, s40, 29
	s_lshl_b32 s41, s26, 24
	s_sext_i32_i8 s42, s26
	s_lshl_b64 s[26:27], s[26:27], s43
	s_and_b32 s41, s41, 0x80000000
	s_sub_co_i32 s27, 30, s40
	s_and_b32 s26, s26, 3
	s_cmp_gt_i32 s42, -1
	s_cselect_b32 s40, s22, 0xff800000
	s_cmp_eq_u32 s25, 0
	s_cselect_b32 s40, s40, 0x7f800001
	s_cmp_eq_u32 s28, 0
	s_cselect_b32 s27, s27, s28
	s_cselect_b32 s25, s26, s25
	s_lshl_b32 s26, s27, 23
	s_lshl_b32 s25, s25, 21
	s_add_co_i32 s26, s26, s41
	s_delay_alu instid0(SALU_CYCLE_1)
	s_or_b32 s25, s26, s25
	s_mov_b32 s26, 0
	s_add_co_i32 s25, s25, 0x38000000
	s_cmp_eq_u32 s29, 0x7c
	s_cselect_b32 s25, s40, s25
	s_and_b32 s27, s10, 0xff
	s_delay_alu instid0(SALU_CYCLE_1)
	s_and_b32 s28, 0xffff, s27
	s_wait_loadcnt 0x0
	v_add_nc_u64_e32 v[102:103], v[98:99], v[4:5]
	v_add_nc_u64_e32 v[112:113], v[100:101], v[4:5]
	;; [unrolled: 1-line block ×3, first 2 shown]
	s_branch .LBB6_130
.LBB6_128:                              ;   in Loop: Header=BB6_130 Depth=2
	s_or_b32 exec_lo, exec_lo, s29
.LBB6_129:                              ;   in Loop: Header=BB6_130 Depth=2
	s_delay_alu instid0(SALU_CYCLE_1)
	s_or_b32 exec_lo, exec_lo, s10
	v_lshl_or_b32 v0, v70, 8, v68
	v_dual_lshlrev_b32 v3, 16, v81 :: v_dual_lshlrev_b32 v4, 24, v14
	v_lshl_or_b32 v5, v80, 8, v21
	v_dual_lshlrev_b32 v12, 16, v82 :: v_dual_lshlrev_b32 v14, 24, v69
	v_lshl_or_b32 v21, v52, 8, v49
	s_delay_alu instid0(VALU_DEP_4)
	v_or3_b32 v13, v0, v3, v4
	v_lshlrev_b32_e32 v0, 24, v86
	v_lshl_or_b32 v3, v55, 8, v15
	v_dual_lshlrev_b32 v4, 16, v66 :: v_dual_lshlrev_b32 v15, 24, v16
	v_lshlrev_b32_e32 v16, 16, v64
	v_lshl_or_b32 v34, v44, 8, v42
	v_dual_lshlrev_b32 v37, 16, v56 :: v_dual_lshlrev_b32 v18, 24, v18
	v_lshl_or_b32 v25, v47, 8, v25
	v_dual_lshlrev_b32 v49, 16, v58 :: v_dual_lshlrev_b32 v50, 24, v60
	v_or3_b32 v12, v5, v12, v0
	v_or3_b32 v14, v3, v4, v14
	v_lshl_or_b32 v0, v116, 8, v19
	v_dual_lshlrev_b32 v3, 16, v119 :: v_dual_lshlrev_b32 v5, 24, v20
	v_lshlrev_b32_e32 v4, 24, v43
	v_or3_b32 v15, v21, v16, v15
	v_or3_b32 v67, v34, v37, v18
	;; [unrolled: 1-line block ×3, first 2 shown]
	v_lshlrev_b32_e32 v16, 16, v117
	v_lshl_or_b32 v18, v96, 8, v85
	v_lshl_or_b32 v19, v53, 8, v48
	v_dual_lshlrev_b32 v20, 16, v65 :: v_dual_lshlrev_b32 v21, 24, v22
	v_lshl_or_b32 v7, v9, 8, v7
	v_dual_lshlrev_b32 v9, 16, v28 :: v_dual_lshlrev_b32 v25, 16, v87
	v_dual_lshlrev_b32 v22, 24, v32 :: v_dual_lshlrev_b32 v28, 24, v118
	v_lshl_or_b32 v23, v84, 8, v23
	v_or3_b32 v68, v0, v3, v4
	v_dual_lshlrev_b32 v0, 24, v24 :: v_dual_lshlrev_b32 v3, 16, v57
	v_lshl_or_b32 v4, v46, 8, v41
	v_or3_b32 v69, v18, v16, v5
	v_or3_b32 v19, v19, v20, v21
	v_or3_b32 v18, v7, v9, v22
	v_or3_b32 v20, v23, v25, v28
	v_or3_b32 v21, v4, v3, v0
	v_lshl_or_b32 v5, v36, 8, v29
	v_dual_lshlrev_b32 v7, 16, v38 :: v_dual_lshlrev_b32 v16, 16, v39
	v_lshlrev_b32_e32 v9, 24, v10
	v_lshl_or_b32 v10, v33, 8, v17
	v_lshlrev_b32_e32 v17, 24, v51
	v_lshl_or_b32 v11, v26, 8, v11
	v_dual_lshlrev_b32 v22, 16, v31 :: v_dual_lshlrev_b32 v24, 24, v2
	v_dual_lshlrev_b32 v23, 24, v35 :: v_dual_lshlrev_b32 v25, 16, v30
	v_lshl_or_b32 v8, v27, 8, v8
	s_clause 0x1
	global_store_b128 v[112:113], v[18:21], off th:TH_STORE_NT
	global_store_b128 v[112:113], v[66:69], off offset:512 th:TH_STORE_NT
	v_or3_b32 v3, v5, v7, v9
	v_or3_b32 v2, v10, v16, v17
	;; [unrolled: 1-line block ×4, first 2 shown]
	scratch_load_b64 v[8:9], off, s33 offset:276 ; 8-byte Folded Reload
	s_clause 0x1
	global_store_b128 v[112:113], v[12:15], off offset:1024 th:TH_STORE_NT
	global_store_b128 v[112:113], v[2:5], off offset:1536 th:TH_STORE_NT
	scratch_load_b64 v[2:3], off, s33 offset:308 ; 8-byte Folded Reload
	s_wait_loadcnt 0x1
	v_sub_nc_u32_e32 v6, v6, v8
	s_wait_loadcnt 0x0
	v_add_nc_u64_e32 v[102:103], v[102:103], v[2:3]
	v_add_nc_u64_e32 v[114:115], v[114:115], v[2:3]
	s_delay_alu instid0(VALU_DEP_3)
	v_cmp_gt_i32_e32 vcc_lo, 1, v6
	v_add_nc_u64_e32 v[112:113], v[112:113], v[2:3]
	s_or_b32 s26, vcc_lo, s26
	s_wait_xcnt 0x0
	s_and_not1_b32 exec_lo, exec_lo, s26
	s_cbranch_execz .LBB6_4617
.LBB6_130:                              ;   Parent Loop BB6_49 Depth=1
                                        ; =>  This Inner Loop Header: Depth=2
	s_cmp_lt_i32 s27, 0x80
	s_cbranch_scc1 .LBB6_134
; %bb.131:                              ;   in Loop: Header=BB6_130 Depth=2
	s_cmp_eq_u32 s28, 0x80
	s_mov_b32 s10, -1
	s_cbranch_scc0 .LBB6_133
; %bb.132:                              ;   in Loop: Header=BB6_130 Depth=2
	s_mov_b32 s10, 0
.LBB6_133:                              ;   in Loop: Header=BB6_130 Depth=2
	s_brev_b32 s29, 1
	s_branch .LBB6_136
.LBB6_134:                              ;   in Loop: Header=BB6_130 Depth=2
	s_mov_b32 s10, 0
	s_brev_b32 s29, 1
	s_cbranch_execz .LBB6_136
; %bb.135:                              ;   in Loop: Header=BB6_130 Depth=2
	s_cmp_lg_u32 s28, 0
	s_mov_b32 s29, 0
	s_cselect_b32 s10, -1, 0
.LBB6_136:                              ;   in Loop: Header=BB6_130 Depth=2
	s_delay_alu instid0(SALU_CYCLE_1)
	s_and_not1_b32 vcc_lo, exec_lo, s10
	s_cbranch_vccnz .LBB6_138
; %bb.137:                              ;   in Loop: Header=BB6_130 Depth=2
	s_mov_b32 s29, s25
.LBB6_138:                              ;   in Loop: Header=BB6_130 Depth=2
	global_load_b128 v[10:13], v[102:103], off th:TH_LOAD_NT
	s_wait_loadcnt 0x0
	v_and_b32_e32 v0, 0xff, v10
	s_delay_alu instid0(VALU_DEP_1)
	v_cmp_ne_u16_e32 vcc_lo, 0, v0
	v_mov_b32_e32 v0, 0
	s_wait_xcnt 0x0
	s_and_saveexec_b32 s10, vcc_lo
	s_cbranch_execz .LBB6_148
; %bb.139:                              ;   in Loop: Header=BB6_130 Depth=2
	v_bfe_i32 v3, v10, 0, 8
	v_bfrev_b32_e32 v0, 1
	s_mov_b32 s40, exec_lo
	s_delay_alu instid0(VALU_DEP_2)
	v_cmpx_ne_u16_e32 0xff80, v3
	s_cbranch_execz .LBB6_147
; %bb.140:                              ;   in Loop: Header=BB6_130 Depth=2
	v_and_b32_e32 v0, 0x7c, v10
	v_and_b32_e32 v2, 3, v10
	s_delay_alu instid0(VALU_DEP_2) | instskip(SKIP_1) | instid1(SALU_CYCLE_1)
	v_cmp_ne_u32_e32 vcc_lo, 0x7c, v0
                                        ; implicit-def: $vgpr0
	s_and_saveexec_b32 s41, vcc_lo
	s_xor_b32 s41, exec_lo, s41
	s_cbranch_execz .LBB6_144
; %bb.141:                              ;   in Loop: Header=BB6_130 Depth=2
	v_bfe_u32 v0, v10, 2, 5
	s_mov_b32 s42, exec_lo
	s_delay_alu instid0(VALU_DEP_1)
	v_cmpx_eq_u32_e32 0, v0
; %bb.142:                              ;   in Loop: Header=BB6_130 Depth=2
	v_clz_i32_u32_e32 v0, v2
	s_delay_alu instid0(VALU_DEP_1) | instskip(NEXT) | instid1(VALU_DEP_1)
	v_min_u32_e32 v0, 32, v0
	v_subrev_nc_u32_e32 v2, 29, v0
	s_delay_alu instid0(VALU_DEP_1) | instskip(NEXT) | instid1(VALU_DEP_1)
	v_lshlrev_b64_e32 v[2:3], v2, v[10:11]
	v_dual_sub_nc_u32 v0, 30, v0 :: v_dual_bitop2_b32 v2, 3, v2 bitop3:0x40
; %bb.143:                              ;   in Loop: Header=BB6_130 Depth=2
	s_or_b32 exec_lo, exec_lo, s42
	v_lshlrev_b32_e32 v3, 24, v10
	s_delay_alu instid0(VALU_DEP_1) | instskip(NEXT) | instid1(VALU_DEP_1)
	v_and_b32_e32 v3, 0x80000000, v3
	v_lshl_add_u32 v0, v0, 23, v3
                                        ; implicit-def: $vgpr3
	s_delay_alu instid0(VALU_DEP_1) | instskip(NEXT) | instid1(VALU_DEP_1)
	v_lshl_or_b32 v0, v2, 21, v0
                                        ; implicit-def: $vgpr2
	v_add_nc_u32_e32 v0, 0x38000000, v0
.LBB6_144:                              ;   in Loop: Header=BB6_130 Depth=2
	s_and_not1_saveexec_b32 s41, s41
; %bb.145:                              ;   in Loop: Header=BB6_130 Depth=2
	v_cmp_lt_i16_e32 vcc_lo, -1, v3
	v_mov_b32_e32 v0, 0x7f800000
	s_delay_alu instid0(VALU_DEP_1) | instskip(SKIP_1) | instid1(VALU_DEP_2)
	v_cndmask_b32_e32 v0, 0xff800000, v0, vcc_lo
	v_cmp_eq_u32_e32 vcc_lo, 0, v2
	v_cndmask_b32_e32 v0, 0x7f800001, v0, vcc_lo
; %bb.146:                              ;   in Loop: Header=BB6_130 Depth=2
	s_or_b32 exec_lo, exec_lo, s41
.LBB6_147:                              ;   in Loop: Header=BB6_130 Depth=2
	s_delay_alu instid0(SALU_CYCLE_1)
	s_or_b32 exec_lo, exec_lo, s40
.LBB6_148:                              ;   in Loop: Header=BB6_130 Depth=2
	s_delay_alu instid0(SALU_CYCLE_1) | instskip(NEXT) | instid1(VALU_DEP_1)
	s_or_b32 exec_lo, exec_lo, s10
	v_dual_mul_f32 v2, s29, v0 :: v_dual_mov_b32 v5, v1
                                        ; implicit-def: $vgpr7
	s_mov_b32 s10, exec_lo
	s_delay_alu instid0(VALU_DEP_1) | instskip(SKIP_2) | instid1(VALU_DEP_3)
	v_and_b32_e32 v4, 0x7f800000, v2
	v_and_b32_e32 v0, 0x7fffff, v2
	v_lshrrev_b32_e32 v3, 24, v2
	v_cmpx_ne_u64_e32 0x7f800000, v[4:5]
	s_xor_b32 s40, exec_lo, s10
	s_cbranch_execz .LBB6_162
; %bb.149:                              ;   in Loop: Header=BB6_130 Depth=2
	v_and_b32_e32 v4, 0x7fffffff, v2
	v_mov_b32_e32 v5, v1
	v_and_b32_e32 v8, 0x80, v3
                                        ; implicit-def: $vgpr7
	s_mov_b32 s10, exec_lo
	s_delay_alu instid0(VALU_DEP_2)
	v_cmpx_gt_u64_e32 0x47600001, v[4:5]
	s_xor_b32 s41, exec_lo, s10
	s_cbranch_execz .LBB6_159
; %bb.150:                              ;   in Loop: Header=BB6_130 Depth=2
	v_mov_b32_e32 v7, 0
	s_mov_b32 s42, exec_lo
	v_cmpx_ne_u32_e32 0, v2
	s_cbranch_execz .LBB6_158
; %bb.151:                              ;   in Loop: Header=BB6_130 Depth=2
	v_bfe_u32 v7, v2, 23, 8
	v_or_b32_e32 v4, 0x800000, v0
	s_mov_b32 s43, exec_lo
	s_delay_alu instid0(VALU_DEP_2) | instskip(SKIP_1) | instid1(VALU_DEP_2)
	v_dual_mov_b32 v5, v1 :: v_dual_sub_nc_u32 v2, 0x71, v7
	v_cmp_gt_u32_e32 vcc_lo, 0x72, v7
	v_cndmask_b32_e32 v2, 0, v2, vcc_lo
	v_cmp_eq_u32_e32 vcc_lo, 0, v7
	s_delay_alu instid0(VALU_DEP_2) | instskip(NEXT) | instid1(VALU_DEP_1)
	v_cndmask_b32_e64 v9, v2, 0x70, vcc_lo
	v_dual_cndmask_b32 v4, v4, v0, vcc_lo :: v_dual_add_nc_u32 v2, 21, v9
	v_add_nc_u32_e32 v14, 20, v9
	s_delay_alu instid0(VALU_DEP_2) | instskip(NEXT) | instid1(VALU_DEP_2)
	v_lshlrev_b64_e64 v[2:3], v2, -1
	v_lshlrev_b64_e64 v[14:15], v14, 1
	s_delay_alu instid0(VALU_DEP_2) | instskip(NEXT) | instid1(VALU_DEP_3)
	v_bfi_b32 v17, v3, 0, 0
	v_bfi_b32 v16, v2, 0, v4
	v_lshrrev_b64 v[2:3], v9, v[4:5]
	s_delay_alu instid0(VALU_DEP_1) | instskip(NEXT) | instid1(VALU_DEP_3)
	v_mov_b64_e32 v[4:5], v[2:3]
	v_cmpx_eq_u64_e64 v[16:17], v[14:15]
; %bb.152:                              ;   in Loop: Header=BB6_130 Depth=2
	v_bfe_u32 v4, v2, 21, 1
	v_mov_b32_e32 v5, v1
	s_delay_alu instid0(VALU_DEP_1) | instskip(NEXT) | instid1(VALU_DEP_1)
	v_add_nc_u64_e32 v[4:5], v[2:3], v[4:5]
	v_add_nc_u64_e32 v[4:5], -1, v[4:5]
; %bb.153:                              ;   in Loop: Header=BB6_130 Depth=2
	s_or_b32 exec_lo, exec_lo, s43
	v_add_nc_u32_e32 v0, 0xffffff81, v7
	v_lshrrev_b32_e32 v3, 23, v2
	s_mov_b32 s10, exec_lo
	s_delay_alu instid0(VALU_DEP_2) | instskip(NEXT) | instid1(VALU_DEP_1)
	v_cndmask_b32_e64 v0, v0, 0xffffff82, vcc_lo
	v_add3_u32 v5, v9, v0, v3
	v_and_b32_e32 v0, 0x1fffff, v4
                                        ; implicit-def: $vgpr4
	s_delay_alu instid0(VALU_DEP_1) | instskip(NEXT) | instid1(VALU_DEP_1)
	v_dual_add_nc_u32 v7, 14, v5 :: v_dual_add_nc_u32 v0, v0, v2
                                        ; implicit-def: $vgpr2_vgpr3
	v_cmpx_ne_u32_e32 0, v7
	s_xor_b32 s10, exec_lo, s10
; %bb.154:                              ;   in Loop: Header=BB6_130 Depth=2
	s_delay_alu instid0(VALU_DEP_2) | instskip(SKIP_1) | instid1(VALU_DEP_1)
	v_cmp_lt_u64_e32 vcc_lo, 0xffffff, v[0:1]
	v_add_nc_u32_e32 v2, 15, v5
	v_cndmask_b32_e32 v4, v7, v2, vcc_lo
	v_cndmask_b32_e64 v2, 0, 1, vcc_lo
	s_delay_alu instid0(VALU_DEP_1)
	v_lshrrev_b64 v[2:3], v2, v[0:1]
; %bb.155:                              ;   in Loop: Header=BB6_130 Depth=2
	s_and_not1_saveexec_b32 s10, s10
; %bb.156:                              ;   in Loop: Header=BB6_130 Depth=2
	v_mov_b64_e32 v[2:3], v[0:1]
	v_bfe_u32 v4, v0, 23, 1
; %bb.157:                              ;   in Loop: Header=BB6_130 Depth=2
	s_or_b32 exec_lo, exec_lo, s10
	s_delay_alu instid0(VALU_DEP_2) | instskip(NEXT) | instid1(VALU_DEP_2)
	v_lshrrev_b64 v[2:3], 21, v[2:3]
	v_cmp_gt_i32_e32 vcc_lo, 32, v4
	v_min_i32_e32 v0, 31, v4
	v_cmp_eq_u32_e64 s10, 0, v4
	s_delay_alu instid0(VALU_DEP_2) | instskip(SKIP_1) | instid1(VALU_DEP_2)
	v_dual_cndmask_b32 v3, 0, v3 :: v_dual_lshlrev_b32 v0, 2, v0
	v_cndmask_b32_e32 v2, 3, v2, vcc_lo
	v_and_b32_e32 v0, 0xfc, v0
	s_delay_alu instid0(VALU_DEP_2) | instskip(NEXT) | instid1(VALU_DEP_2)
	v_cmp_eq_u64_e32 vcc_lo, 0, v[2:3]
	v_and_or_b32 v0, v2, 3, v0
	s_and_b32 s10, s10, vcc_lo
	s_delay_alu instid0(VALU_DEP_1) | instid1(SALU_CYCLE_1)
	v_cndmask_b32_e64 v0, v0, 0, s10
	s_delay_alu instid0(VALU_DEP_1)
	v_or_b32_e32 v7, v0, v8
.LBB6_158:                              ;   in Loop: Header=BB6_130 Depth=2
	s_or_b32 exec_lo, exec_lo, s42
                                        ; implicit-def: $vgpr8
.LBB6_159:                              ;   in Loop: Header=BB6_130 Depth=2
	s_and_not1_saveexec_b32 s10, s41
; %bb.160:                              ;   in Loop: Header=BB6_130 Depth=2
	v_or_b32_e32 v7, 0x7b, v8
; %bb.161:                              ;   in Loop: Header=BB6_130 Depth=2
	s_or_b32 exec_lo, exec_lo, s10
                                        ; implicit-def: $vgpr2
                                        ; implicit-def: $vgpr3
.LBB6_162:                              ;   in Loop: Header=BB6_130 Depth=2
	s_and_not1_saveexec_b32 s10, s40
	s_cbranch_execz .LBB6_168
; %bb.163:                              ;   in Loop: Header=BB6_130 Depth=2
	s_mov_b32 s40, exec_lo
                                        ; implicit-def: $vgpr7
	v_cmpx_ne_u64_e32 0, v[0:1]
	s_xor_b32 s40, exec_lo, s40
; %bb.164:                              ;   in Loop: Header=BB6_130 Depth=2
	v_or_b32_e32 v7, 0x7f, v3
                                        ; implicit-def: $vgpr2
; %bb.165:                              ;   in Loop: Header=BB6_130 Depth=2
	s_and_not1_saveexec_b32 s40, s40
; %bb.166:                              ;   in Loop: Header=BB6_130 Depth=2
	v_cmp_lt_i32_e32 vcc_lo, -1, v2
	v_mov_b32_e32 v0, 0x7c
	s_delay_alu instid0(VALU_DEP_1)
	v_cndmask_b32_e32 v7, 0xfc, v0, vcc_lo
; %bb.167:                              ;   in Loop: Header=BB6_130 Depth=2
	s_or_b32 exec_lo, exec_lo, s40
.LBB6_168:                              ;   in Loop: Header=BB6_130 Depth=2
	s_delay_alu instid0(SALU_CYCLE_1) | instskip(SKIP_3) | instid1(VALU_DEP_2)
	s_or_b32 exec_lo, exec_lo, s10
	v_lshrrev_b16 v2, 8, v10
	v_mov_b32_e32 v3, 0
	s_mov_b32 s10, exec_lo
	v_cmpx_ne_u16_e32 0, v2
	s_cbranch_execz .LBB6_178
; %bb.169:                              ;   in Loop: Header=BB6_130 Depth=2
	v_bfrev_b32_e32 v3, 1
	s_mov_b32 s40, exec_lo
	v_cmpx_ne_u16_e32 0x80, v2
	s_cbranch_execz .LBB6_177
; %bb.170:                              ;   in Loop: Header=BB6_130 Depth=2
	v_and_b32_e32 v4, 0xffff, v2
	s_delay_alu instid0(VALU_DEP_1) | instskip(SKIP_1) | instid1(VALU_DEP_2)
	v_and_b32_e32 v3, 0x7c, v4
	v_and_b32_e32 v0, 3, v4
	v_cmp_ne_u32_e32 vcc_lo, 0x7c, v3
                                        ; implicit-def: $vgpr3
	s_and_saveexec_b32 s41, vcc_lo
	s_delay_alu instid0(SALU_CYCLE_1)
	s_xor_b32 s41, exec_lo, s41
	s_cbranch_execz .LBB6_174
; %bb.171:                              ;   in Loop: Header=BB6_130 Depth=2
	v_bfe_u32 v3, v4, 2, 5
	s_mov_b32 s42, exec_lo
	s_delay_alu instid0(VALU_DEP_1)
	v_cmpx_eq_u32_e32 0, v3
; %bb.172:                              ;   in Loop: Header=BB6_130 Depth=2
	v_clz_i32_u32_e32 v0, v0
	v_mov_b32_e32 v3, v1
	s_delay_alu instid0(VALU_DEP_2) | instskip(NEXT) | instid1(VALU_DEP_1)
	v_min_u32_e32 v0, 32, v0
	v_subrev_nc_u32_e32 v4, 29, v0
	s_delay_alu instid0(VALU_DEP_1) | instskip(NEXT) | instid1(VALU_DEP_1)
	v_lshlrev_b64_e32 v[2:3], v4, v[2:3]
	v_dual_sub_nc_u32 v3, 30, v0 :: v_dual_bitop2_b32 v0, 3, v2 bitop3:0x40
; %bb.173:                              ;   in Loop: Header=BB6_130 Depth=2
	s_or_b32 exec_lo, exec_lo, s42
	v_lshlrev_b32_e32 v2, 16, v10
	s_delay_alu instid0(VALU_DEP_1) | instskip(NEXT) | instid1(VALU_DEP_1)
	v_and_b32_e32 v2, 0x80000000, v2
	v_lshl_add_u32 v2, v3, 23, v2
	s_delay_alu instid0(VALU_DEP_1) | instskip(NEXT) | instid1(VALU_DEP_1)
	v_lshl_or_b32 v0, v0, 21, v2
	v_add_nc_u32_e32 v3, 0x38000000, v0
                                        ; implicit-def: $vgpr0
.LBB6_174:                              ;   in Loop: Header=BB6_130 Depth=2
	s_and_not1_saveexec_b32 s41, s41
; %bb.175:                              ;   in Loop: Header=BB6_130 Depth=2
	v_cmp_lt_i16_e32 vcc_lo, -1, v10
	v_mov_b32_e32 v2, 0x7f800000
	s_delay_alu instid0(VALU_DEP_1) | instskip(SKIP_1) | instid1(VALU_DEP_2)
	v_cndmask_b32_e32 v2, 0xff800000, v2, vcc_lo
	v_cmp_eq_u32_e32 vcc_lo, 0, v0
	v_cndmask_b32_e32 v3, 0x7f800001, v2, vcc_lo
; %bb.176:                              ;   in Loop: Header=BB6_130 Depth=2
	s_or_b32 exec_lo, exec_lo, s41
.LBB6_177:                              ;   in Loop: Header=BB6_130 Depth=2
	s_delay_alu instid0(SALU_CYCLE_1)
	s_or_b32 exec_lo, exec_lo, s40
.LBB6_178:                              ;   in Loop: Header=BB6_130 Depth=2
	s_delay_alu instid0(SALU_CYCLE_1) | instskip(NEXT) | instid1(VALU_DEP_1)
	s_or_b32 exec_lo, exec_lo, s10
	v_dual_mul_f32 v2, s29, v3 :: v_dual_mov_b32 v5, v1
                                        ; implicit-def: $vgpr9
	s_mov_b32 s10, exec_lo
	s_delay_alu instid0(VALU_DEP_1) | instskip(SKIP_2) | instid1(VALU_DEP_3)
	v_and_b32_e32 v4, 0x7f800000, v2
	v_and_b32_e32 v0, 0x7fffff, v2
	v_lshrrev_b32_e32 v3, 24, v2
	v_cmpx_ne_u64_e32 0x7f800000, v[4:5]
	s_xor_b32 s40, exec_lo, s10
	s_cbranch_execz .LBB6_192
; %bb.179:                              ;   in Loop: Header=BB6_130 Depth=2
	v_and_b32_e32 v4, 0x7fffffff, v2
	v_mov_b32_e32 v5, v1
	v_and_b32_e32 v8, 0x80, v3
                                        ; implicit-def: $vgpr9
	s_mov_b32 s10, exec_lo
	s_delay_alu instid0(VALU_DEP_2)
	v_cmpx_gt_u64_e32 0x47600001, v[4:5]
	s_xor_b32 s41, exec_lo, s10
	s_cbranch_execz .LBB6_189
; %bb.180:                              ;   in Loop: Header=BB6_130 Depth=2
	v_mov_b32_e32 v9, 0
	s_mov_b32 s42, exec_lo
	v_cmpx_ne_u32_e32 0, v2
	s_cbranch_execz .LBB6_188
; %bb.181:                              ;   in Loop: Header=BB6_130 Depth=2
	v_bfe_u32 v9, v2, 23, 8
	v_or_b32_e32 v4, 0x800000, v0
	s_mov_b32 s43, exec_lo
	s_delay_alu instid0(VALU_DEP_2) | instskip(SKIP_1) | instid1(VALU_DEP_2)
	v_dual_mov_b32 v5, v1 :: v_dual_sub_nc_u32 v2, 0x71, v9
	v_cmp_gt_u32_e32 vcc_lo, 0x72, v9
	v_cndmask_b32_e32 v2, 0, v2, vcc_lo
	v_cmp_eq_u32_e32 vcc_lo, 0, v9
	v_cndmask_b32_e32 v4, v4, v0, vcc_lo
	s_delay_alu instid0(VALU_DEP_3) | instskip(NEXT) | instid1(VALU_DEP_1)
	v_cndmask_b32_e64 v14, v2, 0x70, vcc_lo
	v_dual_add_nc_u32 v2, 21, v14 :: v_dual_add_nc_u32 v15, 20, v14
	s_delay_alu instid0(VALU_DEP_1) | instskip(NEXT) | instid1(VALU_DEP_2)
	v_lshlrev_b64_e64 v[2:3], v2, -1
	v_lshlrev_b64_e64 v[16:17], v15, 1
	s_delay_alu instid0(VALU_DEP_2) | instskip(NEXT) | instid1(VALU_DEP_3)
	v_bfi_b32 v19, v3, 0, 0
	v_bfi_b32 v18, v2, 0, v4
	v_lshrrev_b64 v[2:3], v14, v[4:5]
	s_delay_alu instid0(VALU_DEP_1) | instskip(NEXT) | instid1(VALU_DEP_3)
	v_mov_b64_e32 v[4:5], v[2:3]
	v_cmpx_eq_u64_e64 v[18:19], v[16:17]
; %bb.182:                              ;   in Loop: Header=BB6_130 Depth=2
	v_bfe_u32 v4, v2, 21, 1
	v_mov_b32_e32 v5, v1
	s_delay_alu instid0(VALU_DEP_1) | instskip(NEXT) | instid1(VALU_DEP_1)
	v_add_nc_u64_e32 v[4:5], v[2:3], v[4:5]
	v_add_nc_u64_e32 v[4:5], -1, v[4:5]
; %bb.183:                              ;   in Loop: Header=BB6_130 Depth=2
	s_or_b32 exec_lo, exec_lo, s43
	v_add_nc_u32_e32 v0, 0xffffff81, v9
	v_lshrrev_b32_e32 v3, 23, v2
	s_mov_b32 s10, exec_lo
	s_delay_alu instid0(VALU_DEP_2) | instskip(NEXT) | instid1(VALU_DEP_1)
	v_cndmask_b32_e64 v0, v0, 0xffffff82, vcc_lo
	v_add3_u32 v5, v14, v0, v3
	v_and_b32_e32 v0, 0x1fffff, v4
                                        ; implicit-def: $vgpr4
	s_delay_alu instid0(VALU_DEP_1) | instskip(NEXT) | instid1(VALU_DEP_1)
	v_dual_add_nc_u32 v9, 14, v5 :: v_dual_add_nc_u32 v0, v0, v2
                                        ; implicit-def: $vgpr2_vgpr3
	v_cmpx_ne_u32_e32 0, v9
	s_xor_b32 s10, exec_lo, s10
; %bb.184:                              ;   in Loop: Header=BB6_130 Depth=2
	s_delay_alu instid0(VALU_DEP_2) | instskip(SKIP_1) | instid1(VALU_DEP_1)
	v_cmp_lt_u64_e32 vcc_lo, 0xffffff, v[0:1]
	v_add_nc_u32_e32 v2, 15, v5
	v_cndmask_b32_e32 v4, v9, v2, vcc_lo
	v_cndmask_b32_e64 v2, 0, 1, vcc_lo
	s_delay_alu instid0(VALU_DEP_1)
	v_lshrrev_b64 v[2:3], v2, v[0:1]
; %bb.185:                              ;   in Loop: Header=BB6_130 Depth=2
	s_and_not1_saveexec_b32 s10, s10
; %bb.186:                              ;   in Loop: Header=BB6_130 Depth=2
	v_mov_b64_e32 v[2:3], v[0:1]
	v_bfe_u32 v4, v0, 23, 1
; %bb.187:                              ;   in Loop: Header=BB6_130 Depth=2
	s_or_b32 exec_lo, exec_lo, s10
	s_delay_alu instid0(VALU_DEP_2) | instskip(NEXT) | instid1(VALU_DEP_2)
	v_lshrrev_b64 v[2:3], 21, v[2:3]
	v_cmp_gt_i32_e32 vcc_lo, 32, v4
	v_min_i32_e32 v0, 31, v4
	v_cmp_eq_u32_e64 s10, 0, v4
	s_delay_alu instid0(VALU_DEP_2) | instskip(SKIP_1) | instid1(VALU_DEP_2)
	v_dual_cndmask_b32 v3, 0, v3 :: v_dual_lshlrev_b32 v0, 2, v0
	v_cndmask_b32_e32 v2, 3, v2, vcc_lo
	v_and_b32_e32 v0, 0xfc, v0
	s_delay_alu instid0(VALU_DEP_2) | instskip(NEXT) | instid1(VALU_DEP_2)
	v_cmp_eq_u64_e32 vcc_lo, 0, v[2:3]
	v_and_or_b32 v0, v2, 3, v0
	s_and_b32 s10, s10, vcc_lo
	s_delay_alu instid0(VALU_DEP_1) | instid1(SALU_CYCLE_1)
	v_cndmask_b32_e64 v0, v0, 0, s10
	s_delay_alu instid0(VALU_DEP_1)
	v_or_b32_e32 v9, v0, v8
.LBB6_188:                              ;   in Loop: Header=BB6_130 Depth=2
	s_or_b32 exec_lo, exec_lo, s42
                                        ; implicit-def: $vgpr8
.LBB6_189:                              ;   in Loop: Header=BB6_130 Depth=2
	s_and_not1_saveexec_b32 s10, s41
; %bb.190:                              ;   in Loop: Header=BB6_130 Depth=2
	v_or_b32_e32 v9, 0x7b, v8
; %bb.191:                              ;   in Loop: Header=BB6_130 Depth=2
	s_or_b32 exec_lo, exec_lo, s10
                                        ; implicit-def: $vgpr2
                                        ; implicit-def: $vgpr3
.LBB6_192:                              ;   in Loop: Header=BB6_130 Depth=2
	s_and_not1_saveexec_b32 s10, s40
	s_cbranch_execz .LBB6_198
; %bb.193:                              ;   in Loop: Header=BB6_130 Depth=2
	s_mov_b32 s40, exec_lo
                                        ; implicit-def: $vgpr9
	v_cmpx_ne_u64_e32 0, v[0:1]
	s_xor_b32 s40, exec_lo, s40
; %bb.194:                              ;   in Loop: Header=BB6_130 Depth=2
	v_or_b32_e32 v9, 0x7f, v3
                                        ; implicit-def: $vgpr2
; %bb.195:                              ;   in Loop: Header=BB6_130 Depth=2
	s_and_not1_saveexec_b32 s40, s40
; %bb.196:                              ;   in Loop: Header=BB6_130 Depth=2
	v_cmp_lt_i32_e32 vcc_lo, -1, v2
	v_mov_b32_e32 v0, 0x7c
	s_delay_alu instid0(VALU_DEP_1)
	v_cndmask_b32_e32 v9, 0xfc, v0, vcc_lo
; %bb.197:                              ;   in Loop: Header=BB6_130 Depth=2
	s_or_b32 exec_lo, exec_lo, s40
.LBB6_198:                              ;   in Loop: Header=BB6_130 Depth=2
	s_delay_alu instid0(SALU_CYCLE_1) | instskip(SKIP_2) | instid1(VALU_DEP_1)
	s_or_b32 exec_lo, exec_lo, s10
	v_dual_lshrrev_b32 v0, 16, v10 :: v_dual_mov_b32 v2, 0
	s_mov_b32 s10, exec_lo
	v_and_b32_e32 v3, 0xff, v0
	s_delay_alu instid0(VALU_DEP_1)
	v_cmpx_ne_u16_e32 0, v3
	s_cbranch_execz .LBB6_208
; %bb.199:                              ;   in Loop: Header=BB6_130 Depth=2
	v_bfrev_b32_e32 v2, 1
	s_mov_b32 s40, exec_lo
	v_cmpx_ne_u16_e32 0x80, v3
	s_cbranch_execz .LBB6_207
; %bb.200:                              ;   in Loop: Header=BB6_130 Depth=2
	v_and_b32_e32 v2, 0x7c0000, v10
	v_bfe_u32 v3, v10, 16, 2
	s_delay_alu instid0(VALU_DEP_2) | instskip(SKIP_1) | instid1(SALU_CYCLE_1)
	v_cmp_ne_u32_e32 vcc_lo, 0x7c0000, v2
                                        ; implicit-def: $vgpr2
	s_and_saveexec_b32 s41, vcc_lo
	s_xor_b32 s41, exec_lo, s41
	s_cbranch_execz .LBB6_204
; %bb.201:                              ;   in Loop: Header=BB6_130 Depth=2
	v_bfe_u32 v2, v10, 18, 5
	s_mov_b32 s42, exec_lo
	s_delay_alu instid0(VALU_DEP_1)
	v_cmpx_eq_u32_e32 0, v2
; %bb.202:                              ;   in Loop: Header=BB6_130 Depth=2
	v_clz_i32_u32_e32 v2, v3
	s_delay_alu instid0(VALU_DEP_1) | instskip(NEXT) | instid1(VALU_DEP_1)
	v_min_u32_e32 v2, 32, v2
	v_subrev_nc_u32_e32 v3, 29, v2
	s_delay_alu instid0(VALU_DEP_1) | instskip(NEXT) | instid1(VALU_DEP_1)
	v_lshlrev_b64_e32 v[4:5], v3, v[0:1]
	v_dual_sub_nc_u32 v2, 30, v2 :: v_dual_bitop2_b32 v3, 3, v4 bitop3:0x40
; %bb.203:                              ;   in Loop: Header=BB6_130 Depth=2
	s_or_b32 exec_lo, exec_lo, s42
	v_lshlrev_b32_e32 v0, 24, v0
	s_delay_alu instid0(VALU_DEP_1) | instskip(NEXT) | instid1(VALU_DEP_1)
	v_and_b32_e32 v0, 0x80000000, v0
	v_lshl_add_u32 v0, v2, 23, v0
	s_delay_alu instid0(VALU_DEP_1) | instskip(NEXT) | instid1(VALU_DEP_1)
	v_lshl_or_b32 v0, v3, 21, v0
                                        ; implicit-def: $vgpr3
	v_add_nc_u32_e32 v2, 0x38000000, v0
                                        ; implicit-def: $vgpr0
.LBB6_204:                              ;   in Loop: Header=BB6_130 Depth=2
	s_and_not1_saveexec_b32 s41, s41
; %bb.205:                              ;   in Loop: Header=BB6_130 Depth=2
	v_bfe_i32 v0, v0, 0, 8
	s_delay_alu instid0(VALU_DEP_1) | instskip(SKIP_1) | instid1(VALU_DEP_1)
	v_cmp_lt_i16_e32 vcc_lo, -1, v0
	v_mov_b32_e32 v0, 0x7f800000
	v_cndmask_b32_e32 v0, 0xff800000, v0, vcc_lo
	v_cmp_eq_u32_e32 vcc_lo, 0, v3
	s_delay_alu instid0(VALU_DEP_2)
	v_cndmask_b32_e32 v2, 0x7f800001, v0, vcc_lo
; %bb.206:                              ;   in Loop: Header=BB6_130 Depth=2
	s_or_b32 exec_lo, exec_lo, s41
.LBB6_207:                              ;   in Loop: Header=BB6_130 Depth=2
	s_delay_alu instid0(SALU_CYCLE_1)
	s_or_b32 exec_lo, exec_lo, s40
.LBB6_208:                              ;   in Loop: Header=BB6_130 Depth=2
	s_delay_alu instid0(SALU_CYCLE_1) | instskip(NEXT) | instid1(VALU_DEP_1)
	s_or_b32 exec_lo, exec_lo, s10
	v_dual_mul_f32 v2, s29, v2 :: v_dual_mov_b32 v5, v1
                                        ; implicit-def: $vgpr28
	s_mov_b32 s10, exec_lo
	s_delay_alu instid0(VALU_DEP_1) | instskip(SKIP_2) | instid1(VALU_DEP_3)
	v_and_b32_e32 v4, 0x7f800000, v2
	v_and_b32_e32 v0, 0x7fffff, v2
	v_lshrrev_b32_e32 v3, 24, v2
	v_cmpx_ne_u64_e32 0x7f800000, v[4:5]
	s_xor_b32 s40, exec_lo, s10
	s_cbranch_execz .LBB6_222
; %bb.209:                              ;   in Loop: Header=BB6_130 Depth=2
	v_and_b32_e32 v4, 0x7fffffff, v2
	v_mov_b32_e32 v5, v1
	v_and_b32_e32 v8, 0x80, v3
                                        ; implicit-def: $vgpr28
	s_mov_b32 s10, exec_lo
	s_delay_alu instid0(VALU_DEP_2)
	v_cmpx_gt_u64_e32 0x47600001, v[4:5]
	s_xor_b32 s41, exec_lo, s10
	s_cbranch_execz .LBB6_219
; %bb.210:                              ;   in Loop: Header=BB6_130 Depth=2
	v_mov_b32_e32 v28, 0
	s_mov_b32 s42, exec_lo
	v_cmpx_ne_u32_e32 0, v2
	s_cbranch_execz .LBB6_218
; %bb.211:                              ;   in Loop: Header=BB6_130 Depth=2
	v_bfe_u32 v14, v2, 23, 8
	v_or_b32_e32 v4, 0x800000, v0
	s_mov_b32 s43, exec_lo
	s_delay_alu instid0(VALU_DEP_2) | instskip(SKIP_1) | instid1(VALU_DEP_2)
	v_dual_mov_b32 v5, v1 :: v_dual_sub_nc_u32 v2, 0x71, v14
	v_cmp_gt_u32_e32 vcc_lo, 0x72, v14
	v_cndmask_b32_e32 v2, 0, v2, vcc_lo
	v_cmp_eq_u32_e32 vcc_lo, 0, v14
	s_delay_alu instid0(VALU_DEP_2) | instskip(NEXT) | instid1(VALU_DEP_1)
	v_cndmask_b32_e64 v15, v2, 0x70, vcc_lo
	v_dual_cndmask_b32 v4, v4, v0, vcc_lo :: v_dual_add_nc_u32 v2, 21, v15
	v_add_nc_u32_e32 v16, 20, v15
	s_delay_alu instid0(VALU_DEP_2) | instskip(NEXT) | instid1(VALU_DEP_2)
	v_lshlrev_b64_e64 v[2:3], v2, -1
	v_lshlrev_b64_e64 v[16:17], v16, 1
	s_delay_alu instid0(VALU_DEP_2) | instskip(NEXT) | instid1(VALU_DEP_3)
	v_bfi_b32 v19, v3, 0, 0
	v_bfi_b32 v18, v2, 0, v4
	v_lshrrev_b64 v[2:3], v15, v[4:5]
	s_delay_alu instid0(VALU_DEP_1) | instskip(NEXT) | instid1(VALU_DEP_3)
	v_mov_b64_e32 v[4:5], v[2:3]
	v_cmpx_eq_u64_e64 v[18:19], v[16:17]
; %bb.212:                              ;   in Loop: Header=BB6_130 Depth=2
	v_bfe_u32 v4, v2, 21, 1
	v_mov_b32_e32 v5, v1
	s_delay_alu instid0(VALU_DEP_1) | instskip(NEXT) | instid1(VALU_DEP_1)
	v_add_nc_u64_e32 v[4:5], v[2:3], v[4:5]
	v_add_nc_u64_e32 v[4:5], -1, v[4:5]
; %bb.213:                              ;   in Loop: Header=BB6_130 Depth=2
	s_or_b32 exec_lo, exec_lo, s43
	v_add_nc_u32_e32 v0, 0xffffff81, v14
	v_lshrrev_b32_e32 v3, 23, v2
	s_mov_b32 s10, exec_lo
	s_delay_alu instid0(VALU_DEP_2) | instskip(NEXT) | instid1(VALU_DEP_1)
	v_cndmask_b32_e64 v0, v0, 0xffffff82, vcc_lo
	v_add3_u32 v5, v15, v0, v3
	v_and_b32_e32 v0, 0x1fffff, v4
                                        ; implicit-def: $vgpr4
	s_delay_alu instid0(VALU_DEP_1) | instskip(NEXT) | instid1(VALU_DEP_1)
	v_dual_add_nc_u32 v14, 14, v5 :: v_dual_add_nc_u32 v0, v0, v2
                                        ; implicit-def: $vgpr2_vgpr3
	v_cmpx_ne_u32_e32 0, v14
	s_xor_b32 s10, exec_lo, s10
; %bb.214:                              ;   in Loop: Header=BB6_130 Depth=2
	s_delay_alu instid0(VALU_DEP_2) | instskip(SKIP_1) | instid1(VALU_DEP_1)
	v_cmp_lt_u64_e32 vcc_lo, 0xffffff, v[0:1]
	v_add_nc_u32_e32 v2, 15, v5
	v_cndmask_b32_e32 v4, v14, v2, vcc_lo
	v_cndmask_b32_e64 v2, 0, 1, vcc_lo
	s_delay_alu instid0(VALU_DEP_1)
	v_lshrrev_b64 v[2:3], v2, v[0:1]
; %bb.215:                              ;   in Loop: Header=BB6_130 Depth=2
	s_and_not1_saveexec_b32 s10, s10
; %bb.216:                              ;   in Loop: Header=BB6_130 Depth=2
	v_mov_b64_e32 v[2:3], v[0:1]
	v_bfe_u32 v4, v0, 23, 1
; %bb.217:                              ;   in Loop: Header=BB6_130 Depth=2
	s_or_b32 exec_lo, exec_lo, s10
	s_delay_alu instid0(VALU_DEP_2) | instskip(NEXT) | instid1(VALU_DEP_2)
	v_lshrrev_b64 v[2:3], 21, v[2:3]
	v_cmp_gt_i32_e32 vcc_lo, 32, v4
	v_min_i32_e32 v0, 31, v4
	v_cmp_eq_u32_e64 s10, 0, v4
	s_delay_alu instid0(VALU_DEP_2) | instskip(SKIP_1) | instid1(VALU_DEP_2)
	v_dual_cndmask_b32 v3, 0, v3 :: v_dual_lshlrev_b32 v0, 2, v0
	v_cndmask_b32_e32 v2, 3, v2, vcc_lo
	v_and_b32_e32 v0, 0xfc, v0
	s_delay_alu instid0(VALU_DEP_2) | instskip(NEXT) | instid1(VALU_DEP_2)
	v_cmp_eq_u64_e32 vcc_lo, 0, v[2:3]
	v_and_or_b32 v0, v2, 3, v0
	s_and_b32 s10, s10, vcc_lo
	s_delay_alu instid0(VALU_DEP_1) | instid1(SALU_CYCLE_1)
	v_cndmask_b32_e64 v0, v0, 0, s10
	s_delay_alu instid0(VALU_DEP_1)
	v_or_b32_e32 v28, v0, v8
.LBB6_218:                              ;   in Loop: Header=BB6_130 Depth=2
	s_or_b32 exec_lo, exec_lo, s42
                                        ; implicit-def: $vgpr8
.LBB6_219:                              ;   in Loop: Header=BB6_130 Depth=2
	s_and_not1_saveexec_b32 s10, s41
; %bb.220:                              ;   in Loop: Header=BB6_130 Depth=2
	v_or_b32_e32 v28, 0x7b, v8
; %bb.221:                              ;   in Loop: Header=BB6_130 Depth=2
	s_or_b32 exec_lo, exec_lo, s10
                                        ; implicit-def: $vgpr2
                                        ; implicit-def: $vgpr3
.LBB6_222:                              ;   in Loop: Header=BB6_130 Depth=2
	s_and_not1_saveexec_b32 s10, s40
	s_cbranch_execz .LBB6_228
; %bb.223:                              ;   in Loop: Header=BB6_130 Depth=2
	s_mov_b32 s40, exec_lo
                                        ; implicit-def: $vgpr28
	v_cmpx_ne_u64_e32 0, v[0:1]
	s_xor_b32 s40, exec_lo, s40
; %bb.224:                              ;   in Loop: Header=BB6_130 Depth=2
	v_or_b32_e32 v28, 0x7f, v3
                                        ; implicit-def: $vgpr2
; %bb.225:                              ;   in Loop: Header=BB6_130 Depth=2
	s_and_not1_saveexec_b32 s40, s40
; %bb.226:                              ;   in Loop: Header=BB6_130 Depth=2
	v_cmp_lt_i32_e32 vcc_lo, -1, v2
	v_mov_b32_e32 v0, 0x7c
	s_delay_alu instid0(VALU_DEP_1)
	v_cndmask_b32_e32 v28, 0xfc, v0, vcc_lo
; %bb.227:                              ;   in Loop: Header=BB6_130 Depth=2
	s_or_b32 exec_lo, exec_lo, s40
.LBB6_228:                              ;   in Loop: Header=BB6_130 Depth=2
	s_delay_alu instid0(SALU_CYCLE_1)
	s_or_b32 exec_lo, exec_lo, s10
	v_mov_b32_e32 v2, 0
	s_mov_b32 s10, exec_lo
	v_cmpx_lt_u32_e32 0xffffff, v10
	s_cbranch_execz .LBB6_238
; %bb.229:                              ;   in Loop: Header=BB6_130 Depth=2
	v_lshrrev_b32_e32 v0, 24, v10
	v_bfrev_b32_e32 v2, 1
	s_mov_b32 s40, exec_lo
	s_delay_alu instid0(VALU_DEP_2)
	v_cmpx_ne_u32_e32 0x80, v0
	s_cbranch_execz .LBB6_237
; %bb.230:                              ;   in Loop: Header=BB6_130 Depth=2
	v_and_b32_e32 v2, 0x7c000000, v10
	v_bfe_u32 v3, v10, 24, 2
	s_delay_alu instid0(VALU_DEP_2) | instskip(SKIP_1) | instid1(SALU_CYCLE_1)
	v_cmp_ne_u32_e32 vcc_lo, 0x7c000000, v2
                                        ; implicit-def: $vgpr2
	s_and_saveexec_b32 s41, vcc_lo
	s_xor_b32 s41, exec_lo, s41
	s_cbranch_execz .LBB6_234
; %bb.231:                              ;   in Loop: Header=BB6_130 Depth=2
	v_bfe_u32 v2, v10, 26, 5
	s_mov_b32 s42, exec_lo
	s_delay_alu instid0(VALU_DEP_1)
	v_cmpx_eq_u32_e32 0, v2
; %bb.232:                              ;   in Loop: Header=BB6_130 Depth=2
	v_clz_i32_u32_e32 v2, v3
	s_delay_alu instid0(VALU_DEP_1) | instskip(NEXT) | instid1(VALU_DEP_1)
	v_min_u32_e32 v2, 32, v2
	v_subrev_nc_u32_e32 v3, 29, v2
	s_delay_alu instid0(VALU_DEP_1) | instskip(NEXT) | instid1(VALU_DEP_1)
	v_lshlrev_b64_e32 v[4:5], v3, v[0:1]
	v_dual_sub_nc_u32 v2, 30, v2 :: v_dual_bitop2_b32 v3, 3, v4 bitop3:0x40
; %bb.233:                              ;   in Loop: Header=BB6_130 Depth=2
	s_or_b32 exec_lo, exec_lo, s42
	v_and_b32_e32 v0, 0x80000000, v10
	s_delay_alu instid0(VALU_DEP_1) | instskip(NEXT) | instid1(VALU_DEP_1)
	v_lshl_add_u32 v0, v2, 23, v0
	v_lshl_or_b32 v0, v3, 21, v0
                                        ; implicit-def: $vgpr3
	s_delay_alu instid0(VALU_DEP_1)
	v_add_nc_u32_e32 v2, 0x38000000, v0
.LBB6_234:                              ;   in Loop: Header=BB6_130 Depth=2
	s_and_not1_saveexec_b32 s41, s41
; %bb.235:                              ;   in Loop: Header=BB6_130 Depth=2
	v_cmp_lt_i32_e32 vcc_lo, -1, v10
	v_mov_b32_e32 v0, 0x7f800000
	s_delay_alu instid0(VALU_DEP_1) | instskip(SKIP_1) | instid1(VALU_DEP_2)
	v_cndmask_b32_e32 v0, 0xff800000, v0, vcc_lo
	v_cmp_eq_u32_e32 vcc_lo, 0, v3
	v_cndmask_b32_e32 v2, 0x7f800001, v0, vcc_lo
; %bb.236:                              ;   in Loop: Header=BB6_130 Depth=2
	s_or_b32 exec_lo, exec_lo, s41
.LBB6_237:                              ;   in Loop: Header=BB6_130 Depth=2
	s_delay_alu instid0(SALU_CYCLE_1)
	s_or_b32 exec_lo, exec_lo, s40
.LBB6_238:                              ;   in Loop: Header=BB6_130 Depth=2
	s_delay_alu instid0(SALU_CYCLE_1) | instskip(NEXT) | instid1(VALU_DEP_1)
	s_or_b32 exec_lo, exec_lo, s10
	v_dual_mul_f32 v2, s29, v2 :: v_dual_mov_b32 v5, v1
                                        ; implicit-def: $vgpr32
	s_mov_b32 s10, exec_lo
	s_delay_alu instid0(VALU_DEP_1) | instskip(SKIP_2) | instid1(VALU_DEP_3)
	v_and_b32_e32 v4, 0x7f800000, v2
	v_and_b32_e32 v0, 0x7fffff, v2
	v_lshrrev_b32_e32 v3, 24, v2
	v_cmpx_ne_u64_e32 0x7f800000, v[4:5]
	s_xor_b32 s40, exec_lo, s10
	s_cbranch_execz .LBB6_252
; %bb.239:                              ;   in Loop: Header=BB6_130 Depth=2
	v_and_b32_e32 v4, 0x7fffffff, v2
	v_mov_b32_e32 v5, v1
	v_and_b32_e32 v8, 0x80, v3
                                        ; implicit-def: $vgpr32
	s_mov_b32 s10, exec_lo
	s_delay_alu instid0(VALU_DEP_2)
	v_cmpx_gt_u64_e32 0x47600001, v[4:5]
	s_xor_b32 s41, exec_lo, s10
	s_cbranch_execz .LBB6_249
; %bb.240:                              ;   in Loop: Header=BB6_130 Depth=2
	v_mov_b32_e32 v32, 0
	s_mov_b32 s42, exec_lo
	v_cmpx_ne_u32_e32 0, v2
	s_cbranch_execz .LBB6_248
; %bb.241:                              ;   in Loop: Header=BB6_130 Depth=2
	v_bfe_u32 v14, v2, 23, 8
	v_or_b32_e32 v4, 0x800000, v0
	s_mov_b32 s43, exec_lo
	s_delay_alu instid0(VALU_DEP_2) | instskip(SKIP_1) | instid1(VALU_DEP_2)
	v_dual_mov_b32 v5, v1 :: v_dual_sub_nc_u32 v2, 0x71, v14
	v_cmp_gt_u32_e32 vcc_lo, 0x72, v14
	v_cndmask_b32_e32 v2, 0, v2, vcc_lo
	v_cmp_eq_u32_e32 vcc_lo, 0, v14
	s_delay_alu instid0(VALU_DEP_2) | instskip(NEXT) | instid1(VALU_DEP_1)
	v_cndmask_b32_e64 v15, v2, 0x70, vcc_lo
	v_dual_cndmask_b32 v4, v4, v0, vcc_lo :: v_dual_add_nc_u32 v2, 21, v15
	v_add_nc_u32_e32 v16, 20, v15
	s_delay_alu instid0(VALU_DEP_2) | instskip(NEXT) | instid1(VALU_DEP_2)
	v_lshlrev_b64_e64 v[2:3], v2, -1
	v_lshlrev_b64_e64 v[16:17], v16, 1
	s_delay_alu instid0(VALU_DEP_2) | instskip(NEXT) | instid1(VALU_DEP_3)
	v_bfi_b32 v19, v3, 0, 0
	v_bfi_b32 v18, v2, 0, v4
	v_lshrrev_b64 v[2:3], v15, v[4:5]
	s_delay_alu instid0(VALU_DEP_1) | instskip(NEXT) | instid1(VALU_DEP_3)
	v_mov_b64_e32 v[4:5], v[2:3]
	v_cmpx_eq_u64_e64 v[18:19], v[16:17]
; %bb.242:                              ;   in Loop: Header=BB6_130 Depth=2
	v_bfe_u32 v4, v2, 21, 1
	v_mov_b32_e32 v5, v1
	s_delay_alu instid0(VALU_DEP_1) | instskip(NEXT) | instid1(VALU_DEP_1)
	v_add_nc_u64_e32 v[4:5], v[2:3], v[4:5]
	v_add_nc_u64_e32 v[4:5], -1, v[4:5]
; %bb.243:                              ;   in Loop: Header=BB6_130 Depth=2
	s_or_b32 exec_lo, exec_lo, s43
	v_add_nc_u32_e32 v0, 0xffffff81, v14
	v_lshrrev_b32_e32 v3, 23, v2
	s_mov_b32 s10, exec_lo
	s_delay_alu instid0(VALU_DEP_2) | instskip(NEXT) | instid1(VALU_DEP_1)
	v_cndmask_b32_e64 v0, v0, 0xffffff82, vcc_lo
	v_add3_u32 v5, v15, v0, v3
	v_and_b32_e32 v0, 0x1fffff, v4
                                        ; implicit-def: $vgpr4
	s_delay_alu instid0(VALU_DEP_1) | instskip(NEXT) | instid1(VALU_DEP_1)
	v_dual_add_nc_u32 v14, 14, v5 :: v_dual_add_nc_u32 v0, v0, v2
                                        ; implicit-def: $vgpr2_vgpr3
	v_cmpx_ne_u32_e32 0, v14
	s_xor_b32 s10, exec_lo, s10
; %bb.244:                              ;   in Loop: Header=BB6_130 Depth=2
	s_delay_alu instid0(VALU_DEP_2) | instskip(SKIP_1) | instid1(VALU_DEP_1)
	v_cmp_lt_u64_e32 vcc_lo, 0xffffff, v[0:1]
	v_add_nc_u32_e32 v2, 15, v5
	v_cndmask_b32_e32 v4, v14, v2, vcc_lo
	v_cndmask_b32_e64 v2, 0, 1, vcc_lo
	s_delay_alu instid0(VALU_DEP_1)
	v_lshrrev_b64 v[2:3], v2, v[0:1]
; %bb.245:                              ;   in Loop: Header=BB6_130 Depth=2
	s_and_not1_saveexec_b32 s10, s10
; %bb.246:                              ;   in Loop: Header=BB6_130 Depth=2
	v_mov_b64_e32 v[2:3], v[0:1]
	v_bfe_u32 v4, v0, 23, 1
; %bb.247:                              ;   in Loop: Header=BB6_130 Depth=2
	s_or_b32 exec_lo, exec_lo, s10
	s_delay_alu instid0(VALU_DEP_2) | instskip(NEXT) | instid1(VALU_DEP_2)
	v_lshrrev_b64 v[2:3], 21, v[2:3]
	v_cmp_gt_i32_e32 vcc_lo, 32, v4
	v_min_i32_e32 v0, 31, v4
	v_cmp_eq_u32_e64 s10, 0, v4
	s_delay_alu instid0(VALU_DEP_2) | instskip(SKIP_1) | instid1(VALU_DEP_2)
	v_dual_cndmask_b32 v3, 0, v3 :: v_dual_lshlrev_b32 v0, 2, v0
	v_cndmask_b32_e32 v2, 3, v2, vcc_lo
	v_and_b32_e32 v0, 0xfc, v0
	s_delay_alu instid0(VALU_DEP_2) | instskip(NEXT) | instid1(VALU_DEP_2)
	v_cmp_eq_u64_e32 vcc_lo, 0, v[2:3]
	v_and_or_b32 v0, v2, 3, v0
	s_and_b32 s10, s10, vcc_lo
	s_delay_alu instid0(VALU_DEP_1) | instid1(SALU_CYCLE_1)
	v_cndmask_b32_e64 v0, v0, 0, s10
	s_delay_alu instid0(VALU_DEP_1)
	v_or_b32_e32 v32, v0, v8
.LBB6_248:                              ;   in Loop: Header=BB6_130 Depth=2
	s_or_b32 exec_lo, exec_lo, s42
                                        ; implicit-def: $vgpr8
.LBB6_249:                              ;   in Loop: Header=BB6_130 Depth=2
	s_and_not1_saveexec_b32 s10, s41
; %bb.250:                              ;   in Loop: Header=BB6_130 Depth=2
	v_or_b32_e32 v32, 0x7b, v8
; %bb.251:                              ;   in Loop: Header=BB6_130 Depth=2
	s_or_b32 exec_lo, exec_lo, s10
                                        ; implicit-def: $vgpr2
                                        ; implicit-def: $vgpr3
.LBB6_252:                              ;   in Loop: Header=BB6_130 Depth=2
	s_and_not1_saveexec_b32 s10, s40
	s_cbranch_execz .LBB6_258
; %bb.253:                              ;   in Loop: Header=BB6_130 Depth=2
	s_mov_b32 s40, exec_lo
                                        ; implicit-def: $vgpr32
	v_cmpx_ne_u64_e32 0, v[0:1]
	s_xor_b32 s40, exec_lo, s40
; %bb.254:                              ;   in Loop: Header=BB6_130 Depth=2
	v_or_b32_e32 v32, 0x7f, v3
                                        ; implicit-def: $vgpr2
; %bb.255:                              ;   in Loop: Header=BB6_130 Depth=2
	s_and_not1_saveexec_b32 s40, s40
; %bb.256:                              ;   in Loop: Header=BB6_130 Depth=2
	v_cmp_lt_i32_e32 vcc_lo, -1, v2
	v_mov_b32_e32 v0, 0x7c
	s_delay_alu instid0(VALU_DEP_1)
	v_cndmask_b32_e32 v32, 0xfc, v0, vcc_lo
; %bb.257:                              ;   in Loop: Header=BB6_130 Depth=2
	s_or_b32 exec_lo, exec_lo, s40
.LBB6_258:                              ;   in Loop: Header=BB6_130 Depth=2
	s_delay_alu instid0(SALU_CYCLE_1) | instskip(SKIP_3) | instid1(VALU_DEP_2)
	s_or_b32 exec_lo, exec_lo, s10
	v_and_b32_e32 v3, 0xff, v11
	v_dual_mov_b32 v0, v11 :: v_dual_mov_b32 v2, 0
	s_mov_b32 s10, exec_lo
	v_cmpx_ne_u16_e32 0, v3
	s_cbranch_execz .LBB6_268
; %bb.259:                              ;   in Loop: Header=BB6_130 Depth=2
	v_bfrev_b32_e32 v2, 1
	s_mov_b32 s40, exec_lo
	v_cmpx_ne_u16_e32 0x80, v3
	s_cbranch_execz .LBB6_267
; %bb.260:                              ;   in Loop: Header=BB6_130 Depth=2
	v_and_b32_e32 v2, 0x7c, v11
	v_and_b32_e32 v3, 3, v11
	s_delay_alu instid0(VALU_DEP_2) | instskip(SKIP_1) | instid1(SALU_CYCLE_1)
	v_cmp_ne_u32_e32 vcc_lo, 0x7c, v2
                                        ; implicit-def: $vgpr2
	s_and_saveexec_b32 s41, vcc_lo
	s_xor_b32 s41, exec_lo, s41
	s_cbranch_execz .LBB6_264
; %bb.261:                              ;   in Loop: Header=BB6_130 Depth=2
	v_bfe_u32 v2, v11, 2, 5
	s_mov_b32 s42, exec_lo
	s_delay_alu instid0(VALU_DEP_1)
	v_cmpx_eq_u32_e32 0, v2
; %bb.262:                              ;   in Loop: Header=BB6_130 Depth=2
	v_clz_i32_u32_e32 v2, v3
	s_delay_alu instid0(VALU_DEP_1) | instskip(NEXT) | instid1(VALU_DEP_1)
	v_min_u32_e32 v2, 32, v2
	v_subrev_nc_u32_e32 v3, 29, v2
	s_delay_alu instid0(VALU_DEP_1) | instskip(NEXT) | instid1(VALU_DEP_1)
	v_lshlrev_b64_e32 v[4:5], v3, v[0:1]
	v_dual_sub_nc_u32 v2, 30, v2 :: v_dual_bitop2_b32 v3, 3, v4 bitop3:0x40
; %bb.263:                              ;   in Loop: Header=BB6_130 Depth=2
	s_or_b32 exec_lo, exec_lo, s42
	v_lshlrev_b32_e32 v4, 24, v11
	s_delay_alu instid0(VALU_DEP_1) | instskip(NEXT) | instid1(VALU_DEP_1)
	v_and_b32_e32 v4, 0x80000000, v4
	v_lshl_add_u32 v2, v2, 23, v4
	s_delay_alu instid0(VALU_DEP_1) | instskip(NEXT) | instid1(VALU_DEP_1)
	v_lshl_or_b32 v2, v3, 21, v2
                                        ; implicit-def: $vgpr3
	v_add_nc_u32_e32 v2, 0x38000000, v2
.LBB6_264:                              ;   in Loop: Header=BB6_130 Depth=2
	s_and_not1_saveexec_b32 s41, s41
; %bb.265:                              ;   in Loop: Header=BB6_130 Depth=2
	v_bfe_i32 v2, v11, 0, 8
	s_delay_alu instid0(VALU_DEP_1) | instskip(SKIP_1) | instid1(VALU_DEP_1)
	v_cmp_lt_i16_e32 vcc_lo, -1, v2
	v_mov_b32_e32 v2, 0x7f800000
	v_cndmask_b32_e32 v2, 0xff800000, v2, vcc_lo
	v_cmp_eq_u32_e32 vcc_lo, 0, v3
	s_delay_alu instid0(VALU_DEP_2)
	v_cndmask_b32_e32 v2, 0x7f800001, v2, vcc_lo
; %bb.266:                              ;   in Loop: Header=BB6_130 Depth=2
	s_or_b32 exec_lo, exec_lo, s41
.LBB6_267:                              ;   in Loop: Header=BB6_130 Depth=2
	s_delay_alu instid0(SALU_CYCLE_1)
	s_or_b32 exec_lo, exec_lo, s40
.LBB6_268:                              ;   in Loop: Header=BB6_130 Depth=2
	s_delay_alu instid0(SALU_CYCLE_1) | instskip(NEXT) | instid1(VALU_DEP_1)
	s_or_b32 exec_lo, exec_lo, s10
	v_dual_mul_f32 v4, s29, v2 :: v_dual_mov_b32 v15, v1
	v_mov_b32_e32 v3, v1
                                        ; implicit-def: $vgpr48
	s_mov_b32 s10, exec_lo
	s_delay_alu instid0(VALU_DEP_2) | instskip(SKIP_2) | instid1(VALU_DEP_3)
	v_and_b32_e32 v14, 0x7f800000, v4
	v_and_b32_e32 v2, 0x7fffff, v4
	v_lshrrev_b32_e32 v5, 24, v4
	v_cmpx_ne_u64_e32 0x7f800000, v[14:15]
	s_xor_b32 s40, exec_lo, s10
	s_cbranch_execz .LBB6_282
; %bb.269:                              ;   in Loop: Header=BB6_130 Depth=2
	v_and_b32_e32 v14, 0x7fffffff, v4
	v_mov_b32_e32 v15, v1
	v_and_b32_e32 v8, 0x80, v5
                                        ; implicit-def: $vgpr48
	s_mov_b32 s10, exec_lo
	s_delay_alu instid0(VALU_DEP_2)
	v_cmpx_gt_u64_e32 0x47600001, v[14:15]
	s_xor_b32 s41, exec_lo, s10
	s_cbranch_execz .LBB6_279
; %bb.270:                              ;   in Loop: Header=BB6_130 Depth=2
	v_mov_b32_e32 v48, 0
	s_mov_b32 s42, exec_lo
	v_cmpx_ne_u32_e32 0, v4
	s_cbranch_execz .LBB6_278
; %bb.271:                              ;   in Loop: Header=BB6_130 Depth=2
	v_bfe_u32 v14, v4, 23, 8
	v_or_b32_e32 v16, 0x800000, v2
	s_delay_alu instid0(VALU_DEP_2) | instskip(SKIP_1) | instid1(VALU_DEP_2)
	v_sub_nc_u32_e32 v4, 0x71, v14
	v_cmp_gt_u32_e32 vcc_lo, 0x72, v14
	v_cndmask_b32_e32 v4, 0, v4, vcc_lo
	v_cmp_eq_u32_e32 vcc_lo, 0, v14
	s_delay_alu instid0(VALU_DEP_2) | instskip(NEXT) | instid1(VALU_DEP_1)
	v_cndmask_b32_e64 v15, v4, 0x70, vcc_lo
	v_dual_cndmask_b32 v2, v16, v2, vcc_lo :: v_dual_add_nc_u32 v4, 21, v15
	v_add_nc_u32_e32 v17, 20, v15
	s_delay_alu instid0(VALU_DEP_2) | instskip(NEXT) | instid1(VALU_DEP_2)
	v_lshlrev_b64_e64 v[4:5], v4, -1
	v_lshlrev_b64_e64 v[16:17], v17, 1
	s_delay_alu instid0(VALU_DEP_2) | instskip(SKIP_1) | instid1(VALU_DEP_4)
	v_bfi_b32 v4, v4, 0, v2
	v_lshrrev_b64 v[2:3], v15, v[2:3]
	v_bfi_b32 v5, v5, 0, 0
	s_delay_alu instid0(VALU_DEP_1) | instskip(NEXT) | instid1(VALU_DEP_3)
	v_cmp_eq_u64_e64 s10, v[4:5], v[16:17]
	v_mov_b64_e32 v[4:5], v[2:3]
	s_and_saveexec_b32 s43, s10
; %bb.272:                              ;   in Loop: Header=BB6_130 Depth=2
	v_bfe_u32 v4, v2, 21, 1
	v_mov_b32_e32 v5, v1
	s_delay_alu instid0(VALU_DEP_1) | instskip(NEXT) | instid1(VALU_DEP_1)
	v_add_nc_u64_e32 v[4:5], v[2:3], v[4:5]
	v_add_nc_u64_e32 v[4:5], -1, v[4:5]
; %bb.273:                              ;   in Loop: Header=BB6_130 Depth=2
	s_or_b32 exec_lo, exec_lo, s43
	v_add_nc_u32_e32 v3, 0xffffff81, v14
	v_lshrrev_b32_e32 v5, 23, v2
	s_mov_b32 s10, exec_lo
	s_delay_alu instid0(VALU_DEP_2) | instskip(NEXT) | instid1(VALU_DEP_1)
	v_cndmask_b32_e64 v3, v3, 0xffffff82, vcc_lo
	v_add3_u32 v5, v15, v3, v5
	v_and_b32_e32 v3, 0x1fffff, v4
                                        ; implicit-def: $vgpr4
	s_delay_alu instid0(VALU_DEP_1) | instskip(SKIP_1) | instid1(VALU_DEP_2)
	v_dual_add_nc_u32 v14, 14, v5 :: v_dual_add_nc_u32 v2, v3, v2
	v_mov_b32_e32 v3, v1
	v_cmpx_ne_u32_e32 0, v14
	s_xor_b32 s10, exec_lo, s10
; %bb.274:                              ;   in Loop: Header=BB6_130 Depth=2
	s_delay_alu instid0(VALU_DEP_2) | instskip(SKIP_2) | instid1(VALU_DEP_2)
	v_cmp_lt_u64_e32 vcc_lo, 0xffffff, v[2:3]
	v_add_nc_u32_e32 v4, 15, v5
	v_cndmask_b32_e64 v5, 0, 1, vcc_lo
	v_cndmask_b32_e32 v4, v14, v4, vcc_lo
	s_delay_alu instid0(VALU_DEP_2)
	v_lshrrev_b64 v[2:3], v5, v[2:3]
; %bb.275:                              ;   in Loop: Header=BB6_130 Depth=2
	s_and_not1_saveexec_b32 s10, s10
; %bb.276:                              ;   in Loop: Header=BB6_130 Depth=2
	s_delay_alu instid0(VALU_DEP_1)
	v_bfe_u32 v4, v2, 23, 1
; %bb.277:                              ;   in Loop: Header=BB6_130 Depth=2
	s_or_b32 exec_lo, exec_lo, s10
	s_delay_alu instid0(VALU_DEP_2) | instskip(NEXT) | instid1(VALU_DEP_2)
	v_lshrrev_b64 v[2:3], 21, v[2:3]
	v_cmp_gt_i32_e32 vcc_lo, 32, v4
	v_min_i32_e32 v5, 31, v4
	v_cmp_eq_u32_e64 s10, 0, v4
	s_delay_alu instid0(VALU_DEP_2) | instskip(SKIP_1) | instid1(VALU_DEP_2)
	v_dual_cndmask_b32 v3, 0, v3, vcc_lo :: v_dual_lshlrev_b32 v5, 2, v5
	v_cndmask_b32_e32 v2, 3, v2, vcc_lo
	v_and_b32_e32 v5, 0xfc, v5
	s_delay_alu instid0(VALU_DEP_2) | instskip(NEXT) | instid1(VALU_DEP_2)
	v_cmp_eq_u64_e32 vcc_lo, 0, v[2:3]
	v_and_or_b32 v2, v2, 3, v5
	s_and_b32 s10, s10, vcc_lo
	s_delay_alu instid0(VALU_DEP_1) | instid1(SALU_CYCLE_1)
	v_cndmask_b32_e64 v2, v2, 0, s10
	s_delay_alu instid0(VALU_DEP_1)
	v_or_b32_e32 v48, v2, v8
.LBB6_278:                              ;   in Loop: Header=BB6_130 Depth=2
	s_or_b32 exec_lo, exec_lo, s42
                                        ; implicit-def: $vgpr8
.LBB6_279:                              ;   in Loop: Header=BB6_130 Depth=2
	s_and_not1_saveexec_b32 s10, s41
; %bb.280:                              ;   in Loop: Header=BB6_130 Depth=2
	v_or_b32_e32 v48, 0x7b, v8
; %bb.281:                              ;   in Loop: Header=BB6_130 Depth=2
	s_or_b32 exec_lo, exec_lo, s10
                                        ; implicit-def: $vgpr4
                                        ; implicit-def: $vgpr2_vgpr3
                                        ; implicit-def: $vgpr5
.LBB6_282:                              ;   in Loop: Header=BB6_130 Depth=2
	s_and_not1_saveexec_b32 s10, s40
	s_cbranch_execz .LBB6_288
; %bb.283:                              ;   in Loop: Header=BB6_130 Depth=2
	s_mov_b32 s40, exec_lo
                                        ; implicit-def: $vgpr48
	v_cmpx_ne_u64_e32 0, v[2:3]
	s_xor_b32 s40, exec_lo, s40
; %bb.284:                              ;   in Loop: Header=BB6_130 Depth=2
	v_or_b32_e32 v48, 0x7f, v5
                                        ; implicit-def: $vgpr4
; %bb.285:                              ;   in Loop: Header=BB6_130 Depth=2
	s_and_not1_saveexec_b32 s40, s40
; %bb.286:                              ;   in Loop: Header=BB6_130 Depth=2
	v_cmp_lt_i32_e32 vcc_lo, -1, v4
	v_mov_b32_e32 v2, 0x7c
	s_delay_alu instid0(VALU_DEP_1)
	v_cndmask_b32_e32 v48, 0xfc, v2, vcc_lo
; %bb.287:                              ;   in Loop: Header=BB6_130 Depth=2
	s_or_b32 exec_lo, exec_lo, s40
.LBB6_288:                              ;   in Loop: Header=BB6_130 Depth=2
	s_delay_alu instid0(SALU_CYCLE_1) | instskip(SKIP_3) | instid1(VALU_DEP_2)
	s_or_b32 exec_lo, exec_lo, s10
	v_lshrrev_b16 v2, 8, v0
	v_mov_b32_e32 v4, 0
	s_mov_b32 s10, exec_lo
	v_cmpx_ne_u16_e32 0, v2
	s_cbranch_execz .LBB6_298
; %bb.289:                              ;   in Loop: Header=BB6_130 Depth=2
	v_bfrev_b32_e32 v4, 1
	s_mov_b32 s40, exec_lo
	v_cmpx_ne_u16_e32 0x80, v2
	s_cbranch_execz .LBB6_297
; %bb.290:                              ;   in Loop: Header=BB6_130 Depth=2
	v_and_b32_e32 v5, 0xffff, v2
	s_delay_alu instid0(VALU_DEP_1) | instskip(SKIP_1) | instid1(VALU_DEP_2)
	v_and_b32_e32 v4, 0x7c, v5
	v_and_b32_e32 v3, 3, v5
	v_cmp_ne_u32_e32 vcc_lo, 0x7c, v4
                                        ; implicit-def: $vgpr4
	s_and_saveexec_b32 s41, vcc_lo
	s_delay_alu instid0(SALU_CYCLE_1)
	s_xor_b32 s41, exec_lo, s41
	s_cbranch_execz .LBB6_294
; %bb.291:                              ;   in Loop: Header=BB6_130 Depth=2
	v_bfe_u32 v4, v5, 2, 5
	s_mov_b32 s42, exec_lo
	s_delay_alu instid0(VALU_DEP_1)
	v_cmpx_eq_u32_e32 0, v4
	s_cbranch_execz .LBB6_293
; %bb.292:                              ;   in Loop: Header=BB6_130 Depth=2
	v_clz_i32_u32_e32 v3, v3
	s_delay_alu instid0(VALU_DEP_1) | instskip(SKIP_1) | instid1(VALU_DEP_2)
	v_min_u32_e32 v4, 32, v3
	v_mov_b32_e32 v3, v1
	v_subrev_nc_u32_e32 v5, 29, v4
	v_sub_nc_u32_e32 v4, 30, v4
	s_delay_alu instid0(VALU_DEP_2) | instskip(NEXT) | instid1(VALU_DEP_1)
	v_lshlrev_b64_e32 v[2:3], v5, v[2:3]
	v_and_b32_e32 v3, 3, v2
.LBB6_293:                              ;   in Loop: Header=BB6_130 Depth=2
	s_or_b32 exec_lo, exec_lo, s42
	v_lshlrev_b32_e32 v0, 16, v0
	s_delay_alu instid0(VALU_DEP_1) | instskip(NEXT) | instid1(VALU_DEP_1)
	v_and_b32_e32 v0, 0x80000000, v0
	v_lshl_add_u32 v0, v4, 23, v0
	s_delay_alu instid0(VALU_DEP_1) | instskip(NEXT) | instid1(VALU_DEP_1)
	v_lshl_or_b32 v0, v3, 21, v0
                                        ; implicit-def: $vgpr3
	v_add_nc_u32_e32 v4, 0x38000000, v0
.LBB6_294:                              ;   in Loop: Header=BB6_130 Depth=2
	s_and_not1_saveexec_b32 s41, s41
; %bb.295:                              ;   in Loop: Header=BB6_130 Depth=2
	v_cmp_lt_i16_e32 vcc_lo, -1, v0
	v_mov_b32_e32 v0, 0x7f800000
	s_delay_alu instid0(VALU_DEP_1) | instskip(SKIP_1) | instid1(VALU_DEP_2)
	v_cndmask_b32_e32 v0, 0xff800000, v0, vcc_lo
	v_cmp_eq_u32_e32 vcc_lo, 0, v3
	v_cndmask_b32_e32 v4, 0x7f800001, v0, vcc_lo
; %bb.296:                              ;   in Loop: Header=BB6_130 Depth=2
	s_or_b32 exec_lo, exec_lo, s41
.LBB6_297:                              ;   in Loop: Header=BB6_130 Depth=2
	s_delay_alu instid0(SALU_CYCLE_1)
	s_or_b32 exec_lo, exec_lo, s40
.LBB6_298:                              ;   in Loop: Header=BB6_130 Depth=2
	s_delay_alu instid0(SALU_CYCLE_1) | instskip(NEXT) | instid1(VALU_DEP_1)
	s_or_b32 exec_lo, exec_lo, s10
	v_dual_mul_f32 v2, s29, v4 :: v_dual_mov_b32 v5, v1
                                        ; implicit-def: $vgpr53
	s_mov_b32 s10, exec_lo
	s_delay_alu instid0(VALU_DEP_1) | instskip(SKIP_2) | instid1(VALU_DEP_3)
	v_and_b32_e32 v4, 0x7f800000, v2
	v_and_b32_e32 v0, 0x7fffff, v2
	v_lshrrev_b32_e32 v3, 24, v2
	v_cmpx_ne_u64_e32 0x7f800000, v[4:5]
	s_xor_b32 s40, exec_lo, s10
	s_cbranch_execz .LBB6_312
; %bb.299:                              ;   in Loop: Header=BB6_130 Depth=2
	v_and_b32_e32 v4, 0x7fffffff, v2
	v_mov_b32_e32 v5, v1
	v_and_b32_e32 v8, 0x80, v3
                                        ; implicit-def: $vgpr53
	s_mov_b32 s10, exec_lo
	s_delay_alu instid0(VALU_DEP_2)
	v_cmpx_gt_u64_e32 0x47600001, v[4:5]
	s_xor_b32 s41, exec_lo, s10
	s_cbranch_execz .LBB6_309
; %bb.300:                              ;   in Loop: Header=BB6_130 Depth=2
	v_mov_b32_e32 v53, 0
	s_mov_b32 s42, exec_lo
	v_cmpx_ne_u32_e32 0, v2
	s_cbranch_execz .LBB6_308
; %bb.301:                              ;   in Loop: Header=BB6_130 Depth=2
	v_bfe_u32 v14, v2, 23, 8
	v_or_b32_e32 v4, 0x800000, v0
	s_mov_b32 s43, exec_lo
	s_delay_alu instid0(VALU_DEP_2) | instskip(SKIP_1) | instid1(VALU_DEP_2)
	v_dual_mov_b32 v5, v1 :: v_dual_sub_nc_u32 v2, 0x71, v14
	v_cmp_gt_u32_e32 vcc_lo, 0x72, v14
	v_cndmask_b32_e32 v2, 0, v2, vcc_lo
	v_cmp_eq_u32_e32 vcc_lo, 0, v14
	s_delay_alu instid0(VALU_DEP_2) | instskip(NEXT) | instid1(VALU_DEP_1)
	v_cndmask_b32_e64 v15, v2, 0x70, vcc_lo
	v_dual_cndmask_b32 v4, v4, v0, vcc_lo :: v_dual_add_nc_u32 v2, 21, v15
	v_add_nc_u32_e32 v16, 20, v15
	s_delay_alu instid0(VALU_DEP_2) | instskip(NEXT) | instid1(VALU_DEP_2)
	v_lshlrev_b64_e64 v[2:3], v2, -1
	v_lshlrev_b64_e64 v[16:17], v16, 1
	s_delay_alu instid0(VALU_DEP_2) | instskip(NEXT) | instid1(VALU_DEP_3)
	v_bfi_b32 v19, v3, 0, 0
	v_bfi_b32 v18, v2, 0, v4
	v_lshrrev_b64 v[2:3], v15, v[4:5]
	s_delay_alu instid0(VALU_DEP_1) | instskip(NEXT) | instid1(VALU_DEP_3)
	v_mov_b64_e32 v[4:5], v[2:3]
	v_cmpx_eq_u64_e64 v[18:19], v[16:17]
; %bb.302:                              ;   in Loop: Header=BB6_130 Depth=2
	v_bfe_u32 v4, v2, 21, 1
	v_mov_b32_e32 v5, v1
	s_delay_alu instid0(VALU_DEP_1) | instskip(NEXT) | instid1(VALU_DEP_1)
	v_add_nc_u64_e32 v[4:5], v[2:3], v[4:5]
	v_add_nc_u64_e32 v[4:5], -1, v[4:5]
; %bb.303:                              ;   in Loop: Header=BB6_130 Depth=2
	s_or_b32 exec_lo, exec_lo, s43
	v_add_nc_u32_e32 v0, 0xffffff81, v14
	v_lshrrev_b32_e32 v3, 23, v2
	s_mov_b32 s10, exec_lo
	s_delay_alu instid0(VALU_DEP_2) | instskip(NEXT) | instid1(VALU_DEP_1)
	v_cndmask_b32_e64 v0, v0, 0xffffff82, vcc_lo
	v_add3_u32 v5, v15, v0, v3
	v_and_b32_e32 v0, 0x1fffff, v4
                                        ; implicit-def: $vgpr4
	s_delay_alu instid0(VALU_DEP_1) | instskip(NEXT) | instid1(VALU_DEP_1)
	v_dual_add_nc_u32 v14, 14, v5 :: v_dual_add_nc_u32 v0, v0, v2
                                        ; implicit-def: $vgpr2_vgpr3
	v_cmpx_ne_u32_e32 0, v14
	s_xor_b32 s10, exec_lo, s10
; %bb.304:                              ;   in Loop: Header=BB6_130 Depth=2
	s_delay_alu instid0(VALU_DEP_2) | instskip(SKIP_1) | instid1(VALU_DEP_1)
	v_cmp_lt_u64_e32 vcc_lo, 0xffffff, v[0:1]
	v_add_nc_u32_e32 v2, 15, v5
	v_cndmask_b32_e32 v4, v14, v2, vcc_lo
	v_cndmask_b32_e64 v2, 0, 1, vcc_lo
	s_delay_alu instid0(VALU_DEP_1)
	v_lshrrev_b64 v[2:3], v2, v[0:1]
; %bb.305:                              ;   in Loop: Header=BB6_130 Depth=2
	s_and_not1_saveexec_b32 s10, s10
; %bb.306:                              ;   in Loop: Header=BB6_130 Depth=2
	v_mov_b64_e32 v[2:3], v[0:1]
	v_bfe_u32 v4, v0, 23, 1
; %bb.307:                              ;   in Loop: Header=BB6_130 Depth=2
	s_or_b32 exec_lo, exec_lo, s10
	s_delay_alu instid0(VALU_DEP_2) | instskip(NEXT) | instid1(VALU_DEP_2)
	v_lshrrev_b64 v[2:3], 21, v[2:3]
	v_cmp_gt_i32_e32 vcc_lo, 32, v4
	v_min_i32_e32 v0, 31, v4
	v_cmp_eq_u32_e64 s10, 0, v4
	s_delay_alu instid0(VALU_DEP_2) | instskip(SKIP_1) | instid1(VALU_DEP_2)
	v_dual_cndmask_b32 v3, 0, v3 :: v_dual_lshlrev_b32 v0, 2, v0
	v_cndmask_b32_e32 v2, 3, v2, vcc_lo
	v_and_b32_e32 v0, 0xfc, v0
	s_delay_alu instid0(VALU_DEP_2) | instskip(NEXT) | instid1(VALU_DEP_2)
	v_cmp_eq_u64_e32 vcc_lo, 0, v[2:3]
	v_and_or_b32 v0, v2, 3, v0
	s_and_b32 s10, s10, vcc_lo
	s_delay_alu instid0(VALU_DEP_1) | instid1(SALU_CYCLE_1)
	v_cndmask_b32_e64 v0, v0, 0, s10
	s_delay_alu instid0(VALU_DEP_1)
	v_or_b32_e32 v53, v0, v8
.LBB6_308:                              ;   in Loop: Header=BB6_130 Depth=2
	s_or_b32 exec_lo, exec_lo, s42
                                        ; implicit-def: $vgpr8
.LBB6_309:                              ;   in Loop: Header=BB6_130 Depth=2
	s_and_not1_saveexec_b32 s10, s41
; %bb.310:                              ;   in Loop: Header=BB6_130 Depth=2
	v_or_b32_e32 v53, 0x7b, v8
; %bb.311:                              ;   in Loop: Header=BB6_130 Depth=2
	s_or_b32 exec_lo, exec_lo, s10
                                        ; implicit-def: $vgpr2
                                        ; implicit-def: $vgpr3
.LBB6_312:                              ;   in Loop: Header=BB6_130 Depth=2
	s_and_not1_saveexec_b32 s10, s40
	s_cbranch_execz .LBB6_318
; %bb.313:                              ;   in Loop: Header=BB6_130 Depth=2
	s_mov_b32 s40, exec_lo
                                        ; implicit-def: $vgpr53
	v_cmpx_ne_u64_e32 0, v[0:1]
	s_xor_b32 s40, exec_lo, s40
; %bb.314:                              ;   in Loop: Header=BB6_130 Depth=2
	v_or_b32_e32 v53, 0x7f, v3
                                        ; implicit-def: $vgpr2
; %bb.315:                              ;   in Loop: Header=BB6_130 Depth=2
	s_and_not1_saveexec_b32 s40, s40
; %bb.316:                              ;   in Loop: Header=BB6_130 Depth=2
	v_cmp_lt_i32_e32 vcc_lo, -1, v2
	v_mov_b32_e32 v0, 0x7c
	s_delay_alu instid0(VALU_DEP_1)
	v_cndmask_b32_e32 v53, 0xfc, v0, vcc_lo
; %bb.317:                              ;   in Loop: Header=BB6_130 Depth=2
	s_or_b32 exec_lo, exec_lo, s40
.LBB6_318:                              ;   in Loop: Header=BB6_130 Depth=2
	s_delay_alu instid0(SALU_CYCLE_1) | instskip(SKIP_2) | instid1(VALU_DEP_1)
	s_or_b32 exec_lo, exec_lo, s10
	v_dual_lshrrev_b32 v0, 16, v11 :: v_dual_mov_b32 v2, 0
	s_mov_b32 s10, exec_lo
	v_and_b32_e32 v3, 0xff, v0
	s_delay_alu instid0(VALU_DEP_1)
	v_cmpx_ne_u16_e32 0, v3
	s_cbranch_execz .LBB6_328
; %bb.319:                              ;   in Loop: Header=BB6_130 Depth=2
	v_bfrev_b32_e32 v2, 1
	s_mov_b32 s40, exec_lo
	v_cmpx_ne_u16_e32 0x80, v3
	s_cbranch_execz .LBB6_327
; %bb.320:                              ;   in Loop: Header=BB6_130 Depth=2
	v_and_b32_e32 v2, 0x7c0000, v11
	v_bfe_u32 v3, v11, 16, 2
	s_delay_alu instid0(VALU_DEP_2) | instskip(SKIP_1) | instid1(SALU_CYCLE_1)
	v_cmp_ne_u32_e32 vcc_lo, 0x7c0000, v2
                                        ; implicit-def: $vgpr2
	s_and_saveexec_b32 s41, vcc_lo
	s_xor_b32 s41, exec_lo, s41
	s_cbranch_execz .LBB6_324
; %bb.321:                              ;   in Loop: Header=BB6_130 Depth=2
	v_bfe_u32 v2, v11, 18, 5
	s_mov_b32 s42, exec_lo
	s_delay_alu instid0(VALU_DEP_1)
	v_cmpx_eq_u32_e32 0, v2
; %bb.322:                              ;   in Loop: Header=BB6_130 Depth=2
	v_clz_i32_u32_e32 v2, v3
	s_delay_alu instid0(VALU_DEP_1) | instskip(NEXT) | instid1(VALU_DEP_1)
	v_min_u32_e32 v2, 32, v2
	v_subrev_nc_u32_e32 v3, 29, v2
	s_delay_alu instid0(VALU_DEP_1) | instskip(NEXT) | instid1(VALU_DEP_1)
	v_lshlrev_b64_e32 v[4:5], v3, v[0:1]
	v_dual_sub_nc_u32 v2, 30, v2 :: v_dual_bitop2_b32 v3, 3, v4 bitop3:0x40
; %bb.323:                              ;   in Loop: Header=BB6_130 Depth=2
	s_or_b32 exec_lo, exec_lo, s42
	v_lshlrev_b32_e32 v0, 24, v0
	s_delay_alu instid0(VALU_DEP_1) | instskip(NEXT) | instid1(VALU_DEP_1)
	v_and_b32_e32 v0, 0x80000000, v0
	v_lshl_add_u32 v0, v2, 23, v0
	s_delay_alu instid0(VALU_DEP_1) | instskip(NEXT) | instid1(VALU_DEP_1)
	v_lshl_or_b32 v0, v3, 21, v0
                                        ; implicit-def: $vgpr3
	v_add_nc_u32_e32 v2, 0x38000000, v0
                                        ; implicit-def: $vgpr0
.LBB6_324:                              ;   in Loop: Header=BB6_130 Depth=2
	s_and_not1_saveexec_b32 s41, s41
; %bb.325:                              ;   in Loop: Header=BB6_130 Depth=2
	v_bfe_i32 v0, v0, 0, 8
	s_delay_alu instid0(VALU_DEP_1) | instskip(SKIP_1) | instid1(VALU_DEP_1)
	v_cmp_lt_i16_e32 vcc_lo, -1, v0
	v_mov_b32_e32 v0, 0x7f800000
	v_cndmask_b32_e32 v0, 0xff800000, v0, vcc_lo
	v_cmp_eq_u32_e32 vcc_lo, 0, v3
	s_delay_alu instid0(VALU_DEP_2)
	v_cndmask_b32_e32 v2, 0x7f800001, v0, vcc_lo
; %bb.326:                              ;   in Loop: Header=BB6_130 Depth=2
	s_or_b32 exec_lo, exec_lo, s41
.LBB6_327:                              ;   in Loop: Header=BB6_130 Depth=2
	s_delay_alu instid0(SALU_CYCLE_1)
	s_or_b32 exec_lo, exec_lo, s40
.LBB6_328:                              ;   in Loop: Header=BB6_130 Depth=2
	s_delay_alu instid0(SALU_CYCLE_1) | instskip(NEXT) | instid1(VALU_DEP_1)
	s_or_b32 exec_lo, exec_lo, s10
	v_dual_mul_f32 v2, s29, v2 :: v_dual_mov_b32 v5, v1
                                        ; implicit-def: $vgpr65
	s_mov_b32 s10, exec_lo
	s_delay_alu instid0(VALU_DEP_1) | instskip(SKIP_2) | instid1(VALU_DEP_3)
	v_and_b32_e32 v4, 0x7f800000, v2
	v_and_b32_e32 v0, 0x7fffff, v2
	v_lshrrev_b32_e32 v3, 24, v2
	v_cmpx_ne_u64_e32 0x7f800000, v[4:5]
	s_xor_b32 s40, exec_lo, s10
	s_cbranch_execz .LBB6_342
; %bb.329:                              ;   in Loop: Header=BB6_130 Depth=2
	v_and_b32_e32 v4, 0x7fffffff, v2
	v_mov_b32_e32 v5, v1
	v_and_b32_e32 v8, 0x80, v3
                                        ; implicit-def: $vgpr65
	s_mov_b32 s10, exec_lo
	s_delay_alu instid0(VALU_DEP_2)
	v_cmpx_gt_u64_e32 0x47600001, v[4:5]
	s_xor_b32 s41, exec_lo, s10
	s_cbranch_execz .LBB6_339
; %bb.330:                              ;   in Loop: Header=BB6_130 Depth=2
	v_mov_b32_e32 v65, 0
	s_mov_b32 s42, exec_lo
	v_cmpx_ne_u32_e32 0, v2
	s_cbranch_execz .LBB6_338
; %bb.331:                              ;   in Loop: Header=BB6_130 Depth=2
	v_bfe_u32 v14, v2, 23, 8
	v_or_b32_e32 v4, 0x800000, v0
	s_mov_b32 s43, exec_lo
	s_delay_alu instid0(VALU_DEP_2) | instskip(SKIP_1) | instid1(VALU_DEP_2)
	v_dual_mov_b32 v5, v1 :: v_dual_sub_nc_u32 v2, 0x71, v14
	v_cmp_gt_u32_e32 vcc_lo, 0x72, v14
	v_cndmask_b32_e32 v2, 0, v2, vcc_lo
	v_cmp_eq_u32_e32 vcc_lo, 0, v14
	s_delay_alu instid0(VALU_DEP_2) | instskip(NEXT) | instid1(VALU_DEP_1)
	v_cndmask_b32_e64 v15, v2, 0x70, vcc_lo
	v_dual_cndmask_b32 v4, v4, v0, vcc_lo :: v_dual_add_nc_u32 v2, 21, v15
	v_add_nc_u32_e32 v16, 20, v15
	s_delay_alu instid0(VALU_DEP_2) | instskip(NEXT) | instid1(VALU_DEP_2)
	v_lshlrev_b64_e64 v[2:3], v2, -1
	v_lshlrev_b64_e64 v[16:17], v16, 1
	s_delay_alu instid0(VALU_DEP_2) | instskip(NEXT) | instid1(VALU_DEP_3)
	v_bfi_b32 v19, v3, 0, 0
	v_bfi_b32 v18, v2, 0, v4
	v_lshrrev_b64 v[2:3], v15, v[4:5]
	s_delay_alu instid0(VALU_DEP_1) | instskip(NEXT) | instid1(VALU_DEP_3)
	v_mov_b64_e32 v[4:5], v[2:3]
	v_cmpx_eq_u64_e64 v[18:19], v[16:17]
; %bb.332:                              ;   in Loop: Header=BB6_130 Depth=2
	v_bfe_u32 v4, v2, 21, 1
	v_mov_b32_e32 v5, v1
	s_delay_alu instid0(VALU_DEP_1) | instskip(NEXT) | instid1(VALU_DEP_1)
	v_add_nc_u64_e32 v[4:5], v[2:3], v[4:5]
	v_add_nc_u64_e32 v[4:5], -1, v[4:5]
; %bb.333:                              ;   in Loop: Header=BB6_130 Depth=2
	s_or_b32 exec_lo, exec_lo, s43
	v_add_nc_u32_e32 v0, 0xffffff81, v14
	v_lshrrev_b32_e32 v3, 23, v2
	s_mov_b32 s10, exec_lo
	s_delay_alu instid0(VALU_DEP_2) | instskip(NEXT) | instid1(VALU_DEP_1)
	v_cndmask_b32_e64 v0, v0, 0xffffff82, vcc_lo
	v_add3_u32 v5, v15, v0, v3
	v_and_b32_e32 v0, 0x1fffff, v4
                                        ; implicit-def: $vgpr4
	s_delay_alu instid0(VALU_DEP_1) | instskip(NEXT) | instid1(VALU_DEP_1)
	v_dual_add_nc_u32 v14, 14, v5 :: v_dual_add_nc_u32 v0, v0, v2
                                        ; implicit-def: $vgpr2_vgpr3
	v_cmpx_ne_u32_e32 0, v14
	s_xor_b32 s10, exec_lo, s10
; %bb.334:                              ;   in Loop: Header=BB6_130 Depth=2
	s_delay_alu instid0(VALU_DEP_2) | instskip(SKIP_1) | instid1(VALU_DEP_1)
	v_cmp_lt_u64_e32 vcc_lo, 0xffffff, v[0:1]
	v_add_nc_u32_e32 v2, 15, v5
	v_cndmask_b32_e32 v4, v14, v2, vcc_lo
	v_cndmask_b32_e64 v2, 0, 1, vcc_lo
	s_delay_alu instid0(VALU_DEP_1)
	v_lshrrev_b64 v[2:3], v2, v[0:1]
; %bb.335:                              ;   in Loop: Header=BB6_130 Depth=2
	s_and_not1_saveexec_b32 s10, s10
; %bb.336:                              ;   in Loop: Header=BB6_130 Depth=2
	v_mov_b64_e32 v[2:3], v[0:1]
	v_bfe_u32 v4, v0, 23, 1
; %bb.337:                              ;   in Loop: Header=BB6_130 Depth=2
	s_or_b32 exec_lo, exec_lo, s10
	s_delay_alu instid0(VALU_DEP_2) | instskip(NEXT) | instid1(VALU_DEP_2)
	v_lshrrev_b64 v[2:3], 21, v[2:3]
	v_cmp_gt_i32_e32 vcc_lo, 32, v4
	v_min_i32_e32 v0, 31, v4
	v_cmp_eq_u32_e64 s10, 0, v4
	s_delay_alu instid0(VALU_DEP_2) | instskip(SKIP_1) | instid1(VALU_DEP_2)
	v_dual_cndmask_b32 v3, 0, v3 :: v_dual_lshlrev_b32 v0, 2, v0
	v_cndmask_b32_e32 v2, 3, v2, vcc_lo
	v_and_b32_e32 v0, 0xfc, v0
	s_delay_alu instid0(VALU_DEP_2) | instskip(NEXT) | instid1(VALU_DEP_2)
	v_cmp_eq_u64_e32 vcc_lo, 0, v[2:3]
	v_and_or_b32 v0, v2, 3, v0
	s_and_b32 s10, s10, vcc_lo
	s_delay_alu instid0(VALU_DEP_1) | instid1(SALU_CYCLE_1)
	v_cndmask_b32_e64 v0, v0, 0, s10
	s_delay_alu instid0(VALU_DEP_1)
	v_or_b32_e32 v65, v0, v8
.LBB6_338:                              ;   in Loop: Header=BB6_130 Depth=2
	s_or_b32 exec_lo, exec_lo, s42
                                        ; implicit-def: $vgpr8
.LBB6_339:                              ;   in Loop: Header=BB6_130 Depth=2
	s_and_not1_saveexec_b32 s10, s41
; %bb.340:                              ;   in Loop: Header=BB6_130 Depth=2
	v_or_b32_e32 v65, 0x7b, v8
; %bb.341:                              ;   in Loop: Header=BB6_130 Depth=2
	s_or_b32 exec_lo, exec_lo, s10
                                        ; implicit-def: $vgpr2
                                        ; implicit-def: $vgpr3
.LBB6_342:                              ;   in Loop: Header=BB6_130 Depth=2
	s_and_not1_saveexec_b32 s10, s40
	s_cbranch_execz .LBB6_348
; %bb.343:                              ;   in Loop: Header=BB6_130 Depth=2
	s_mov_b32 s40, exec_lo
                                        ; implicit-def: $vgpr65
	v_cmpx_ne_u64_e32 0, v[0:1]
	s_xor_b32 s40, exec_lo, s40
; %bb.344:                              ;   in Loop: Header=BB6_130 Depth=2
	v_or_b32_e32 v65, 0x7f, v3
                                        ; implicit-def: $vgpr2
; %bb.345:                              ;   in Loop: Header=BB6_130 Depth=2
	s_and_not1_saveexec_b32 s40, s40
; %bb.346:                              ;   in Loop: Header=BB6_130 Depth=2
	v_cmp_lt_i32_e32 vcc_lo, -1, v2
	v_mov_b32_e32 v0, 0x7c
	s_delay_alu instid0(VALU_DEP_1)
	v_cndmask_b32_e32 v65, 0xfc, v0, vcc_lo
; %bb.347:                              ;   in Loop: Header=BB6_130 Depth=2
	s_or_b32 exec_lo, exec_lo, s40
.LBB6_348:                              ;   in Loop: Header=BB6_130 Depth=2
	s_delay_alu instid0(SALU_CYCLE_1)
	s_or_b32 exec_lo, exec_lo, s10
	v_mov_b32_e32 v2, 0
	s_mov_b32 s10, exec_lo
	v_cmpx_lt_u64_e64 s[12:13], v[10:11]
	s_cbranch_execz .LBB6_358
; %bb.349:                              ;   in Loop: Header=BB6_130 Depth=2
	v_lshrrev_b32_e32 v0, 24, v11
	v_bfrev_b32_e32 v2, 1
	s_mov_b32 s40, exec_lo
	s_delay_alu instid0(VALU_DEP_2)
	v_cmpx_ne_u32_e32 0x80, v0
	s_cbranch_execz .LBB6_357
; %bb.350:                              ;   in Loop: Header=BB6_130 Depth=2
	v_and_b32_e32 v2, 0x7c000000, v11
	v_bfe_u32 v3, v11, 24, 2
	s_delay_alu instid0(VALU_DEP_2) | instskip(SKIP_1) | instid1(SALU_CYCLE_1)
	v_cmp_ne_u32_e32 vcc_lo, 0x7c000000, v2
                                        ; implicit-def: $vgpr2
	s_and_saveexec_b32 s41, vcc_lo
	s_xor_b32 s41, exec_lo, s41
	s_cbranch_execz .LBB6_354
; %bb.351:                              ;   in Loop: Header=BB6_130 Depth=2
	v_bfe_u32 v2, v11, 26, 5
	s_mov_b32 s42, exec_lo
	s_delay_alu instid0(VALU_DEP_1)
	v_cmpx_eq_u32_e32 0, v2
; %bb.352:                              ;   in Loop: Header=BB6_130 Depth=2
	v_clz_i32_u32_e32 v2, v3
	s_delay_alu instid0(VALU_DEP_1) | instskip(NEXT) | instid1(VALU_DEP_1)
	v_min_u32_e32 v2, 32, v2
	v_subrev_nc_u32_e32 v3, 29, v2
	s_delay_alu instid0(VALU_DEP_1) | instskip(NEXT) | instid1(VALU_DEP_1)
	v_lshlrev_b64_e32 v[4:5], v3, v[0:1]
	v_dual_sub_nc_u32 v2, 30, v2 :: v_dual_bitop2_b32 v3, 3, v4 bitop3:0x40
; %bb.353:                              ;   in Loop: Header=BB6_130 Depth=2
	s_or_b32 exec_lo, exec_lo, s42
	v_and_b32_e32 v0, 0x80000000, v11
	s_delay_alu instid0(VALU_DEP_1) | instskip(NEXT) | instid1(VALU_DEP_1)
	v_lshl_add_u32 v0, v2, 23, v0
	v_lshl_or_b32 v0, v3, 21, v0
                                        ; implicit-def: $vgpr3
	s_delay_alu instid0(VALU_DEP_1)
	v_add_nc_u32_e32 v2, 0x38000000, v0
.LBB6_354:                              ;   in Loop: Header=BB6_130 Depth=2
	s_and_not1_saveexec_b32 s41, s41
; %bb.355:                              ;   in Loop: Header=BB6_130 Depth=2
	v_cmp_lt_i64_e32 vcc_lo, -1, v[10:11]
	v_mov_b32_e32 v0, 0x7f800000
	s_delay_alu instid0(VALU_DEP_1) | instskip(SKIP_1) | instid1(VALU_DEP_2)
	v_cndmask_b32_e32 v0, 0xff800000, v0, vcc_lo
	v_cmp_eq_u32_e32 vcc_lo, 0, v3
	v_cndmask_b32_e32 v2, 0x7f800001, v0, vcc_lo
; %bb.356:                              ;   in Loop: Header=BB6_130 Depth=2
	s_or_b32 exec_lo, exec_lo, s41
.LBB6_357:                              ;   in Loop: Header=BB6_130 Depth=2
	s_delay_alu instid0(SALU_CYCLE_1)
	s_or_b32 exec_lo, exec_lo, s40
.LBB6_358:                              ;   in Loop: Header=BB6_130 Depth=2
	s_delay_alu instid0(SALU_CYCLE_1) | instskip(NEXT) | instid1(VALU_DEP_1)
	s_or_b32 exec_lo, exec_lo, s10
	v_dual_mul_f32 v2, s29, v2 :: v_dual_mov_b32 v5, v1
                                        ; implicit-def: $vgpr72
	s_mov_b32 s10, exec_lo
	s_delay_alu instid0(VALU_DEP_1) | instskip(SKIP_2) | instid1(VALU_DEP_3)
	v_and_b32_e32 v4, 0x7f800000, v2
	v_and_b32_e32 v0, 0x7fffff, v2
	v_lshrrev_b32_e32 v3, 24, v2
	v_cmpx_ne_u64_e32 0x7f800000, v[4:5]
	s_xor_b32 s40, exec_lo, s10
	s_cbranch_execz .LBB6_372
; %bb.359:                              ;   in Loop: Header=BB6_130 Depth=2
	v_and_b32_e32 v4, 0x7fffffff, v2
	v_mov_b32_e32 v5, v1
	v_and_b32_e32 v8, 0x80, v3
                                        ; implicit-def: $vgpr72
	s_mov_b32 s10, exec_lo
	s_delay_alu instid0(VALU_DEP_2)
	v_cmpx_gt_u64_e32 0x47600001, v[4:5]
	s_xor_b32 s41, exec_lo, s10
	s_cbranch_execz .LBB6_369
; %bb.360:                              ;   in Loop: Header=BB6_130 Depth=2
	v_mov_b32_e32 v72, 0
	s_mov_b32 s42, exec_lo
	v_cmpx_ne_u32_e32 0, v2
	s_cbranch_execz .LBB6_368
; %bb.361:                              ;   in Loop: Header=BB6_130 Depth=2
	v_bfe_u32 v10, v2, 23, 8
	v_or_b32_e32 v4, 0x800000, v0
	s_mov_b32 s43, exec_lo
	s_delay_alu instid0(VALU_DEP_2) | instskip(SKIP_1) | instid1(VALU_DEP_2)
	v_dual_mov_b32 v5, v1 :: v_dual_sub_nc_u32 v2, 0x71, v10
	v_cmp_gt_u32_e32 vcc_lo, 0x72, v10
	v_cndmask_b32_e32 v2, 0, v2, vcc_lo
	v_cmp_eq_u32_e32 vcc_lo, 0, v10
	s_delay_alu instid0(VALU_DEP_2) | instskip(NEXT) | instid1(VALU_DEP_1)
	v_cndmask_b32_e64 v11, v2, 0x70, vcc_lo
	v_dual_cndmask_b32 v4, v4, v0, vcc_lo :: v_dual_add_nc_u32 v2, 21, v11
	v_add_nc_u32_e32 v14, 20, v11
	s_delay_alu instid0(VALU_DEP_2) | instskip(NEXT) | instid1(VALU_DEP_2)
	v_lshlrev_b64_e64 v[2:3], v2, -1
	v_lshlrev_b64_e64 v[14:15], v14, 1
	s_delay_alu instid0(VALU_DEP_2) | instskip(NEXT) | instid1(VALU_DEP_3)
	v_bfi_b32 v17, v3, 0, 0
	v_bfi_b32 v16, v2, 0, v4
	v_lshrrev_b64 v[2:3], v11, v[4:5]
	s_delay_alu instid0(VALU_DEP_1) | instskip(NEXT) | instid1(VALU_DEP_3)
	v_mov_b64_e32 v[4:5], v[2:3]
	v_cmpx_eq_u64_e64 v[16:17], v[14:15]
; %bb.362:                              ;   in Loop: Header=BB6_130 Depth=2
	v_bfe_u32 v4, v2, 21, 1
	v_mov_b32_e32 v5, v1
	s_delay_alu instid0(VALU_DEP_1) | instskip(NEXT) | instid1(VALU_DEP_1)
	v_add_nc_u64_e32 v[4:5], v[2:3], v[4:5]
	v_add_nc_u64_e32 v[4:5], -1, v[4:5]
; %bb.363:                              ;   in Loop: Header=BB6_130 Depth=2
	s_or_b32 exec_lo, exec_lo, s43
	v_add_nc_u32_e32 v0, 0xffffff81, v10
	v_lshrrev_b32_e32 v3, 23, v2
	s_mov_b32 s10, exec_lo
	s_delay_alu instid0(VALU_DEP_2) | instskip(NEXT) | instid1(VALU_DEP_1)
	v_cndmask_b32_e64 v0, v0, 0xffffff82, vcc_lo
	v_add3_u32 v5, v11, v0, v3
	v_and_b32_e32 v0, 0x1fffff, v4
                                        ; implicit-def: $vgpr4
	s_delay_alu instid0(VALU_DEP_1) | instskip(NEXT) | instid1(VALU_DEP_1)
	v_dual_add_nc_u32 v10, 14, v5 :: v_dual_add_nc_u32 v0, v0, v2
                                        ; implicit-def: $vgpr2_vgpr3
	v_cmpx_ne_u32_e32 0, v10
	s_xor_b32 s10, exec_lo, s10
; %bb.364:                              ;   in Loop: Header=BB6_130 Depth=2
	s_delay_alu instid0(VALU_DEP_2) | instskip(SKIP_1) | instid1(VALU_DEP_1)
	v_cmp_lt_u64_e32 vcc_lo, 0xffffff, v[0:1]
	v_add_nc_u32_e32 v2, 15, v5
	v_cndmask_b32_e32 v4, v10, v2, vcc_lo
	v_cndmask_b32_e64 v2, 0, 1, vcc_lo
	s_delay_alu instid0(VALU_DEP_1)
	v_lshrrev_b64 v[2:3], v2, v[0:1]
; %bb.365:                              ;   in Loop: Header=BB6_130 Depth=2
	s_and_not1_saveexec_b32 s10, s10
; %bb.366:                              ;   in Loop: Header=BB6_130 Depth=2
	v_mov_b64_e32 v[2:3], v[0:1]
	v_bfe_u32 v4, v0, 23, 1
; %bb.367:                              ;   in Loop: Header=BB6_130 Depth=2
	s_or_b32 exec_lo, exec_lo, s10
	s_delay_alu instid0(VALU_DEP_2) | instskip(NEXT) | instid1(VALU_DEP_2)
	v_lshrrev_b64 v[2:3], 21, v[2:3]
	v_cmp_gt_i32_e32 vcc_lo, 32, v4
	v_min_i32_e32 v0, 31, v4
	v_cmp_eq_u32_e64 s10, 0, v4
	s_delay_alu instid0(VALU_DEP_2) | instskip(SKIP_1) | instid1(VALU_DEP_2)
	v_dual_cndmask_b32 v3, 0, v3 :: v_dual_lshlrev_b32 v0, 2, v0
	v_cndmask_b32_e32 v2, 3, v2, vcc_lo
	v_and_b32_e32 v0, 0xfc, v0
	s_delay_alu instid0(VALU_DEP_2) | instskip(NEXT) | instid1(VALU_DEP_2)
	v_cmp_eq_u64_e32 vcc_lo, 0, v[2:3]
	v_and_or_b32 v0, v2, 3, v0
	s_and_b32 s10, s10, vcc_lo
	s_delay_alu instid0(VALU_DEP_1) | instid1(SALU_CYCLE_1)
	v_cndmask_b32_e64 v0, v0, 0, s10
	s_delay_alu instid0(VALU_DEP_1)
	v_or_b32_e32 v72, v0, v8
.LBB6_368:                              ;   in Loop: Header=BB6_130 Depth=2
	s_or_b32 exec_lo, exec_lo, s42
                                        ; implicit-def: $vgpr8
.LBB6_369:                              ;   in Loop: Header=BB6_130 Depth=2
	s_and_not1_saveexec_b32 s10, s41
; %bb.370:                              ;   in Loop: Header=BB6_130 Depth=2
	v_or_b32_e32 v72, 0x7b, v8
; %bb.371:                              ;   in Loop: Header=BB6_130 Depth=2
	s_or_b32 exec_lo, exec_lo, s10
                                        ; implicit-def: $vgpr2
                                        ; implicit-def: $vgpr3
.LBB6_372:                              ;   in Loop: Header=BB6_130 Depth=2
	s_and_not1_saveexec_b32 s10, s40
	s_cbranch_execz .LBB6_378
; %bb.373:                              ;   in Loop: Header=BB6_130 Depth=2
	s_mov_b32 s40, exec_lo
                                        ; implicit-def: $vgpr72
	v_cmpx_ne_u64_e32 0, v[0:1]
	s_xor_b32 s40, exec_lo, s40
; %bb.374:                              ;   in Loop: Header=BB6_130 Depth=2
	v_or_b32_e32 v72, 0x7f, v3
                                        ; implicit-def: $vgpr2
; %bb.375:                              ;   in Loop: Header=BB6_130 Depth=2
	s_and_not1_saveexec_b32 s40, s40
; %bb.376:                              ;   in Loop: Header=BB6_130 Depth=2
	v_cmp_lt_i32_e32 vcc_lo, -1, v2
	v_mov_b32_e32 v0, 0x7c
	s_delay_alu instid0(VALU_DEP_1)
	v_cndmask_b32_e32 v72, 0xfc, v0, vcc_lo
; %bb.377:                              ;   in Loop: Header=BB6_130 Depth=2
	s_or_b32 exec_lo, exec_lo, s40
.LBB6_378:                              ;   in Loop: Header=BB6_130 Depth=2
	s_delay_alu instid0(SALU_CYCLE_1) | instskip(SKIP_1) | instid1(VALU_DEP_1)
	s_or_b32 exec_lo, exec_lo, s10
	v_and_b32_e32 v0, 0xff, v12
	v_cmp_ne_u16_e32 vcc_lo, 0, v0
	v_mov_b32_e32 v0, 0
	s_and_saveexec_b32 s10, vcc_lo
	s_cbranch_execz .LBB6_388
; %bb.379:                              ;   in Loop: Header=BB6_130 Depth=2
	v_bfe_i32 v3, v12, 0, 8
	v_bfrev_b32_e32 v0, 1
	s_mov_b32 s40, exec_lo
	s_delay_alu instid0(VALU_DEP_2)
	v_cmpx_ne_u16_e32 0xff80, v3
	s_cbranch_execz .LBB6_387
; %bb.380:                              ;   in Loop: Header=BB6_130 Depth=2
	v_and_b32_e32 v0, 0x7c, v12
	v_and_b32_e32 v2, 3, v12
	s_delay_alu instid0(VALU_DEP_2) | instskip(SKIP_1) | instid1(SALU_CYCLE_1)
	v_cmp_ne_u32_e32 vcc_lo, 0x7c, v0
                                        ; implicit-def: $vgpr0
	s_and_saveexec_b32 s41, vcc_lo
	s_xor_b32 s41, exec_lo, s41
	s_cbranch_execz .LBB6_384
; %bb.381:                              ;   in Loop: Header=BB6_130 Depth=2
	v_bfe_u32 v0, v12, 2, 5
	s_mov_b32 s42, exec_lo
	s_delay_alu instid0(VALU_DEP_1)
	v_cmpx_eq_u32_e32 0, v0
; %bb.382:                              ;   in Loop: Header=BB6_130 Depth=2
	v_clz_i32_u32_e32 v0, v2
	s_delay_alu instid0(VALU_DEP_1) | instskip(NEXT) | instid1(VALU_DEP_1)
	v_min_u32_e32 v0, 32, v0
	v_subrev_nc_u32_e32 v2, 29, v0
	s_delay_alu instid0(VALU_DEP_1) | instskip(NEXT) | instid1(VALU_DEP_1)
	v_lshlrev_b64_e32 v[2:3], v2, v[12:13]
	v_dual_sub_nc_u32 v0, 30, v0 :: v_dual_bitop2_b32 v2, 3, v2 bitop3:0x40
; %bb.383:                              ;   in Loop: Header=BB6_130 Depth=2
	s_or_b32 exec_lo, exec_lo, s42
	v_lshlrev_b32_e32 v3, 24, v12
	s_delay_alu instid0(VALU_DEP_1) | instskip(NEXT) | instid1(VALU_DEP_1)
	v_and_b32_e32 v3, 0x80000000, v3
	v_lshl_add_u32 v0, v0, 23, v3
                                        ; implicit-def: $vgpr3
	s_delay_alu instid0(VALU_DEP_1) | instskip(NEXT) | instid1(VALU_DEP_1)
	v_lshl_or_b32 v0, v2, 21, v0
                                        ; implicit-def: $vgpr2
	v_add_nc_u32_e32 v0, 0x38000000, v0
.LBB6_384:                              ;   in Loop: Header=BB6_130 Depth=2
	s_and_not1_saveexec_b32 s41, s41
; %bb.385:                              ;   in Loop: Header=BB6_130 Depth=2
	v_cmp_lt_i16_e32 vcc_lo, -1, v3
	v_mov_b32_e32 v0, 0x7f800000
	s_delay_alu instid0(VALU_DEP_1) | instskip(SKIP_1) | instid1(VALU_DEP_2)
	v_cndmask_b32_e32 v0, 0xff800000, v0, vcc_lo
	v_cmp_eq_u32_e32 vcc_lo, 0, v2
	v_cndmask_b32_e32 v0, 0x7f800001, v0, vcc_lo
; %bb.386:                              ;   in Loop: Header=BB6_130 Depth=2
	s_or_b32 exec_lo, exec_lo, s41
.LBB6_387:                              ;   in Loop: Header=BB6_130 Depth=2
	s_delay_alu instid0(SALU_CYCLE_1)
	s_or_b32 exec_lo, exec_lo, s40
.LBB6_388:                              ;   in Loop: Header=BB6_130 Depth=2
	s_delay_alu instid0(SALU_CYCLE_1) | instskip(NEXT) | instid1(VALU_DEP_1)
	s_or_b32 exec_lo, exec_lo, s10
	v_dual_mul_f32 v2, s29, v0 :: v_dual_mov_b32 v5, v1
                                        ; implicit-def: $vgpr84
	s_mov_b32 s10, exec_lo
	s_delay_alu instid0(VALU_DEP_1) | instskip(SKIP_2) | instid1(VALU_DEP_3)
	v_and_b32_e32 v4, 0x7f800000, v2
	v_and_b32_e32 v0, 0x7fffff, v2
	v_lshrrev_b32_e32 v3, 24, v2
	v_cmpx_ne_u64_e32 0x7f800000, v[4:5]
	s_xor_b32 s40, exec_lo, s10
	s_cbranch_execz .LBB6_402
; %bb.389:                              ;   in Loop: Header=BB6_130 Depth=2
	v_and_b32_e32 v4, 0x7fffffff, v2
	v_mov_b32_e32 v5, v1
	v_and_b32_e32 v8, 0x80, v3
                                        ; implicit-def: $vgpr84
	s_mov_b32 s10, exec_lo
	s_delay_alu instid0(VALU_DEP_2)
	v_cmpx_gt_u64_e32 0x47600001, v[4:5]
	s_xor_b32 s41, exec_lo, s10
	s_cbranch_execz .LBB6_399
; %bb.390:                              ;   in Loop: Header=BB6_130 Depth=2
	v_mov_b32_e32 v84, 0
	s_mov_b32 s42, exec_lo
	v_cmpx_ne_u32_e32 0, v2
	s_cbranch_execz .LBB6_398
; %bb.391:                              ;   in Loop: Header=BB6_130 Depth=2
	v_bfe_u32 v10, v2, 23, 8
	v_or_b32_e32 v4, 0x800000, v0
	s_mov_b32 s43, exec_lo
	s_delay_alu instid0(VALU_DEP_2) | instskip(SKIP_1) | instid1(VALU_DEP_2)
	v_dual_mov_b32 v5, v1 :: v_dual_sub_nc_u32 v2, 0x71, v10
	v_cmp_gt_u32_e32 vcc_lo, 0x72, v10
	v_cndmask_b32_e32 v2, 0, v2, vcc_lo
	v_cmp_eq_u32_e32 vcc_lo, 0, v10
	s_delay_alu instid0(VALU_DEP_2) | instskip(NEXT) | instid1(VALU_DEP_1)
	v_cndmask_b32_e64 v11, v2, 0x70, vcc_lo
	v_dual_cndmask_b32 v4, v4, v0, vcc_lo :: v_dual_add_nc_u32 v2, 21, v11
	v_add_nc_u32_e32 v14, 20, v11
	s_delay_alu instid0(VALU_DEP_2) | instskip(NEXT) | instid1(VALU_DEP_2)
	v_lshlrev_b64_e64 v[2:3], v2, -1
	v_lshlrev_b64_e64 v[14:15], v14, 1
	s_delay_alu instid0(VALU_DEP_2) | instskip(NEXT) | instid1(VALU_DEP_3)
	v_bfi_b32 v17, v3, 0, 0
	v_bfi_b32 v16, v2, 0, v4
	v_lshrrev_b64 v[2:3], v11, v[4:5]
	s_delay_alu instid0(VALU_DEP_1) | instskip(NEXT) | instid1(VALU_DEP_3)
	v_mov_b64_e32 v[4:5], v[2:3]
	v_cmpx_eq_u64_e64 v[16:17], v[14:15]
; %bb.392:                              ;   in Loop: Header=BB6_130 Depth=2
	v_bfe_u32 v4, v2, 21, 1
	v_mov_b32_e32 v5, v1
	s_delay_alu instid0(VALU_DEP_1) | instskip(NEXT) | instid1(VALU_DEP_1)
	v_add_nc_u64_e32 v[4:5], v[2:3], v[4:5]
	v_add_nc_u64_e32 v[4:5], -1, v[4:5]
; %bb.393:                              ;   in Loop: Header=BB6_130 Depth=2
	s_or_b32 exec_lo, exec_lo, s43
	v_add_nc_u32_e32 v0, 0xffffff81, v10
	v_lshrrev_b32_e32 v3, 23, v2
	s_mov_b32 s10, exec_lo
	s_delay_alu instid0(VALU_DEP_2) | instskip(NEXT) | instid1(VALU_DEP_1)
	v_cndmask_b32_e64 v0, v0, 0xffffff82, vcc_lo
	v_add3_u32 v5, v11, v0, v3
	v_and_b32_e32 v0, 0x1fffff, v4
                                        ; implicit-def: $vgpr4
	s_delay_alu instid0(VALU_DEP_1) | instskip(NEXT) | instid1(VALU_DEP_1)
	v_dual_add_nc_u32 v10, 14, v5 :: v_dual_add_nc_u32 v0, v0, v2
                                        ; implicit-def: $vgpr2_vgpr3
	v_cmpx_ne_u32_e32 0, v10
	s_xor_b32 s10, exec_lo, s10
; %bb.394:                              ;   in Loop: Header=BB6_130 Depth=2
	s_delay_alu instid0(VALU_DEP_2) | instskip(SKIP_1) | instid1(VALU_DEP_1)
	v_cmp_lt_u64_e32 vcc_lo, 0xffffff, v[0:1]
	v_add_nc_u32_e32 v2, 15, v5
	v_cndmask_b32_e32 v4, v10, v2, vcc_lo
	v_cndmask_b32_e64 v2, 0, 1, vcc_lo
	s_delay_alu instid0(VALU_DEP_1)
	v_lshrrev_b64 v[2:3], v2, v[0:1]
; %bb.395:                              ;   in Loop: Header=BB6_130 Depth=2
	s_and_not1_saveexec_b32 s10, s10
; %bb.396:                              ;   in Loop: Header=BB6_130 Depth=2
	v_mov_b64_e32 v[2:3], v[0:1]
	v_bfe_u32 v4, v0, 23, 1
; %bb.397:                              ;   in Loop: Header=BB6_130 Depth=2
	s_or_b32 exec_lo, exec_lo, s10
	s_delay_alu instid0(VALU_DEP_2) | instskip(NEXT) | instid1(VALU_DEP_2)
	v_lshrrev_b64 v[2:3], 21, v[2:3]
	v_cmp_gt_i32_e32 vcc_lo, 32, v4
	v_min_i32_e32 v0, 31, v4
	v_cmp_eq_u32_e64 s10, 0, v4
	s_delay_alu instid0(VALU_DEP_2) | instskip(SKIP_1) | instid1(VALU_DEP_2)
	v_dual_cndmask_b32 v3, 0, v3 :: v_dual_lshlrev_b32 v0, 2, v0
	v_cndmask_b32_e32 v2, 3, v2, vcc_lo
	v_and_b32_e32 v0, 0xfc, v0
	s_delay_alu instid0(VALU_DEP_2) | instskip(NEXT) | instid1(VALU_DEP_2)
	v_cmp_eq_u64_e32 vcc_lo, 0, v[2:3]
	v_and_or_b32 v0, v2, 3, v0
	s_and_b32 s10, s10, vcc_lo
	s_delay_alu instid0(VALU_DEP_1) | instid1(SALU_CYCLE_1)
	v_cndmask_b32_e64 v0, v0, 0, s10
	s_delay_alu instid0(VALU_DEP_1)
	v_or_b32_e32 v84, v0, v8
.LBB6_398:                              ;   in Loop: Header=BB6_130 Depth=2
	s_or_b32 exec_lo, exec_lo, s42
                                        ; implicit-def: $vgpr8
.LBB6_399:                              ;   in Loop: Header=BB6_130 Depth=2
	s_and_not1_saveexec_b32 s10, s41
; %bb.400:                              ;   in Loop: Header=BB6_130 Depth=2
	v_or_b32_e32 v84, 0x7b, v8
; %bb.401:                              ;   in Loop: Header=BB6_130 Depth=2
	s_or_b32 exec_lo, exec_lo, s10
                                        ; implicit-def: $vgpr2
                                        ; implicit-def: $vgpr3
.LBB6_402:                              ;   in Loop: Header=BB6_130 Depth=2
	s_and_not1_saveexec_b32 s10, s40
	s_cbranch_execz .LBB6_408
; %bb.403:                              ;   in Loop: Header=BB6_130 Depth=2
	s_mov_b32 s40, exec_lo
                                        ; implicit-def: $vgpr84
	v_cmpx_ne_u64_e32 0, v[0:1]
	s_xor_b32 s40, exec_lo, s40
; %bb.404:                              ;   in Loop: Header=BB6_130 Depth=2
	v_or_b32_e32 v84, 0x7f, v3
                                        ; implicit-def: $vgpr2
; %bb.405:                              ;   in Loop: Header=BB6_130 Depth=2
	s_and_not1_saveexec_b32 s40, s40
; %bb.406:                              ;   in Loop: Header=BB6_130 Depth=2
	v_cmp_lt_i32_e32 vcc_lo, -1, v2
	v_mov_b32_e32 v0, 0x7c
	s_delay_alu instid0(VALU_DEP_1)
	v_cndmask_b32_e32 v84, 0xfc, v0, vcc_lo
; %bb.407:                              ;   in Loop: Header=BB6_130 Depth=2
	s_or_b32 exec_lo, exec_lo, s40
.LBB6_408:                              ;   in Loop: Header=BB6_130 Depth=2
	s_delay_alu instid0(SALU_CYCLE_1) | instskip(SKIP_3) | instid1(VALU_DEP_2)
	s_or_b32 exec_lo, exec_lo, s10
	v_lshrrev_b16 v2, 8, v12
	v_mov_b32_e32 v3, 0
	s_mov_b32 s10, exec_lo
	v_cmpx_ne_u16_e32 0, v2
	s_cbranch_execz .LBB6_418
; %bb.409:                              ;   in Loop: Header=BB6_130 Depth=2
	v_bfrev_b32_e32 v3, 1
	s_mov_b32 s40, exec_lo
	v_cmpx_ne_u16_e32 0x80, v2
	s_cbranch_execz .LBB6_417
; %bb.410:                              ;   in Loop: Header=BB6_130 Depth=2
	v_and_b32_e32 v4, 0xffff, v2
	s_delay_alu instid0(VALU_DEP_1) | instskip(SKIP_1) | instid1(VALU_DEP_2)
	v_and_b32_e32 v3, 0x7c, v4
	v_and_b32_e32 v0, 3, v4
	v_cmp_ne_u32_e32 vcc_lo, 0x7c, v3
                                        ; implicit-def: $vgpr3
	s_and_saveexec_b32 s41, vcc_lo
	s_delay_alu instid0(SALU_CYCLE_1)
	s_xor_b32 s41, exec_lo, s41
	s_cbranch_execz .LBB6_414
; %bb.411:                              ;   in Loop: Header=BB6_130 Depth=2
	v_bfe_u32 v3, v4, 2, 5
	s_mov_b32 s42, exec_lo
	s_delay_alu instid0(VALU_DEP_1)
	v_cmpx_eq_u32_e32 0, v3
; %bb.412:                              ;   in Loop: Header=BB6_130 Depth=2
	v_clz_i32_u32_e32 v0, v0
	v_mov_b32_e32 v3, v1
	s_delay_alu instid0(VALU_DEP_2) | instskip(NEXT) | instid1(VALU_DEP_1)
	v_min_u32_e32 v0, 32, v0
	v_subrev_nc_u32_e32 v4, 29, v0
	s_delay_alu instid0(VALU_DEP_1) | instskip(NEXT) | instid1(VALU_DEP_1)
	v_lshlrev_b64_e32 v[2:3], v4, v[2:3]
	v_dual_sub_nc_u32 v3, 30, v0 :: v_dual_bitop2_b32 v0, 3, v2 bitop3:0x40
; %bb.413:                              ;   in Loop: Header=BB6_130 Depth=2
	s_or_b32 exec_lo, exec_lo, s42
	v_lshlrev_b32_e32 v2, 16, v12
	s_delay_alu instid0(VALU_DEP_1) | instskip(NEXT) | instid1(VALU_DEP_1)
	v_and_b32_e32 v2, 0x80000000, v2
	v_lshl_add_u32 v2, v3, 23, v2
	s_delay_alu instid0(VALU_DEP_1) | instskip(NEXT) | instid1(VALU_DEP_1)
	v_lshl_or_b32 v0, v0, 21, v2
	v_add_nc_u32_e32 v3, 0x38000000, v0
                                        ; implicit-def: $vgpr0
.LBB6_414:                              ;   in Loop: Header=BB6_130 Depth=2
	s_and_not1_saveexec_b32 s41, s41
; %bb.415:                              ;   in Loop: Header=BB6_130 Depth=2
	v_cmp_lt_i16_e32 vcc_lo, -1, v12
	v_mov_b32_e32 v2, 0x7f800000
	s_delay_alu instid0(VALU_DEP_1) | instskip(SKIP_1) | instid1(VALU_DEP_2)
	v_cndmask_b32_e32 v2, 0xff800000, v2, vcc_lo
	v_cmp_eq_u32_e32 vcc_lo, 0, v0
	v_cndmask_b32_e32 v3, 0x7f800001, v2, vcc_lo
; %bb.416:                              ;   in Loop: Header=BB6_130 Depth=2
	s_or_b32 exec_lo, exec_lo, s41
.LBB6_417:                              ;   in Loop: Header=BB6_130 Depth=2
	s_delay_alu instid0(SALU_CYCLE_1)
	s_or_b32 exec_lo, exec_lo, s40
.LBB6_418:                              ;   in Loop: Header=BB6_130 Depth=2
	s_delay_alu instid0(SALU_CYCLE_1) | instskip(NEXT) | instid1(VALU_DEP_1)
	s_or_b32 exec_lo, exec_lo, s10
	v_dual_mul_f32 v2, s29, v3 :: v_dual_mov_b32 v5, v1
                                        ; implicit-def: $vgpr87
	s_mov_b32 s10, exec_lo
	s_delay_alu instid0(VALU_DEP_1) | instskip(SKIP_2) | instid1(VALU_DEP_3)
	v_and_b32_e32 v4, 0x7f800000, v2
	v_and_b32_e32 v0, 0x7fffff, v2
	v_lshrrev_b32_e32 v3, 24, v2
	v_cmpx_ne_u64_e32 0x7f800000, v[4:5]
	s_xor_b32 s40, exec_lo, s10
	s_cbranch_execz .LBB6_432
; %bb.419:                              ;   in Loop: Header=BB6_130 Depth=2
	v_and_b32_e32 v4, 0x7fffffff, v2
	v_mov_b32_e32 v5, v1
	v_and_b32_e32 v8, 0x80, v3
                                        ; implicit-def: $vgpr87
	s_mov_b32 s10, exec_lo
	s_delay_alu instid0(VALU_DEP_2)
	v_cmpx_gt_u64_e32 0x47600001, v[4:5]
	s_xor_b32 s41, exec_lo, s10
	s_cbranch_execz .LBB6_429
; %bb.420:                              ;   in Loop: Header=BB6_130 Depth=2
	v_mov_b32_e32 v87, 0
	s_mov_b32 s42, exec_lo
	v_cmpx_ne_u32_e32 0, v2
	s_cbranch_execz .LBB6_428
; %bb.421:                              ;   in Loop: Header=BB6_130 Depth=2
	v_bfe_u32 v10, v2, 23, 8
	v_or_b32_e32 v4, 0x800000, v0
	s_mov_b32 s43, exec_lo
	s_delay_alu instid0(VALU_DEP_2) | instskip(SKIP_1) | instid1(VALU_DEP_2)
	v_dual_mov_b32 v5, v1 :: v_dual_sub_nc_u32 v2, 0x71, v10
	v_cmp_gt_u32_e32 vcc_lo, 0x72, v10
	v_cndmask_b32_e32 v2, 0, v2, vcc_lo
	v_cmp_eq_u32_e32 vcc_lo, 0, v10
	s_delay_alu instid0(VALU_DEP_2) | instskip(NEXT) | instid1(VALU_DEP_1)
	v_cndmask_b32_e64 v11, v2, 0x70, vcc_lo
	v_dual_cndmask_b32 v4, v4, v0, vcc_lo :: v_dual_add_nc_u32 v2, 21, v11
	v_add_nc_u32_e32 v14, 20, v11
	s_delay_alu instid0(VALU_DEP_2) | instskip(NEXT) | instid1(VALU_DEP_2)
	v_lshlrev_b64_e64 v[2:3], v2, -1
	v_lshlrev_b64_e64 v[14:15], v14, 1
	s_delay_alu instid0(VALU_DEP_2) | instskip(NEXT) | instid1(VALU_DEP_3)
	v_bfi_b32 v17, v3, 0, 0
	v_bfi_b32 v16, v2, 0, v4
	v_lshrrev_b64 v[2:3], v11, v[4:5]
	s_delay_alu instid0(VALU_DEP_1) | instskip(NEXT) | instid1(VALU_DEP_3)
	v_mov_b64_e32 v[4:5], v[2:3]
	v_cmpx_eq_u64_e64 v[16:17], v[14:15]
; %bb.422:                              ;   in Loop: Header=BB6_130 Depth=2
	v_bfe_u32 v4, v2, 21, 1
	v_mov_b32_e32 v5, v1
	s_delay_alu instid0(VALU_DEP_1) | instskip(NEXT) | instid1(VALU_DEP_1)
	v_add_nc_u64_e32 v[4:5], v[2:3], v[4:5]
	v_add_nc_u64_e32 v[4:5], -1, v[4:5]
; %bb.423:                              ;   in Loop: Header=BB6_130 Depth=2
	s_or_b32 exec_lo, exec_lo, s43
	v_add_nc_u32_e32 v0, 0xffffff81, v10
	v_lshrrev_b32_e32 v3, 23, v2
	s_mov_b32 s10, exec_lo
	s_delay_alu instid0(VALU_DEP_2) | instskip(NEXT) | instid1(VALU_DEP_1)
	v_cndmask_b32_e64 v0, v0, 0xffffff82, vcc_lo
	v_add3_u32 v5, v11, v0, v3
	v_and_b32_e32 v0, 0x1fffff, v4
                                        ; implicit-def: $vgpr4
	s_delay_alu instid0(VALU_DEP_1) | instskip(NEXT) | instid1(VALU_DEP_1)
	v_dual_add_nc_u32 v10, 14, v5 :: v_dual_add_nc_u32 v0, v0, v2
                                        ; implicit-def: $vgpr2_vgpr3
	v_cmpx_ne_u32_e32 0, v10
	s_xor_b32 s10, exec_lo, s10
; %bb.424:                              ;   in Loop: Header=BB6_130 Depth=2
	s_delay_alu instid0(VALU_DEP_2) | instskip(SKIP_1) | instid1(VALU_DEP_1)
	v_cmp_lt_u64_e32 vcc_lo, 0xffffff, v[0:1]
	v_add_nc_u32_e32 v2, 15, v5
	v_cndmask_b32_e32 v4, v10, v2, vcc_lo
	v_cndmask_b32_e64 v2, 0, 1, vcc_lo
	s_delay_alu instid0(VALU_DEP_1)
	v_lshrrev_b64 v[2:3], v2, v[0:1]
; %bb.425:                              ;   in Loop: Header=BB6_130 Depth=2
	s_and_not1_saveexec_b32 s10, s10
; %bb.426:                              ;   in Loop: Header=BB6_130 Depth=2
	v_mov_b64_e32 v[2:3], v[0:1]
	v_bfe_u32 v4, v0, 23, 1
; %bb.427:                              ;   in Loop: Header=BB6_130 Depth=2
	s_or_b32 exec_lo, exec_lo, s10
	s_delay_alu instid0(VALU_DEP_2) | instskip(NEXT) | instid1(VALU_DEP_2)
	v_lshrrev_b64 v[2:3], 21, v[2:3]
	v_cmp_gt_i32_e32 vcc_lo, 32, v4
	v_min_i32_e32 v0, 31, v4
	v_cmp_eq_u32_e64 s10, 0, v4
	s_delay_alu instid0(VALU_DEP_2) | instskip(SKIP_1) | instid1(VALU_DEP_2)
	v_dual_cndmask_b32 v3, 0, v3 :: v_dual_lshlrev_b32 v0, 2, v0
	v_cndmask_b32_e32 v2, 3, v2, vcc_lo
	v_and_b32_e32 v0, 0xfc, v0
	s_delay_alu instid0(VALU_DEP_2) | instskip(NEXT) | instid1(VALU_DEP_2)
	v_cmp_eq_u64_e32 vcc_lo, 0, v[2:3]
	v_and_or_b32 v0, v2, 3, v0
	s_and_b32 s10, s10, vcc_lo
	s_delay_alu instid0(VALU_DEP_1) | instid1(SALU_CYCLE_1)
	v_cndmask_b32_e64 v0, v0, 0, s10
	s_delay_alu instid0(VALU_DEP_1)
	v_or_b32_e32 v87, v0, v8
.LBB6_428:                              ;   in Loop: Header=BB6_130 Depth=2
	s_or_b32 exec_lo, exec_lo, s42
                                        ; implicit-def: $vgpr8
.LBB6_429:                              ;   in Loop: Header=BB6_130 Depth=2
	s_and_not1_saveexec_b32 s10, s41
; %bb.430:                              ;   in Loop: Header=BB6_130 Depth=2
	v_or_b32_e32 v87, 0x7b, v8
; %bb.431:                              ;   in Loop: Header=BB6_130 Depth=2
	s_or_b32 exec_lo, exec_lo, s10
                                        ; implicit-def: $vgpr2
                                        ; implicit-def: $vgpr3
.LBB6_432:                              ;   in Loop: Header=BB6_130 Depth=2
	s_and_not1_saveexec_b32 s10, s40
	s_cbranch_execz .LBB6_438
; %bb.433:                              ;   in Loop: Header=BB6_130 Depth=2
	s_mov_b32 s40, exec_lo
                                        ; implicit-def: $vgpr87
	v_cmpx_ne_u64_e32 0, v[0:1]
	s_xor_b32 s40, exec_lo, s40
; %bb.434:                              ;   in Loop: Header=BB6_130 Depth=2
	v_or_b32_e32 v87, 0x7f, v3
                                        ; implicit-def: $vgpr2
; %bb.435:                              ;   in Loop: Header=BB6_130 Depth=2
	s_and_not1_saveexec_b32 s40, s40
; %bb.436:                              ;   in Loop: Header=BB6_130 Depth=2
	v_cmp_lt_i32_e32 vcc_lo, -1, v2
	v_mov_b32_e32 v0, 0x7c
	s_delay_alu instid0(VALU_DEP_1)
	v_cndmask_b32_e32 v87, 0xfc, v0, vcc_lo
; %bb.437:                              ;   in Loop: Header=BB6_130 Depth=2
	s_or_b32 exec_lo, exec_lo, s40
.LBB6_438:                              ;   in Loop: Header=BB6_130 Depth=2
	s_delay_alu instid0(SALU_CYCLE_1) | instskip(SKIP_2) | instid1(VALU_DEP_1)
	s_or_b32 exec_lo, exec_lo, s10
	v_dual_lshrrev_b32 v0, 16, v12 :: v_dual_mov_b32 v2, 0
	s_mov_b32 s10, exec_lo
	v_and_b32_e32 v3, 0xff, v0
	s_delay_alu instid0(VALU_DEP_1)
	v_cmpx_ne_u16_e32 0, v3
	s_cbranch_execz .LBB6_448
; %bb.439:                              ;   in Loop: Header=BB6_130 Depth=2
	v_bfrev_b32_e32 v2, 1
	s_mov_b32 s40, exec_lo
	v_cmpx_ne_u16_e32 0x80, v3
	s_cbranch_execz .LBB6_447
; %bb.440:                              ;   in Loop: Header=BB6_130 Depth=2
	v_and_b32_e32 v2, 0x7c0000, v12
	v_bfe_u32 v3, v12, 16, 2
	s_delay_alu instid0(VALU_DEP_2) | instskip(SKIP_1) | instid1(SALU_CYCLE_1)
	v_cmp_ne_u32_e32 vcc_lo, 0x7c0000, v2
                                        ; implicit-def: $vgpr2
	s_and_saveexec_b32 s41, vcc_lo
	s_xor_b32 s41, exec_lo, s41
	s_cbranch_execz .LBB6_444
; %bb.441:                              ;   in Loop: Header=BB6_130 Depth=2
	v_bfe_u32 v2, v12, 18, 5
	s_mov_b32 s42, exec_lo
	s_delay_alu instid0(VALU_DEP_1)
	v_cmpx_eq_u32_e32 0, v2
; %bb.442:                              ;   in Loop: Header=BB6_130 Depth=2
	v_clz_i32_u32_e32 v2, v3
	s_delay_alu instid0(VALU_DEP_1) | instskip(NEXT) | instid1(VALU_DEP_1)
	v_min_u32_e32 v2, 32, v2
	v_subrev_nc_u32_e32 v3, 29, v2
	s_delay_alu instid0(VALU_DEP_1) | instskip(NEXT) | instid1(VALU_DEP_1)
	v_lshlrev_b64_e32 v[4:5], v3, v[0:1]
	v_dual_sub_nc_u32 v2, 30, v2 :: v_dual_bitop2_b32 v3, 3, v4 bitop3:0x40
; %bb.443:                              ;   in Loop: Header=BB6_130 Depth=2
	s_or_b32 exec_lo, exec_lo, s42
	v_lshlrev_b32_e32 v0, 24, v0
	s_delay_alu instid0(VALU_DEP_1) | instskip(NEXT) | instid1(VALU_DEP_1)
	v_and_b32_e32 v0, 0x80000000, v0
	v_lshl_add_u32 v0, v2, 23, v0
	s_delay_alu instid0(VALU_DEP_1) | instskip(NEXT) | instid1(VALU_DEP_1)
	v_lshl_or_b32 v0, v3, 21, v0
                                        ; implicit-def: $vgpr3
	v_add_nc_u32_e32 v2, 0x38000000, v0
                                        ; implicit-def: $vgpr0
.LBB6_444:                              ;   in Loop: Header=BB6_130 Depth=2
	s_and_not1_saveexec_b32 s41, s41
; %bb.445:                              ;   in Loop: Header=BB6_130 Depth=2
	v_bfe_i32 v0, v0, 0, 8
	s_delay_alu instid0(VALU_DEP_1) | instskip(SKIP_1) | instid1(VALU_DEP_1)
	v_cmp_lt_i16_e32 vcc_lo, -1, v0
	v_mov_b32_e32 v0, 0x7f800000
	v_cndmask_b32_e32 v0, 0xff800000, v0, vcc_lo
	v_cmp_eq_u32_e32 vcc_lo, 0, v3
	s_delay_alu instid0(VALU_DEP_2)
	v_cndmask_b32_e32 v2, 0x7f800001, v0, vcc_lo
; %bb.446:                              ;   in Loop: Header=BB6_130 Depth=2
	s_or_b32 exec_lo, exec_lo, s41
.LBB6_447:                              ;   in Loop: Header=BB6_130 Depth=2
	s_delay_alu instid0(SALU_CYCLE_1)
	s_or_b32 exec_lo, exec_lo, s40
.LBB6_448:                              ;   in Loop: Header=BB6_130 Depth=2
	s_delay_alu instid0(SALU_CYCLE_1) | instskip(NEXT) | instid1(VALU_DEP_1)
	s_or_b32 exec_lo, exec_lo, s10
	v_dual_mul_f32 v2, s29, v2 :: v_dual_mov_b32 v5, v1
                                        ; implicit-def: $vgpr118
	s_mov_b32 s10, exec_lo
	s_delay_alu instid0(VALU_DEP_1) | instskip(SKIP_2) | instid1(VALU_DEP_3)
	v_and_b32_e32 v4, 0x7f800000, v2
	v_and_b32_e32 v0, 0x7fffff, v2
	v_lshrrev_b32_e32 v3, 24, v2
	v_cmpx_ne_u64_e32 0x7f800000, v[4:5]
	s_xor_b32 s40, exec_lo, s10
	s_cbranch_execz .LBB6_462
; %bb.449:                              ;   in Loop: Header=BB6_130 Depth=2
	v_and_b32_e32 v4, 0x7fffffff, v2
	v_mov_b32_e32 v5, v1
	v_and_b32_e32 v8, 0x80, v3
                                        ; implicit-def: $vgpr118
	s_mov_b32 s10, exec_lo
	s_delay_alu instid0(VALU_DEP_2)
	v_cmpx_gt_u64_e32 0x47600001, v[4:5]
	s_xor_b32 s41, exec_lo, s10
	s_cbranch_execz .LBB6_459
; %bb.450:                              ;   in Loop: Header=BB6_130 Depth=2
	v_mov_b32_e32 v118, 0
	s_mov_b32 s42, exec_lo
	v_cmpx_ne_u32_e32 0, v2
	s_cbranch_execz .LBB6_458
; %bb.451:                              ;   in Loop: Header=BB6_130 Depth=2
	v_bfe_u32 v10, v2, 23, 8
	v_or_b32_e32 v4, 0x800000, v0
	s_mov_b32 s43, exec_lo
	s_delay_alu instid0(VALU_DEP_2) | instskip(SKIP_1) | instid1(VALU_DEP_2)
	v_dual_mov_b32 v5, v1 :: v_dual_sub_nc_u32 v2, 0x71, v10
	v_cmp_gt_u32_e32 vcc_lo, 0x72, v10
	v_cndmask_b32_e32 v2, 0, v2, vcc_lo
	v_cmp_eq_u32_e32 vcc_lo, 0, v10
	s_delay_alu instid0(VALU_DEP_2) | instskip(NEXT) | instid1(VALU_DEP_1)
	v_cndmask_b32_e64 v11, v2, 0x70, vcc_lo
	v_dual_cndmask_b32 v4, v4, v0, vcc_lo :: v_dual_add_nc_u32 v2, 21, v11
	v_add_nc_u32_e32 v14, 20, v11
	s_delay_alu instid0(VALU_DEP_2) | instskip(NEXT) | instid1(VALU_DEP_2)
	v_lshlrev_b64_e64 v[2:3], v2, -1
	v_lshlrev_b64_e64 v[14:15], v14, 1
	s_delay_alu instid0(VALU_DEP_2) | instskip(NEXT) | instid1(VALU_DEP_3)
	v_bfi_b32 v17, v3, 0, 0
	v_bfi_b32 v16, v2, 0, v4
	v_lshrrev_b64 v[2:3], v11, v[4:5]
	s_delay_alu instid0(VALU_DEP_1) | instskip(NEXT) | instid1(VALU_DEP_3)
	v_mov_b64_e32 v[4:5], v[2:3]
	v_cmpx_eq_u64_e64 v[16:17], v[14:15]
; %bb.452:                              ;   in Loop: Header=BB6_130 Depth=2
	v_bfe_u32 v4, v2, 21, 1
	v_mov_b32_e32 v5, v1
	s_delay_alu instid0(VALU_DEP_1) | instskip(NEXT) | instid1(VALU_DEP_1)
	v_add_nc_u64_e32 v[4:5], v[2:3], v[4:5]
	v_add_nc_u64_e32 v[4:5], -1, v[4:5]
; %bb.453:                              ;   in Loop: Header=BB6_130 Depth=2
	s_or_b32 exec_lo, exec_lo, s43
	v_add_nc_u32_e32 v0, 0xffffff81, v10
	v_lshrrev_b32_e32 v3, 23, v2
	s_mov_b32 s10, exec_lo
	s_delay_alu instid0(VALU_DEP_2) | instskip(NEXT) | instid1(VALU_DEP_1)
	v_cndmask_b32_e64 v0, v0, 0xffffff82, vcc_lo
	v_add3_u32 v5, v11, v0, v3
	v_and_b32_e32 v0, 0x1fffff, v4
                                        ; implicit-def: $vgpr4
	s_delay_alu instid0(VALU_DEP_1) | instskip(NEXT) | instid1(VALU_DEP_1)
	v_dual_add_nc_u32 v10, 14, v5 :: v_dual_add_nc_u32 v0, v0, v2
                                        ; implicit-def: $vgpr2_vgpr3
	v_cmpx_ne_u32_e32 0, v10
	s_xor_b32 s10, exec_lo, s10
; %bb.454:                              ;   in Loop: Header=BB6_130 Depth=2
	s_delay_alu instid0(VALU_DEP_2) | instskip(SKIP_1) | instid1(VALU_DEP_1)
	v_cmp_lt_u64_e32 vcc_lo, 0xffffff, v[0:1]
	v_add_nc_u32_e32 v2, 15, v5
	v_cndmask_b32_e32 v4, v10, v2, vcc_lo
	v_cndmask_b32_e64 v2, 0, 1, vcc_lo
	s_delay_alu instid0(VALU_DEP_1)
	v_lshrrev_b64 v[2:3], v2, v[0:1]
; %bb.455:                              ;   in Loop: Header=BB6_130 Depth=2
	s_and_not1_saveexec_b32 s10, s10
; %bb.456:                              ;   in Loop: Header=BB6_130 Depth=2
	v_mov_b64_e32 v[2:3], v[0:1]
	v_bfe_u32 v4, v0, 23, 1
; %bb.457:                              ;   in Loop: Header=BB6_130 Depth=2
	s_or_b32 exec_lo, exec_lo, s10
	s_delay_alu instid0(VALU_DEP_2) | instskip(NEXT) | instid1(VALU_DEP_2)
	v_lshrrev_b64 v[2:3], 21, v[2:3]
	v_cmp_gt_i32_e32 vcc_lo, 32, v4
	v_min_i32_e32 v0, 31, v4
	v_cmp_eq_u32_e64 s10, 0, v4
	s_delay_alu instid0(VALU_DEP_2) | instskip(SKIP_1) | instid1(VALU_DEP_2)
	v_dual_cndmask_b32 v3, 0, v3 :: v_dual_lshlrev_b32 v0, 2, v0
	v_cndmask_b32_e32 v2, 3, v2, vcc_lo
	v_and_b32_e32 v0, 0xfc, v0
	s_delay_alu instid0(VALU_DEP_2) | instskip(NEXT) | instid1(VALU_DEP_2)
	v_cmp_eq_u64_e32 vcc_lo, 0, v[2:3]
	v_and_or_b32 v0, v2, 3, v0
	s_and_b32 s10, s10, vcc_lo
	s_delay_alu instid0(VALU_DEP_1) | instid1(SALU_CYCLE_1)
	v_cndmask_b32_e64 v0, v0, 0, s10
	s_delay_alu instid0(VALU_DEP_1)
	v_or_b32_e32 v118, v0, v8
.LBB6_458:                              ;   in Loop: Header=BB6_130 Depth=2
	s_or_b32 exec_lo, exec_lo, s42
                                        ; implicit-def: $vgpr8
.LBB6_459:                              ;   in Loop: Header=BB6_130 Depth=2
	s_and_not1_saveexec_b32 s10, s41
; %bb.460:                              ;   in Loop: Header=BB6_130 Depth=2
	v_or_b32_e32 v118, 0x7b, v8
; %bb.461:                              ;   in Loop: Header=BB6_130 Depth=2
	s_or_b32 exec_lo, exec_lo, s10
                                        ; implicit-def: $vgpr2
                                        ; implicit-def: $vgpr3
.LBB6_462:                              ;   in Loop: Header=BB6_130 Depth=2
	s_and_not1_saveexec_b32 s10, s40
	s_cbranch_execz .LBB6_468
; %bb.463:                              ;   in Loop: Header=BB6_130 Depth=2
	s_mov_b32 s40, exec_lo
                                        ; implicit-def: $vgpr118
	v_cmpx_ne_u64_e32 0, v[0:1]
	s_xor_b32 s40, exec_lo, s40
; %bb.464:                              ;   in Loop: Header=BB6_130 Depth=2
	v_or_b32_e32 v118, 0x7f, v3
                                        ; implicit-def: $vgpr2
; %bb.465:                              ;   in Loop: Header=BB6_130 Depth=2
	s_and_not1_saveexec_b32 s40, s40
; %bb.466:                              ;   in Loop: Header=BB6_130 Depth=2
	v_cmp_lt_i32_e32 vcc_lo, -1, v2
	v_mov_b32_e32 v0, 0x7c
	s_delay_alu instid0(VALU_DEP_1)
	v_cndmask_b32_e32 v118, 0xfc, v0, vcc_lo
; %bb.467:                              ;   in Loop: Header=BB6_130 Depth=2
	s_or_b32 exec_lo, exec_lo, s40
.LBB6_468:                              ;   in Loop: Header=BB6_130 Depth=2
	s_delay_alu instid0(SALU_CYCLE_1)
	s_or_b32 exec_lo, exec_lo, s10
	v_mov_b32_e32 v2, 0
	s_mov_b32 s10, exec_lo
	v_cmpx_lt_u32_e32 0xffffff, v12
	s_cbranch_execz .LBB6_478
; %bb.469:                              ;   in Loop: Header=BB6_130 Depth=2
	v_lshrrev_b32_e32 v0, 24, v12
	v_bfrev_b32_e32 v2, 1
	s_mov_b32 s40, exec_lo
	s_delay_alu instid0(VALU_DEP_2)
	v_cmpx_ne_u32_e32 0x80, v0
	s_cbranch_execz .LBB6_477
; %bb.470:                              ;   in Loop: Header=BB6_130 Depth=2
	v_and_b32_e32 v2, 0x7c000000, v12
	v_bfe_u32 v3, v12, 24, 2
	s_delay_alu instid0(VALU_DEP_2) | instskip(SKIP_1) | instid1(SALU_CYCLE_1)
	v_cmp_ne_u32_e32 vcc_lo, 0x7c000000, v2
                                        ; implicit-def: $vgpr2
	s_and_saveexec_b32 s41, vcc_lo
	s_xor_b32 s41, exec_lo, s41
	s_cbranch_execz .LBB6_474
; %bb.471:                              ;   in Loop: Header=BB6_130 Depth=2
	v_bfe_u32 v2, v12, 26, 5
	s_mov_b32 s42, exec_lo
	s_delay_alu instid0(VALU_DEP_1)
	v_cmpx_eq_u32_e32 0, v2
; %bb.472:                              ;   in Loop: Header=BB6_130 Depth=2
	v_clz_i32_u32_e32 v2, v3
	s_delay_alu instid0(VALU_DEP_1) | instskip(NEXT) | instid1(VALU_DEP_1)
	v_min_u32_e32 v2, 32, v2
	v_subrev_nc_u32_e32 v3, 29, v2
	s_delay_alu instid0(VALU_DEP_1) | instskip(NEXT) | instid1(VALU_DEP_1)
	v_lshlrev_b64_e32 v[4:5], v3, v[0:1]
	v_dual_sub_nc_u32 v2, 30, v2 :: v_dual_bitop2_b32 v3, 3, v4 bitop3:0x40
; %bb.473:                              ;   in Loop: Header=BB6_130 Depth=2
	s_or_b32 exec_lo, exec_lo, s42
	v_and_b32_e32 v0, 0x80000000, v12
	s_delay_alu instid0(VALU_DEP_1) | instskip(NEXT) | instid1(VALU_DEP_1)
	v_lshl_add_u32 v0, v2, 23, v0
	v_lshl_or_b32 v0, v3, 21, v0
                                        ; implicit-def: $vgpr3
	s_delay_alu instid0(VALU_DEP_1)
	v_add_nc_u32_e32 v2, 0x38000000, v0
.LBB6_474:                              ;   in Loop: Header=BB6_130 Depth=2
	s_and_not1_saveexec_b32 s41, s41
; %bb.475:                              ;   in Loop: Header=BB6_130 Depth=2
	v_cmp_lt_i32_e32 vcc_lo, -1, v12
	v_mov_b32_e32 v0, 0x7f800000
	s_delay_alu instid0(VALU_DEP_1) | instskip(SKIP_1) | instid1(VALU_DEP_2)
	v_cndmask_b32_e32 v0, 0xff800000, v0, vcc_lo
	v_cmp_eq_u32_e32 vcc_lo, 0, v3
	v_cndmask_b32_e32 v2, 0x7f800001, v0, vcc_lo
; %bb.476:                              ;   in Loop: Header=BB6_130 Depth=2
	s_or_b32 exec_lo, exec_lo, s41
.LBB6_477:                              ;   in Loop: Header=BB6_130 Depth=2
	s_delay_alu instid0(SALU_CYCLE_1)
	s_or_b32 exec_lo, exec_lo, s40
.LBB6_478:                              ;   in Loop: Header=BB6_130 Depth=2
	s_delay_alu instid0(SALU_CYCLE_1) | instskip(NEXT) | instid1(VALU_DEP_1)
	s_or_b32 exec_lo, exec_lo, s10
	v_dual_mul_f32 v2, s29, v2 :: v_dual_mov_b32 v5, v1
                                        ; implicit-def: $vgpr63
	s_mov_b32 s10, exec_lo
	s_delay_alu instid0(VALU_DEP_1) | instskip(SKIP_2) | instid1(VALU_DEP_3)
	v_and_b32_e32 v4, 0x7f800000, v2
	v_and_b32_e32 v0, 0x7fffff, v2
	v_lshrrev_b32_e32 v3, 24, v2
	v_cmpx_ne_u64_e32 0x7f800000, v[4:5]
	s_xor_b32 s40, exec_lo, s10
	s_cbranch_execz .LBB6_492
; %bb.479:                              ;   in Loop: Header=BB6_130 Depth=2
	v_and_b32_e32 v4, 0x7fffffff, v2
	v_mov_b32_e32 v5, v1
	v_and_b32_e32 v8, 0x80, v3
                                        ; implicit-def: $vgpr63
	s_mov_b32 s10, exec_lo
	s_delay_alu instid0(VALU_DEP_2)
	v_cmpx_gt_u64_e32 0x47600001, v[4:5]
	s_xor_b32 s41, exec_lo, s10
	s_cbranch_execz .LBB6_489
; %bb.480:                              ;   in Loop: Header=BB6_130 Depth=2
	v_mov_b32_e32 v63, 0
	s_mov_b32 s42, exec_lo
	v_cmpx_ne_u32_e32 0, v2
	s_cbranch_execz .LBB6_488
; %bb.481:                              ;   in Loop: Header=BB6_130 Depth=2
	v_bfe_u32 v10, v2, 23, 8
	v_or_b32_e32 v4, 0x800000, v0
	s_mov_b32 s43, exec_lo
	s_delay_alu instid0(VALU_DEP_2) | instskip(SKIP_1) | instid1(VALU_DEP_2)
	v_dual_mov_b32 v5, v1 :: v_dual_sub_nc_u32 v2, 0x71, v10
	v_cmp_gt_u32_e32 vcc_lo, 0x72, v10
	v_cndmask_b32_e32 v2, 0, v2, vcc_lo
	v_cmp_eq_u32_e32 vcc_lo, 0, v10
	s_delay_alu instid0(VALU_DEP_2) | instskip(NEXT) | instid1(VALU_DEP_1)
	v_cndmask_b32_e64 v11, v2, 0x70, vcc_lo
	v_dual_cndmask_b32 v4, v4, v0, vcc_lo :: v_dual_add_nc_u32 v2, 21, v11
	v_add_nc_u32_e32 v14, 20, v11
	s_delay_alu instid0(VALU_DEP_2) | instskip(NEXT) | instid1(VALU_DEP_2)
	v_lshlrev_b64_e64 v[2:3], v2, -1
	v_lshlrev_b64_e64 v[14:15], v14, 1
	s_delay_alu instid0(VALU_DEP_2) | instskip(NEXT) | instid1(VALU_DEP_3)
	v_bfi_b32 v17, v3, 0, 0
	v_bfi_b32 v16, v2, 0, v4
	v_lshrrev_b64 v[2:3], v11, v[4:5]
	s_delay_alu instid0(VALU_DEP_1) | instskip(NEXT) | instid1(VALU_DEP_3)
	v_mov_b64_e32 v[4:5], v[2:3]
	v_cmpx_eq_u64_e64 v[16:17], v[14:15]
; %bb.482:                              ;   in Loop: Header=BB6_130 Depth=2
	v_bfe_u32 v4, v2, 21, 1
	v_mov_b32_e32 v5, v1
	s_delay_alu instid0(VALU_DEP_1) | instskip(NEXT) | instid1(VALU_DEP_1)
	v_add_nc_u64_e32 v[4:5], v[2:3], v[4:5]
	v_add_nc_u64_e32 v[4:5], -1, v[4:5]
; %bb.483:                              ;   in Loop: Header=BB6_130 Depth=2
	s_or_b32 exec_lo, exec_lo, s43
	v_add_nc_u32_e32 v0, 0xffffff81, v10
	v_lshrrev_b32_e32 v3, 23, v2
	s_mov_b32 s10, exec_lo
	s_delay_alu instid0(VALU_DEP_2) | instskip(NEXT) | instid1(VALU_DEP_1)
	v_cndmask_b32_e64 v0, v0, 0xffffff82, vcc_lo
	v_add3_u32 v5, v11, v0, v3
	v_and_b32_e32 v0, 0x1fffff, v4
                                        ; implicit-def: $vgpr4
	s_delay_alu instid0(VALU_DEP_1) | instskip(NEXT) | instid1(VALU_DEP_1)
	v_dual_add_nc_u32 v10, 14, v5 :: v_dual_add_nc_u32 v0, v0, v2
                                        ; implicit-def: $vgpr2_vgpr3
	v_cmpx_ne_u32_e32 0, v10
	s_xor_b32 s10, exec_lo, s10
; %bb.484:                              ;   in Loop: Header=BB6_130 Depth=2
	s_delay_alu instid0(VALU_DEP_2) | instskip(SKIP_1) | instid1(VALU_DEP_1)
	v_cmp_lt_u64_e32 vcc_lo, 0xffffff, v[0:1]
	v_add_nc_u32_e32 v2, 15, v5
	v_cndmask_b32_e32 v4, v10, v2, vcc_lo
	v_cndmask_b32_e64 v2, 0, 1, vcc_lo
	s_delay_alu instid0(VALU_DEP_1)
	v_lshrrev_b64 v[2:3], v2, v[0:1]
; %bb.485:                              ;   in Loop: Header=BB6_130 Depth=2
	s_and_not1_saveexec_b32 s10, s10
; %bb.486:                              ;   in Loop: Header=BB6_130 Depth=2
	v_mov_b64_e32 v[2:3], v[0:1]
	v_bfe_u32 v4, v0, 23, 1
; %bb.487:                              ;   in Loop: Header=BB6_130 Depth=2
	s_or_b32 exec_lo, exec_lo, s10
	s_delay_alu instid0(VALU_DEP_2) | instskip(NEXT) | instid1(VALU_DEP_2)
	v_lshrrev_b64 v[2:3], 21, v[2:3]
	v_cmp_gt_i32_e32 vcc_lo, 32, v4
	v_min_i32_e32 v0, 31, v4
	v_cmp_eq_u32_e64 s10, 0, v4
	s_delay_alu instid0(VALU_DEP_2) | instskip(SKIP_1) | instid1(VALU_DEP_2)
	v_dual_cndmask_b32 v3, 0, v3 :: v_dual_lshlrev_b32 v0, 2, v0
	v_cndmask_b32_e32 v2, 3, v2, vcc_lo
	v_and_b32_e32 v0, 0xfc, v0
	s_delay_alu instid0(VALU_DEP_2) | instskip(NEXT) | instid1(VALU_DEP_2)
	v_cmp_eq_u64_e32 vcc_lo, 0, v[2:3]
	v_and_or_b32 v0, v2, 3, v0
	s_and_b32 s10, s10, vcc_lo
	s_delay_alu instid0(VALU_DEP_1) | instid1(SALU_CYCLE_1)
	v_cndmask_b32_e64 v0, v0, 0, s10
	s_delay_alu instid0(VALU_DEP_1)
	v_or_b32_e32 v63, v0, v8
.LBB6_488:                              ;   in Loop: Header=BB6_130 Depth=2
	s_or_b32 exec_lo, exec_lo, s42
                                        ; implicit-def: $vgpr8
.LBB6_489:                              ;   in Loop: Header=BB6_130 Depth=2
	s_and_not1_saveexec_b32 s10, s41
; %bb.490:                              ;   in Loop: Header=BB6_130 Depth=2
	v_or_b32_e32 v63, 0x7b, v8
; %bb.491:                              ;   in Loop: Header=BB6_130 Depth=2
	s_or_b32 exec_lo, exec_lo, s10
                                        ; implicit-def: $vgpr2
                                        ; implicit-def: $vgpr3
.LBB6_492:                              ;   in Loop: Header=BB6_130 Depth=2
	s_and_not1_saveexec_b32 s10, s40
	s_cbranch_execz .LBB6_498
; %bb.493:                              ;   in Loop: Header=BB6_130 Depth=2
	s_mov_b32 s40, exec_lo
                                        ; implicit-def: $vgpr63
	v_cmpx_ne_u64_e32 0, v[0:1]
	s_xor_b32 s40, exec_lo, s40
; %bb.494:                              ;   in Loop: Header=BB6_130 Depth=2
	v_or_b32_e32 v63, 0x7f, v3
                                        ; implicit-def: $vgpr2
; %bb.495:                              ;   in Loop: Header=BB6_130 Depth=2
	s_and_not1_saveexec_b32 s40, s40
; %bb.496:                              ;   in Loop: Header=BB6_130 Depth=2
	v_cmp_lt_i32_e32 vcc_lo, -1, v2
	v_mov_b32_e32 v0, 0x7c
	s_delay_alu instid0(VALU_DEP_1)
	v_cndmask_b32_e32 v63, 0xfc, v0, vcc_lo
; %bb.497:                              ;   in Loop: Header=BB6_130 Depth=2
	s_or_b32 exec_lo, exec_lo, s40
.LBB6_498:                              ;   in Loop: Header=BB6_130 Depth=2
	s_delay_alu instid0(SALU_CYCLE_1) | instskip(SKIP_3) | instid1(VALU_DEP_2)
	s_or_b32 exec_lo, exec_lo, s10
	v_and_b32_e32 v3, 0xff, v13
	v_dual_mov_b32 v0, v13 :: v_dual_mov_b32 v2, 0
	s_mov_b32 s10, exec_lo
	v_cmpx_ne_u16_e32 0, v3
	s_cbranch_execz .LBB6_508
; %bb.499:                              ;   in Loop: Header=BB6_130 Depth=2
	v_bfrev_b32_e32 v2, 1
	s_mov_b32 s40, exec_lo
	v_cmpx_ne_u16_e32 0x80, v3
	s_cbranch_execz .LBB6_507
; %bb.500:                              ;   in Loop: Header=BB6_130 Depth=2
	v_and_b32_e32 v2, 0x7c, v13
	v_and_b32_e32 v3, 3, v13
	s_delay_alu instid0(VALU_DEP_2) | instskip(SKIP_1) | instid1(SALU_CYCLE_1)
	v_cmp_ne_u32_e32 vcc_lo, 0x7c, v2
                                        ; implicit-def: $vgpr2
	s_and_saveexec_b32 s41, vcc_lo
	s_xor_b32 s41, exec_lo, s41
	s_cbranch_execz .LBB6_504
; %bb.501:                              ;   in Loop: Header=BB6_130 Depth=2
	v_bfe_u32 v2, v13, 2, 5
	s_mov_b32 s42, exec_lo
	s_delay_alu instid0(VALU_DEP_1)
	v_cmpx_eq_u32_e32 0, v2
; %bb.502:                              ;   in Loop: Header=BB6_130 Depth=2
	v_clz_i32_u32_e32 v2, v3
	s_delay_alu instid0(VALU_DEP_1) | instskip(NEXT) | instid1(VALU_DEP_1)
	v_min_u32_e32 v2, 32, v2
	v_subrev_nc_u32_e32 v3, 29, v2
	s_delay_alu instid0(VALU_DEP_1) | instskip(NEXT) | instid1(VALU_DEP_1)
	v_lshlrev_b64_e32 v[4:5], v3, v[0:1]
	v_dual_sub_nc_u32 v2, 30, v2 :: v_dual_bitop2_b32 v3, 3, v4 bitop3:0x40
; %bb.503:                              ;   in Loop: Header=BB6_130 Depth=2
	s_or_b32 exec_lo, exec_lo, s42
	v_lshlrev_b32_e32 v4, 24, v13
	s_delay_alu instid0(VALU_DEP_1) | instskip(NEXT) | instid1(VALU_DEP_1)
	v_and_b32_e32 v4, 0x80000000, v4
	v_lshl_add_u32 v2, v2, 23, v4
	s_delay_alu instid0(VALU_DEP_1) | instskip(NEXT) | instid1(VALU_DEP_1)
	v_lshl_or_b32 v2, v3, 21, v2
                                        ; implicit-def: $vgpr3
	v_add_nc_u32_e32 v2, 0x38000000, v2
.LBB6_504:                              ;   in Loop: Header=BB6_130 Depth=2
	s_and_not1_saveexec_b32 s41, s41
; %bb.505:                              ;   in Loop: Header=BB6_130 Depth=2
	v_bfe_i32 v2, v13, 0, 8
	s_delay_alu instid0(VALU_DEP_1) | instskip(SKIP_1) | instid1(VALU_DEP_1)
	v_cmp_lt_i16_e32 vcc_lo, -1, v2
	v_mov_b32_e32 v2, 0x7f800000
	v_cndmask_b32_e32 v2, 0xff800000, v2, vcc_lo
	v_cmp_eq_u32_e32 vcc_lo, 0, v3
	s_delay_alu instid0(VALU_DEP_2)
	v_cndmask_b32_e32 v2, 0x7f800001, v2, vcc_lo
; %bb.506:                              ;   in Loop: Header=BB6_130 Depth=2
	s_or_b32 exec_lo, exec_lo, s41
.LBB6_507:                              ;   in Loop: Header=BB6_130 Depth=2
	s_delay_alu instid0(SALU_CYCLE_1)
	s_or_b32 exec_lo, exec_lo, s40
.LBB6_508:                              ;   in Loop: Header=BB6_130 Depth=2
	s_delay_alu instid0(SALU_CYCLE_1) | instskip(NEXT) | instid1(VALU_DEP_1)
	s_or_b32 exec_lo, exec_lo, s10
	v_dual_mul_f32 v4, s29, v2 :: v_dual_mov_b32 v11, v1
	v_mov_b32_e32 v3, v1
                                        ; implicit-def: $vgpr41
	s_mov_b32 s10, exec_lo
	s_delay_alu instid0(VALU_DEP_2) | instskip(SKIP_2) | instid1(VALU_DEP_3)
	v_and_b32_e32 v10, 0x7f800000, v4
	v_and_b32_e32 v2, 0x7fffff, v4
	v_lshrrev_b32_e32 v5, 24, v4
	v_cmpx_ne_u64_e32 0x7f800000, v[10:11]
	s_xor_b32 s40, exec_lo, s10
	s_cbranch_execz .LBB6_522
; %bb.509:                              ;   in Loop: Header=BB6_130 Depth=2
	v_and_b32_e32 v10, 0x7fffffff, v4
	v_mov_b32_e32 v11, v1
	v_and_b32_e32 v8, 0x80, v5
                                        ; implicit-def: $vgpr41
	s_mov_b32 s10, exec_lo
	s_delay_alu instid0(VALU_DEP_2)
	v_cmpx_gt_u64_e32 0x47600001, v[10:11]
	s_xor_b32 s41, exec_lo, s10
	s_cbranch_execz .LBB6_519
; %bb.510:                              ;   in Loop: Header=BB6_130 Depth=2
	v_mov_b32_e32 v41, 0
	s_mov_b32 s42, exec_lo
	v_cmpx_ne_u32_e32 0, v4
	s_cbranch_execz .LBB6_518
; %bb.511:                              ;   in Loop: Header=BB6_130 Depth=2
	v_bfe_u32 v10, v4, 23, 8
	v_or_b32_e32 v14, 0x800000, v2
	s_delay_alu instid0(VALU_DEP_2) | instskip(SKIP_1) | instid1(VALU_DEP_2)
	v_sub_nc_u32_e32 v4, 0x71, v10
	v_cmp_gt_u32_e32 vcc_lo, 0x72, v10
	v_cndmask_b32_e32 v4, 0, v4, vcc_lo
	v_cmp_eq_u32_e32 vcc_lo, 0, v10
	s_delay_alu instid0(VALU_DEP_2) | instskip(NEXT) | instid1(VALU_DEP_1)
	v_cndmask_b32_e64 v11, v4, 0x70, vcc_lo
	v_dual_cndmask_b32 v2, v14, v2, vcc_lo :: v_dual_add_nc_u32 v4, 21, v11
	v_add_nc_u32_e32 v15, 20, v11
	s_delay_alu instid0(VALU_DEP_2) | instskip(NEXT) | instid1(VALU_DEP_2)
	v_lshlrev_b64_e64 v[4:5], v4, -1
	v_lshlrev_b64_e64 v[14:15], v15, 1
	s_delay_alu instid0(VALU_DEP_2) | instskip(SKIP_1) | instid1(VALU_DEP_4)
	v_bfi_b32 v4, v4, 0, v2
	v_lshrrev_b64 v[2:3], v11, v[2:3]
	v_bfi_b32 v5, v5, 0, 0
	s_delay_alu instid0(VALU_DEP_1) | instskip(NEXT) | instid1(VALU_DEP_3)
	v_cmp_eq_u64_e64 s10, v[4:5], v[14:15]
	v_mov_b64_e32 v[4:5], v[2:3]
	s_and_saveexec_b32 s43, s10
; %bb.512:                              ;   in Loop: Header=BB6_130 Depth=2
	v_bfe_u32 v4, v2, 21, 1
	v_mov_b32_e32 v5, v1
	s_delay_alu instid0(VALU_DEP_1) | instskip(NEXT) | instid1(VALU_DEP_1)
	v_add_nc_u64_e32 v[4:5], v[2:3], v[4:5]
	v_add_nc_u64_e32 v[4:5], -1, v[4:5]
; %bb.513:                              ;   in Loop: Header=BB6_130 Depth=2
	s_or_b32 exec_lo, exec_lo, s43
	v_add_nc_u32_e32 v3, 0xffffff81, v10
	v_lshrrev_b32_e32 v5, 23, v2
	s_mov_b32 s10, exec_lo
	s_delay_alu instid0(VALU_DEP_2) | instskip(NEXT) | instid1(VALU_DEP_1)
	v_cndmask_b32_e64 v3, v3, 0xffffff82, vcc_lo
	v_add3_u32 v5, v11, v3, v5
	v_and_b32_e32 v3, 0x1fffff, v4
                                        ; implicit-def: $vgpr4
	s_delay_alu instid0(VALU_DEP_1) | instskip(SKIP_1) | instid1(VALU_DEP_2)
	v_dual_add_nc_u32 v10, 14, v5 :: v_dual_add_nc_u32 v2, v3, v2
	v_mov_b32_e32 v3, v1
	v_cmpx_ne_u32_e32 0, v10
	s_xor_b32 s10, exec_lo, s10
; %bb.514:                              ;   in Loop: Header=BB6_130 Depth=2
	s_delay_alu instid0(VALU_DEP_2) | instskip(SKIP_2) | instid1(VALU_DEP_2)
	v_cmp_lt_u64_e32 vcc_lo, 0xffffff, v[2:3]
	v_add_nc_u32_e32 v4, 15, v5
	v_cndmask_b32_e64 v5, 0, 1, vcc_lo
	v_cndmask_b32_e32 v4, v10, v4, vcc_lo
	s_delay_alu instid0(VALU_DEP_2)
	v_lshrrev_b64 v[2:3], v5, v[2:3]
; %bb.515:                              ;   in Loop: Header=BB6_130 Depth=2
	s_and_not1_saveexec_b32 s10, s10
; %bb.516:                              ;   in Loop: Header=BB6_130 Depth=2
	s_delay_alu instid0(VALU_DEP_1)
	v_bfe_u32 v4, v2, 23, 1
; %bb.517:                              ;   in Loop: Header=BB6_130 Depth=2
	s_or_b32 exec_lo, exec_lo, s10
	s_delay_alu instid0(VALU_DEP_2) | instskip(NEXT) | instid1(VALU_DEP_2)
	v_lshrrev_b64 v[2:3], 21, v[2:3]
	v_cmp_gt_i32_e32 vcc_lo, 32, v4
	v_min_i32_e32 v5, 31, v4
	v_cmp_eq_u32_e64 s10, 0, v4
	s_delay_alu instid0(VALU_DEP_2) | instskip(SKIP_1) | instid1(VALU_DEP_2)
	v_dual_cndmask_b32 v3, 0, v3, vcc_lo :: v_dual_lshlrev_b32 v5, 2, v5
	v_cndmask_b32_e32 v2, 3, v2, vcc_lo
	v_and_b32_e32 v5, 0xfc, v5
	s_delay_alu instid0(VALU_DEP_2) | instskip(NEXT) | instid1(VALU_DEP_2)
	v_cmp_eq_u64_e32 vcc_lo, 0, v[2:3]
	v_and_or_b32 v2, v2, 3, v5
	s_and_b32 s10, s10, vcc_lo
	s_delay_alu instid0(VALU_DEP_1) | instid1(SALU_CYCLE_1)
	v_cndmask_b32_e64 v2, v2, 0, s10
	s_delay_alu instid0(VALU_DEP_1)
	v_or_b32_e32 v41, v2, v8
.LBB6_518:                              ;   in Loop: Header=BB6_130 Depth=2
	s_or_b32 exec_lo, exec_lo, s42
                                        ; implicit-def: $vgpr8
.LBB6_519:                              ;   in Loop: Header=BB6_130 Depth=2
	s_and_not1_saveexec_b32 s10, s41
; %bb.520:                              ;   in Loop: Header=BB6_130 Depth=2
	v_or_b32_e32 v41, 0x7b, v8
; %bb.521:                              ;   in Loop: Header=BB6_130 Depth=2
	s_or_b32 exec_lo, exec_lo, s10
                                        ; implicit-def: $vgpr4
                                        ; implicit-def: $vgpr2_vgpr3
                                        ; implicit-def: $vgpr5
.LBB6_522:                              ;   in Loop: Header=BB6_130 Depth=2
	s_and_not1_saveexec_b32 s10, s40
	s_cbranch_execz .LBB6_528
; %bb.523:                              ;   in Loop: Header=BB6_130 Depth=2
	s_mov_b32 s40, exec_lo
                                        ; implicit-def: $vgpr41
	v_cmpx_ne_u64_e32 0, v[2:3]
	s_xor_b32 s40, exec_lo, s40
; %bb.524:                              ;   in Loop: Header=BB6_130 Depth=2
	v_or_b32_e32 v41, 0x7f, v5
                                        ; implicit-def: $vgpr4
; %bb.525:                              ;   in Loop: Header=BB6_130 Depth=2
	s_and_not1_saveexec_b32 s40, s40
; %bb.526:                              ;   in Loop: Header=BB6_130 Depth=2
	v_cmp_lt_i32_e32 vcc_lo, -1, v4
	v_mov_b32_e32 v2, 0x7c
	s_delay_alu instid0(VALU_DEP_1)
	v_cndmask_b32_e32 v41, 0xfc, v2, vcc_lo
; %bb.527:                              ;   in Loop: Header=BB6_130 Depth=2
	s_or_b32 exec_lo, exec_lo, s40
.LBB6_528:                              ;   in Loop: Header=BB6_130 Depth=2
	s_delay_alu instid0(SALU_CYCLE_1) | instskip(SKIP_3) | instid1(VALU_DEP_2)
	s_or_b32 exec_lo, exec_lo, s10
	v_lshrrev_b16 v2, 8, v0
	v_mov_b32_e32 v4, 0
	s_mov_b32 s10, exec_lo
	v_cmpx_ne_u16_e32 0, v2
	s_cbranch_execz .LBB6_538
; %bb.529:                              ;   in Loop: Header=BB6_130 Depth=2
	v_bfrev_b32_e32 v4, 1
	s_mov_b32 s40, exec_lo
	v_cmpx_ne_u16_e32 0x80, v2
	s_cbranch_execz .LBB6_537
; %bb.530:                              ;   in Loop: Header=BB6_130 Depth=2
	v_and_b32_e32 v5, 0xffff, v2
	s_delay_alu instid0(VALU_DEP_1) | instskip(SKIP_1) | instid1(VALU_DEP_2)
	v_and_b32_e32 v4, 0x7c, v5
	v_and_b32_e32 v3, 3, v5
	v_cmp_ne_u32_e32 vcc_lo, 0x7c, v4
                                        ; implicit-def: $vgpr4
	s_and_saveexec_b32 s41, vcc_lo
	s_delay_alu instid0(SALU_CYCLE_1)
	s_xor_b32 s41, exec_lo, s41
	s_cbranch_execz .LBB6_534
; %bb.531:                              ;   in Loop: Header=BB6_130 Depth=2
	v_bfe_u32 v4, v5, 2, 5
	s_mov_b32 s42, exec_lo
	s_delay_alu instid0(VALU_DEP_1)
	v_cmpx_eq_u32_e32 0, v4
	s_cbranch_execz .LBB6_533
; %bb.532:                              ;   in Loop: Header=BB6_130 Depth=2
	v_clz_i32_u32_e32 v3, v3
	s_delay_alu instid0(VALU_DEP_1) | instskip(SKIP_1) | instid1(VALU_DEP_2)
	v_min_u32_e32 v4, 32, v3
	v_mov_b32_e32 v3, v1
	v_subrev_nc_u32_e32 v5, 29, v4
	v_sub_nc_u32_e32 v4, 30, v4
	s_delay_alu instid0(VALU_DEP_2) | instskip(NEXT) | instid1(VALU_DEP_1)
	v_lshlrev_b64_e32 v[2:3], v5, v[2:3]
	v_and_b32_e32 v3, 3, v2
.LBB6_533:                              ;   in Loop: Header=BB6_130 Depth=2
	s_or_b32 exec_lo, exec_lo, s42
	v_lshlrev_b32_e32 v0, 16, v0
	s_delay_alu instid0(VALU_DEP_1) | instskip(NEXT) | instid1(VALU_DEP_1)
	v_and_b32_e32 v0, 0x80000000, v0
	v_lshl_add_u32 v0, v4, 23, v0
	s_delay_alu instid0(VALU_DEP_1) | instskip(NEXT) | instid1(VALU_DEP_1)
	v_lshl_or_b32 v0, v3, 21, v0
                                        ; implicit-def: $vgpr3
	v_add_nc_u32_e32 v4, 0x38000000, v0
.LBB6_534:                              ;   in Loop: Header=BB6_130 Depth=2
	s_and_not1_saveexec_b32 s41, s41
; %bb.535:                              ;   in Loop: Header=BB6_130 Depth=2
	v_cmp_lt_i16_e32 vcc_lo, -1, v0
	v_mov_b32_e32 v0, 0x7f800000
	s_delay_alu instid0(VALU_DEP_1) | instskip(SKIP_1) | instid1(VALU_DEP_2)
	v_cndmask_b32_e32 v0, 0xff800000, v0, vcc_lo
	v_cmp_eq_u32_e32 vcc_lo, 0, v3
	v_cndmask_b32_e32 v4, 0x7f800001, v0, vcc_lo
; %bb.536:                              ;   in Loop: Header=BB6_130 Depth=2
	s_or_b32 exec_lo, exec_lo, s41
.LBB6_537:                              ;   in Loop: Header=BB6_130 Depth=2
	s_delay_alu instid0(SALU_CYCLE_1)
	s_or_b32 exec_lo, exec_lo, s40
.LBB6_538:                              ;   in Loop: Header=BB6_130 Depth=2
	s_delay_alu instid0(SALU_CYCLE_1) | instskip(NEXT) | instid1(VALU_DEP_1)
	s_or_b32 exec_lo, exec_lo, s10
	v_dual_mul_f32 v2, s29, v4 :: v_dual_mov_b32 v5, v1
                                        ; implicit-def: $vgpr46
	s_mov_b32 s10, exec_lo
	s_delay_alu instid0(VALU_DEP_1) | instskip(SKIP_2) | instid1(VALU_DEP_3)
	v_and_b32_e32 v4, 0x7f800000, v2
	v_and_b32_e32 v0, 0x7fffff, v2
	v_lshrrev_b32_e32 v3, 24, v2
	v_cmpx_ne_u64_e32 0x7f800000, v[4:5]
	s_xor_b32 s40, exec_lo, s10
	s_cbranch_execz .LBB6_552
; %bb.539:                              ;   in Loop: Header=BB6_130 Depth=2
	v_and_b32_e32 v4, 0x7fffffff, v2
	v_mov_b32_e32 v5, v1
	v_and_b32_e32 v8, 0x80, v3
                                        ; implicit-def: $vgpr46
	s_mov_b32 s10, exec_lo
	s_delay_alu instid0(VALU_DEP_2)
	v_cmpx_gt_u64_e32 0x47600001, v[4:5]
	s_xor_b32 s41, exec_lo, s10
	s_cbranch_execz .LBB6_549
; %bb.540:                              ;   in Loop: Header=BB6_130 Depth=2
	v_mov_b32_e32 v46, 0
	s_mov_b32 s42, exec_lo
	v_cmpx_ne_u32_e32 0, v2
	s_cbranch_execz .LBB6_548
; %bb.541:                              ;   in Loop: Header=BB6_130 Depth=2
	v_bfe_u32 v10, v2, 23, 8
	v_or_b32_e32 v4, 0x800000, v0
	s_mov_b32 s43, exec_lo
	s_delay_alu instid0(VALU_DEP_2) | instskip(SKIP_1) | instid1(VALU_DEP_2)
	v_dual_mov_b32 v5, v1 :: v_dual_sub_nc_u32 v2, 0x71, v10
	v_cmp_gt_u32_e32 vcc_lo, 0x72, v10
	v_cndmask_b32_e32 v2, 0, v2, vcc_lo
	v_cmp_eq_u32_e32 vcc_lo, 0, v10
	s_delay_alu instid0(VALU_DEP_2) | instskip(NEXT) | instid1(VALU_DEP_1)
	v_cndmask_b32_e64 v11, v2, 0x70, vcc_lo
	v_dual_cndmask_b32 v4, v4, v0, vcc_lo :: v_dual_add_nc_u32 v2, 21, v11
	v_add_nc_u32_e32 v14, 20, v11
	s_delay_alu instid0(VALU_DEP_2) | instskip(NEXT) | instid1(VALU_DEP_2)
	v_lshlrev_b64_e64 v[2:3], v2, -1
	v_lshlrev_b64_e64 v[14:15], v14, 1
	s_delay_alu instid0(VALU_DEP_2) | instskip(NEXT) | instid1(VALU_DEP_3)
	v_bfi_b32 v17, v3, 0, 0
	v_bfi_b32 v16, v2, 0, v4
	v_lshrrev_b64 v[2:3], v11, v[4:5]
	s_delay_alu instid0(VALU_DEP_1) | instskip(NEXT) | instid1(VALU_DEP_3)
	v_mov_b64_e32 v[4:5], v[2:3]
	v_cmpx_eq_u64_e64 v[16:17], v[14:15]
; %bb.542:                              ;   in Loop: Header=BB6_130 Depth=2
	v_bfe_u32 v4, v2, 21, 1
	v_mov_b32_e32 v5, v1
	s_delay_alu instid0(VALU_DEP_1) | instskip(NEXT) | instid1(VALU_DEP_1)
	v_add_nc_u64_e32 v[4:5], v[2:3], v[4:5]
	v_add_nc_u64_e32 v[4:5], -1, v[4:5]
; %bb.543:                              ;   in Loop: Header=BB6_130 Depth=2
	s_or_b32 exec_lo, exec_lo, s43
	v_add_nc_u32_e32 v0, 0xffffff81, v10
	v_lshrrev_b32_e32 v3, 23, v2
	s_mov_b32 s10, exec_lo
	s_delay_alu instid0(VALU_DEP_2) | instskip(NEXT) | instid1(VALU_DEP_1)
	v_cndmask_b32_e64 v0, v0, 0xffffff82, vcc_lo
	v_add3_u32 v5, v11, v0, v3
	v_and_b32_e32 v0, 0x1fffff, v4
                                        ; implicit-def: $vgpr4
	s_delay_alu instid0(VALU_DEP_1) | instskip(NEXT) | instid1(VALU_DEP_1)
	v_dual_add_nc_u32 v10, 14, v5 :: v_dual_add_nc_u32 v0, v0, v2
                                        ; implicit-def: $vgpr2_vgpr3
	v_cmpx_ne_u32_e32 0, v10
	s_xor_b32 s10, exec_lo, s10
; %bb.544:                              ;   in Loop: Header=BB6_130 Depth=2
	s_delay_alu instid0(VALU_DEP_2) | instskip(SKIP_1) | instid1(VALU_DEP_1)
	v_cmp_lt_u64_e32 vcc_lo, 0xffffff, v[0:1]
	v_add_nc_u32_e32 v2, 15, v5
	v_cndmask_b32_e32 v4, v10, v2, vcc_lo
	v_cndmask_b32_e64 v2, 0, 1, vcc_lo
	s_delay_alu instid0(VALU_DEP_1)
	v_lshrrev_b64 v[2:3], v2, v[0:1]
; %bb.545:                              ;   in Loop: Header=BB6_130 Depth=2
	s_and_not1_saveexec_b32 s10, s10
; %bb.546:                              ;   in Loop: Header=BB6_130 Depth=2
	v_mov_b64_e32 v[2:3], v[0:1]
	v_bfe_u32 v4, v0, 23, 1
; %bb.547:                              ;   in Loop: Header=BB6_130 Depth=2
	s_or_b32 exec_lo, exec_lo, s10
	s_delay_alu instid0(VALU_DEP_2) | instskip(NEXT) | instid1(VALU_DEP_2)
	v_lshrrev_b64 v[2:3], 21, v[2:3]
	v_cmp_gt_i32_e32 vcc_lo, 32, v4
	v_min_i32_e32 v0, 31, v4
	v_cmp_eq_u32_e64 s10, 0, v4
	s_delay_alu instid0(VALU_DEP_2) | instskip(SKIP_1) | instid1(VALU_DEP_2)
	v_dual_cndmask_b32 v3, 0, v3 :: v_dual_lshlrev_b32 v0, 2, v0
	v_cndmask_b32_e32 v2, 3, v2, vcc_lo
	v_and_b32_e32 v0, 0xfc, v0
	s_delay_alu instid0(VALU_DEP_2) | instskip(NEXT) | instid1(VALU_DEP_2)
	v_cmp_eq_u64_e32 vcc_lo, 0, v[2:3]
	v_and_or_b32 v0, v2, 3, v0
	s_and_b32 s10, s10, vcc_lo
	s_delay_alu instid0(VALU_DEP_1) | instid1(SALU_CYCLE_1)
	v_cndmask_b32_e64 v0, v0, 0, s10
	s_delay_alu instid0(VALU_DEP_1)
	v_or_b32_e32 v46, v0, v8
.LBB6_548:                              ;   in Loop: Header=BB6_130 Depth=2
	s_or_b32 exec_lo, exec_lo, s42
                                        ; implicit-def: $vgpr8
.LBB6_549:                              ;   in Loop: Header=BB6_130 Depth=2
	s_and_not1_saveexec_b32 s10, s41
; %bb.550:                              ;   in Loop: Header=BB6_130 Depth=2
	v_or_b32_e32 v46, 0x7b, v8
; %bb.551:                              ;   in Loop: Header=BB6_130 Depth=2
	s_or_b32 exec_lo, exec_lo, s10
                                        ; implicit-def: $vgpr2
                                        ; implicit-def: $vgpr3
.LBB6_552:                              ;   in Loop: Header=BB6_130 Depth=2
	s_and_not1_saveexec_b32 s10, s40
	s_cbranch_execz .LBB6_558
; %bb.553:                              ;   in Loop: Header=BB6_130 Depth=2
	s_mov_b32 s40, exec_lo
                                        ; implicit-def: $vgpr46
	v_cmpx_ne_u64_e32 0, v[0:1]
	s_xor_b32 s40, exec_lo, s40
; %bb.554:                              ;   in Loop: Header=BB6_130 Depth=2
	v_or_b32_e32 v46, 0x7f, v3
                                        ; implicit-def: $vgpr2
; %bb.555:                              ;   in Loop: Header=BB6_130 Depth=2
	s_and_not1_saveexec_b32 s40, s40
; %bb.556:                              ;   in Loop: Header=BB6_130 Depth=2
	v_cmp_lt_i32_e32 vcc_lo, -1, v2
	v_mov_b32_e32 v0, 0x7c
	s_delay_alu instid0(VALU_DEP_1)
	v_cndmask_b32_e32 v46, 0xfc, v0, vcc_lo
; %bb.557:                              ;   in Loop: Header=BB6_130 Depth=2
	s_or_b32 exec_lo, exec_lo, s40
.LBB6_558:                              ;   in Loop: Header=BB6_130 Depth=2
	s_delay_alu instid0(SALU_CYCLE_1) | instskip(SKIP_2) | instid1(VALU_DEP_1)
	s_or_b32 exec_lo, exec_lo, s10
	v_dual_lshrrev_b32 v0, 16, v13 :: v_dual_mov_b32 v2, 0
	s_mov_b32 s10, exec_lo
	v_and_b32_e32 v3, 0xff, v0
	s_delay_alu instid0(VALU_DEP_1)
	v_cmpx_ne_u16_e32 0, v3
	s_cbranch_execz .LBB6_568
; %bb.559:                              ;   in Loop: Header=BB6_130 Depth=2
	v_bfrev_b32_e32 v2, 1
	s_mov_b32 s40, exec_lo
	v_cmpx_ne_u16_e32 0x80, v3
	s_cbranch_execz .LBB6_567
; %bb.560:                              ;   in Loop: Header=BB6_130 Depth=2
	v_and_b32_e32 v2, 0x7c0000, v13
	v_bfe_u32 v3, v13, 16, 2
	s_delay_alu instid0(VALU_DEP_2) | instskip(SKIP_1) | instid1(SALU_CYCLE_1)
	v_cmp_ne_u32_e32 vcc_lo, 0x7c0000, v2
                                        ; implicit-def: $vgpr2
	s_and_saveexec_b32 s41, vcc_lo
	s_xor_b32 s41, exec_lo, s41
	s_cbranch_execz .LBB6_564
; %bb.561:                              ;   in Loop: Header=BB6_130 Depth=2
	v_bfe_u32 v2, v13, 18, 5
	s_mov_b32 s42, exec_lo
	s_delay_alu instid0(VALU_DEP_1)
	v_cmpx_eq_u32_e32 0, v2
; %bb.562:                              ;   in Loop: Header=BB6_130 Depth=2
	v_clz_i32_u32_e32 v2, v3
	s_delay_alu instid0(VALU_DEP_1) | instskip(NEXT) | instid1(VALU_DEP_1)
	v_min_u32_e32 v2, 32, v2
	v_subrev_nc_u32_e32 v3, 29, v2
	s_delay_alu instid0(VALU_DEP_1) | instskip(NEXT) | instid1(VALU_DEP_1)
	v_lshlrev_b64_e32 v[4:5], v3, v[0:1]
	v_dual_sub_nc_u32 v2, 30, v2 :: v_dual_bitop2_b32 v3, 3, v4 bitop3:0x40
; %bb.563:                              ;   in Loop: Header=BB6_130 Depth=2
	s_or_b32 exec_lo, exec_lo, s42
	v_lshlrev_b32_e32 v0, 24, v0
	s_delay_alu instid0(VALU_DEP_1) | instskip(NEXT) | instid1(VALU_DEP_1)
	v_and_b32_e32 v0, 0x80000000, v0
	v_lshl_add_u32 v0, v2, 23, v0
	s_delay_alu instid0(VALU_DEP_1) | instskip(NEXT) | instid1(VALU_DEP_1)
	v_lshl_or_b32 v0, v3, 21, v0
                                        ; implicit-def: $vgpr3
	v_add_nc_u32_e32 v2, 0x38000000, v0
                                        ; implicit-def: $vgpr0
.LBB6_564:                              ;   in Loop: Header=BB6_130 Depth=2
	s_and_not1_saveexec_b32 s41, s41
; %bb.565:                              ;   in Loop: Header=BB6_130 Depth=2
	v_bfe_i32 v0, v0, 0, 8
	s_delay_alu instid0(VALU_DEP_1) | instskip(SKIP_1) | instid1(VALU_DEP_1)
	v_cmp_lt_i16_e32 vcc_lo, -1, v0
	v_mov_b32_e32 v0, 0x7f800000
	v_cndmask_b32_e32 v0, 0xff800000, v0, vcc_lo
	v_cmp_eq_u32_e32 vcc_lo, 0, v3
	s_delay_alu instid0(VALU_DEP_2)
	v_cndmask_b32_e32 v2, 0x7f800001, v0, vcc_lo
; %bb.566:                              ;   in Loop: Header=BB6_130 Depth=2
	s_or_b32 exec_lo, exec_lo, s41
.LBB6_567:                              ;   in Loop: Header=BB6_130 Depth=2
	s_delay_alu instid0(SALU_CYCLE_1)
	s_or_b32 exec_lo, exec_lo, s40
.LBB6_568:                              ;   in Loop: Header=BB6_130 Depth=2
	s_delay_alu instid0(SALU_CYCLE_1) | instskip(NEXT) | instid1(VALU_DEP_1)
	s_or_b32 exec_lo, exec_lo, s10
	v_dual_mul_f32 v2, s29, v2 :: v_dual_mov_b32 v5, v1
                                        ; implicit-def: $vgpr57
	s_mov_b32 s10, exec_lo
	s_delay_alu instid0(VALU_DEP_1) | instskip(SKIP_2) | instid1(VALU_DEP_3)
	v_and_b32_e32 v4, 0x7f800000, v2
	v_and_b32_e32 v0, 0x7fffff, v2
	v_lshrrev_b32_e32 v3, 24, v2
	v_cmpx_ne_u64_e32 0x7f800000, v[4:5]
	s_xor_b32 s40, exec_lo, s10
	s_cbranch_execz .LBB6_582
; %bb.569:                              ;   in Loop: Header=BB6_130 Depth=2
	v_and_b32_e32 v4, 0x7fffffff, v2
	v_mov_b32_e32 v5, v1
	v_and_b32_e32 v8, 0x80, v3
                                        ; implicit-def: $vgpr57
	s_mov_b32 s10, exec_lo
	s_delay_alu instid0(VALU_DEP_2)
	v_cmpx_gt_u64_e32 0x47600001, v[4:5]
	s_xor_b32 s41, exec_lo, s10
	s_cbranch_execz .LBB6_579
; %bb.570:                              ;   in Loop: Header=BB6_130 Depth=2
	v_mov_b32_e32 v57, 0
	s_mov_b32 s42, exec_lo
	v_cmpx_ne_u32_e32 0, v2
	s_cbranch_execz .LBB6_578
; %bb.571:                              ;   in Loop: Header=BB6_130 Depth=2
	v_bfe_u32 v10, v2, 23, 8
	v_or_b32_e32 v4, 0x800000, v0
	s_mov_b32 s43, exec_lo
	s_delay_alu instid0(VALU_DEP_2) | instskip(SKIP_1) | instid1(VALU_DEP_2)
	v_dual_mov_b32 v5, v1 :: v_dual_sub_nc_u32 v2, 0x71, v10
	v_cmp_gt_u32_e32 vcc_lo, 0x72, v10
	v_cndmask_b32_e32 v2, 0, v2, vcc_lo
	v_cmp_eq_u32_e32 vcc_lo, 0, v10
	s_delay_alu instid0(VALU_DEP_2) | instskip(NEXT) | instid1(VALU_DEP_1)
	v_cndmask_b32_e64 v11, v2, 0x70, vcc_lo
	v_dual_cndmask_b32 v4, v4, v0, vcc_lo :: v_dual_add_nc_u32 v2, 21, v11
	v_add_nc_u32_e32 v14, 20, v11
	s_delay_alu instid0(VALU_DEP_2) | instskip(NEXT) | instid1(VALU_DEP_2)
	v_lshlrev_b64_e64 v[2:3], v2, -1
	v_lshlrev_b64_e64 v[14:15], v14, 1
	s_delay_alu instid0(VALU_DEP_2) | instskip(NEXT) | instid1(VALU_DEP_3)
	v_bfi_b32 v17, v3, 0, 0
	v_bfi_b32 v16, v2, 0, v4
	v_lshrrev_b64 v[2:3], v11, v[4:5]
	s_delay_alu instid0(VALU_DEP_1) | instskip(NEXT) | instid1(VALU_DEP_3)
	v_mov_b64_e32 v[4:5], v[2:3]
	v_cmpx_eq_u64_e64 v[16:17], v[14:15]
; %bb.572:                              ;   in Loop: Header=BB6_130 Depth=2
	v_bfe_u32 v4, v2, 21, 1
	v_mov_b32_e32 v5, v1
	s_delay_alu instid0(VALU_DEP_1) | instskip(NEXT) | instid1(VALU_DEP_1)
	v_add_nc_u64_e32 v[4:5], v[2:3], v[4:5]
	v_add_nc_u64_e32 v[4:5], -1, v[4:5]
; %bb.573:                              ;   in Loop: Header=BB6_130 Depth=2
	s_or_b32 exec_lo, exec_lo, s43
	v_add_nc_u32_e32 v0, 0xffffff81, v10
	v_lshrrev_b32_e32 v3, 23, v2
	s_mov_b32 s10, exec_lo
	s_delay_alu instid0(VALU_DEP_2) | instskip(NEXT) | instid1(VALU_DEP_1)
	v_cndmask_b32_e64 v0, v0, 0xffffff82, vcc_lo
	v_add3_u32 v5, v11, v0, v3
	v_and_b32_e32 v0, 0x1fffff, v4
                                        ; implicit-def: $vgpr4
	s_delay_alu instid0(VALU_DEP_1) | instskip(NEXT) | instid1(VALU_DEP_1)
	v_dual_add_nc_u32 v10, 14, v5 :: v_dual_add_nc_u32 v0, v0, v2
                                        ; implicit-def: $vgpr2_vgpr3
	v_cmpx_ne_u32_e32 0, v10
	s_xor_b32 s10, exec_lo, s10
; %bb.574:                              ;   in Loop: Header=BB6_130 Depth=2
	s_delay_alu instid0(VALU_DEP_2) | instskip(SKIP_1) | instid1(VALU_DEP_1)
	v_cmp_lt_u64_e32 vcc_lo, 0xffffff, v[0:1]
	v_add_nc_u32_e32 v2, 15, v5
	v_cndmask_b32_e32 v4, v10, v2, vcc_lo
	v_cndmask_b32_e64 v2, 0, 1, vcc_lo
	s_delay_alu instid0(VALU_DEP_1)
	v_lshrrev_b64 v[2:3], v2, v[0:1]
; %bb.575:                              ;   in Loop: Header=BB6_130 Depth=2
	s_and_not1_saveexec_b32 s10, s10
; %bb.576:                              ;   in Loop: Header=BB6_130 Depth=2
	v_mov_b64_e32 v[2:3], v[0:1]
	v_bfe_u32 v4, v0, 23, 1
; %bb.577:                              ;   in Loop: Header=BB6_130 Depth=2
	s_or_b32 exec_lo, exec_lo, s10
	s_delay_alu instid0(VALU_DEP_2) | instskip(NEXT) | instid1(VALU_DEP_2)
	v_lshrrev_b64 v[2:3], 21, v[2:3]
	v_cmp_gt_i32_e32 vcc_lo, 32, v4
	v_min_i32_e32 v0, 31, v4
	v_cmp_eq_u32_e64 s10, 0, v4
	s_delay_alu instid0(VALU_DEP_2) | instskip(SKIP_1) | instid1(VALU_DEP_2)
	v_dual_cndmask_b32 v3, 0, v3 :: v_dual_lshlrev_b32 v0, 2, v0
	v_cndmask_b32_e32 v2, 3, v2, vcc_lo
	v_and_b32_e32 v0, 0xfc, v0
	s_delay_alu instid0(VALU_DEP_2) | instskip(NEXT) | instid1(VALU_DEP_2)
	v_cmp_eq_u64_e32 vcc_lo, 0, v[2:3]
	v_and_or_b32 v0, v2, 3, v0
	s_and_b32 s10, s10, vcc_lo
	s_delay_alu instid0(VALU_DEP_1) | instid1(SALU_CYCLE_1)
	v_cndmask_b32_e64 v0, v0, 0, s10
	s_delay_alu instid0(VALU_DEP_1)
	v_or_b32_e32 v57, v0, v8
.LBB6_578:                              ;   in Loop: Header=BB6_130 Depth=2
	s_or_b32 exec_lo, exec_lo, s42
                                        ; implicit-def: $vgpr8
.LBB6_579:                              ;   in Loop: Header=BB6_130 Depth=2
	s_and_not1_saveexec_b32 s10, s41
; %bb.580:                              ;   in Loop: Header=BB6_130 Depth=2
	v_or_b32_e32 v57, 0x7b, v8
; %bb.581:                              ;   in Loop: Header=BB6_130 Depth=2
	s_or_b32 exec_lo, exec_lo, s10
                                        ; implicit-def: $vgpr2
                                        ; implicit-def: $vgpr3
.LBB6_582:                              ;   in Loop: Header=BB6_130 Depth=2
	s_and_not1_saveexec_b32 s10, s40
	s_cbranch_execz .LBB6_588
; %bb.583:                              ;   in Loop: Header=BB6_130 Depth=2
	s_mov_b32 s40, exec_lo
                                        ; implicit-def: $vgpr57
	v_cmpx_ne_u64_e32 0, v[0:1]
	s_xor_b32 s40, exec_lo, s40
; %bb.584:                              ;   in Loop: Header=BB6_130 Depth=2
	v_or_b32_e32 v57, 0x7f, v3
                                        ; implicit-def: $vgpr2
; %bb.585:                              ;   in Loop: Header=BB6_130 Depth=2
	s_and_not1_saveexec_b32 s40, s40
; %bb.586:                              ;   in Loop: Header=BB6_130 Depth=2
	v_cmp_lt_i32_e32 vcc_lo, -1, v2
	v_mov_b32_e32 v0, 0x7c
	s_delay_alu instid0(VALU_DEP_1)
	v_cndmask_b32_e32 v57, 0xfc, v0, vcc_lo
; %bb.587:                              ;   in Loop: Header=BB6_130 Depth=2
	s_or_b32 exec_lo, exec_lo, s40
.LBB6_588:                              ;   in Loop: Header=BB6_130 Depth=2
	s_delay_alu instid0(SALU_CYCLE_1)
	s_or_b32 exec_lo, exec_lo, s10
	v_mov_b32_e32 v2, 0
	s_mov_b32 s10, exec_lo
	v_cmpx_lt_u64_e64 s[12:13], v[12:13]
	s_cbranch_execz .LBB6_598
; %bb.589:                              ;   in Loop: Header=BB6_130 Depth=2
	v_lshrrev_b32_e32 v0, 24, v13
	v_bfrev_b32_e32 v2, 1
	s_mov_b32 s40, exec_lo
	s_delay_alu instid0(VALU_DEP_2)
	v_cmpx_ne_u32_e32 0x80, v0
	s_cbranch_execz .LBB6_597
; %bb.590:                              ;   in Loop: Header=BB6_130 Depth=2
	v_and_b32_e32 v2, 0x7c000000, v13
	v_bfe_u32 v3, v13, 24, 2
	s_delay_alu instid0(VALU_DEP_2) | instskip(SKIP_1) | instid1(SALU_CYCLE_1)
	v_cmp_ne_u32_e32 vcc_lo, 0x7c000000, v2
                                        ; implicit-def: $vgpr2
	s_and_saveexec_b32 s41, vcc_lo
	s_xor_b32 s41, exec_lo, s41
	s_cbranch_execz .LBB6_594
; %bb.591:                              ;   in Loop: Header=BB6_130 Depth=2
	v_bfe_u32 v2, v13, 26, 5
	s_mov_b32 s42, exec_lo
	s_delay_alu instid0(VALU_DEP_1)
	v_cmpx_eq_u32_e32 0, v2
; %bb.592:                              ;   in Loop: Header=BB6_130 Depth=2
	v_clz_i32_u32_e32 v2, v3
	s_delay_alu instid0(VALU_DEP_1) | instskip(NEXT) | instid1(VALU_DEP_1)
	v_min_u32_e32 v2, 32, v2
	v_subrev_nc_u32_e32 v3, 29, v2
	s_delay_alu instid0(VALU_DEP_1) | instskip(NEXT) | instid1(VALU_DEP_1)
	v_lshlrev_b64_e32 v[4:5], v3, v[0:1]
	v_dual_sub_nc_u32 v2, 30, v2 :: v_dual_bitop2_b32 v3, 3, v4 bitop3:0x40
; %bb.593:                              ;   in Loop: Header=BB6_130 Depth=2
	s_or_b32 exec_lo, exec_lo, s42
	v_and_b32_e32 v0, 0x80000000, v13
                                        ; implicit-def: $vgpr12_vgpr13
	s_delay_alu instid0(VALU_DEP_1) | instskip(NEXT) | instid1(VALU_DEP_1)
	v_lshl_add_u32 v0, v2, 23, v0
	v_lshl_or_b32 v0, v3, 21, v0
                                        ; implicit-def: $vgpr3
	s_delay_alu instid0(VALU_DEP_1)
	v_add_nc_u32_e32 v2, 0x38000000, v0
.LBB6_594:                              ;   in Loop: Header=BB6_130 Depth=2
	s_and_not1_saveexec_b32 s41, s41
; %bb.595:                              ;   in Loop: Header=BB6_130 Depth=2
	v_cmp_lt_i64_e32 vcc_lo, -1, v[12:13]
	v_mov_b32_e32 v0, 0x7f800000
	s_delay_alu instid0(VALU_DEP_1) | instskip(SKIP_1) | instid1(VALU_DEP_2)
	v_cndmask_b32_e32 v0, 0xff800000, v0, vcc_lo
	v_cmp_eq_u32_e32 vcc_lo, 0, v3
	v_cndmask_b32_e32 v2, 0x7f800001, v0, vcc_lo
; %bb.596:                              ;   in Loop: Header=BB6_130 Depth=2
	s_or_b32 exec_lo, exec_lo, s41
.LBB6_597:                              ;   in Loop: Header=BB6_130 Depth=2
	s_delay_alu instid0(SALU_CYCLE_1)
	s_or_b32 exec_lo, exec_lo, s40
.LBB6_598:                              ;   in Loop: Header=BB6_130 Depth=2
	s_delay_alu instid0(SALU_CYCLE_1) | instskip(NEXT) | instid1(VALU_DEP_1)
	s_or_b32 exec_lo, exec_lo, s10
	v_dual_mul_f32 v2, s29, v2 :: v_dual_mov_b32 v5, v1
                                        ; implicit-def: $vgpr62
	s_mov_b32 s10, exec_lo
	s_delay_alu instid0(VALU_DEP_1) | instskip(SKIP_2) | instid1(VALU_DEP_3)
	v_and_b32_e32 v4, 0x7f800000, v2
	v_and_b32_e32 v0, 0x7fffff, v2
	v_lshrrev_b32_e32 v3, 24, v2
	v_cmpx_ne_u64_e32 0x7f800000, v[4:5]
	s_xor_b32 s40, exec_lo, s10
	s_cbranch_execz .LBB6_612
; %bb.599:                              ;   in Loop: Header=BB6_130 Depth=2
	v_and_b32_e32 v4, 0x7fffffff, v2
	v_mov_b32_e32 v5, v1
	v_and_b32_e32 v8, 0x80, v3
                                        ; implicit-def: $vgpr62
	s_mov_b32 s10, exec_lo
	s_delay_alu instid0(VALU_DEP_2)
	v_cmpx_gt_u64_e32 0x47600001, v[4:5]
	s_xor_b32 s41, exec_lo, s10
	s_cbranch_execz .LBB6_609
; %bb.600:                              ;   in Loop: Header=BB6_130 Depth=2
	v_mov_b32_e32 v62, 0
	s_mov_b32 s42, exec_lo
	v_cmpx_ne_u32_e32 0, v2
	s_cbranch_execz .LBB6_608
; %bb.601:                              ;   in Loop: Header=BB6_130 Depth=2
	v_bfe_u32 v10, v2, 23, 8
	v_or_b32_e32 v4, 0x800000, v0
	s_mov_b32 s43, exec_lo
	s_delay_alu instid0(VALU_DEP_2) | instskip(SKIP_1) | instid1(VALU_DEP_2)
	v_dual_mov_b32 v5, v1 :: v_dual_sub_nc_u32 v2, 0x71, v10
	v_cmp_gt_u32_e32 vcc_lo, 0x72, v10
	v_cndmask_b32_e32 v2, 0, v2, vcc_lo
	v_cmp_eq_u32_e32 vcc_lo, 0, v10
	s_delay_alu instid0(VALU_DEP_2) | instskip(NEXT) | instid1(VALU_DEP_1)
	v_cndmask_b32_e64 v11, v2, 0x70, vcc_lo
	v_dual_cndmask_b32 v4, v4, v0, vcc_lo :: v_dual_add_nc_u32 v2, 21, v11
	v_add_nc_u32_e32 v12, 20, v11
	s_delay_alu instid0(VALU_DEP_2) | instskip(NEXT) | instid1(VALU_DEP_2)
	v_lshlrev_b64_e64 v[2:3], v2, -1
	v_lshlrev_b64_e64 v[12:13], v12, 1
	s_delay_alu instid0(VALU_DEP_2) | instskip(NEXT) | instid1(VALU_DEP_3)
	v_bfi_b32 v15, v3, 0, 0
	v_bfi_b32 v14, v2, 0, v4
	v_lshrrev_b64 v[2:3], v11, v[4:5]
	s_delay_alu instid0(VALU_DEP_1) | instskip(NEXT) | instid1(VALU_DEP_3)
	v_mov_b64_e32 v[4:5], v[2:3]
	v_cmpx_eq_u64_e64 v[14:15], v[12:13]
; %bb.602:                              ;   in Loop: Header=BB6_130 Depth=2
	v_bfe_u32 v4, v2, 21, 1
	v_mov_b32_e32 v5, v1
	s_delay_alu instid0(VALU_DEP_1) | instskip(NEXT) | instid1(VALU_DEP_1)
	v_add_nc_u64_e32 v[4:5], v[2:3], v[4:5]
	v_add_nc_u64_e32 v[4:5], -1, v[4:5]
; %bb.603:                              ;   in Loop: Header=BB6_130 Depth=2
	s_or_b32 exec_lo, exec_lo, s43
	v_add_nc_u32_e32 v0, 0xffffff81, v10
	v_lshrrev_b32_e32 v3, 23, v2
	s_mov_b32 s10, exec_lo
	s_delay_alu instid0(VALU_DEP_2) | instskip(NEXT) | instid1(VALU_DEP_1)
	v_cndmask_b32_e64 v0, v0, 0xffffff82, vcc_lo
	v_add3_u32 v5, v11, v0, v3
	v_and_b32_e32 v0, 0x1fffff, v4
                                        ; implicit-def: $vgpr4
	s_delay_alu instid0(VALU_DEP_1) | instskip(NEXT) | instid1(VALU_DEP_1)
	v_dual_add_nc_u32 v10, 14, v5 :: v_dual_add_nc_u32 v0, v0, v2
                                        ; implicit-def: $vgpr2_vgpr3
	v_cmpx_ne_u32_e32 0, v10
	s_xor_b32 s10, exec_lo, s10
; %bb.604:                              ;   in Loop: Header=BB6_130 Depth=2
	s_delay_alu instid0(VALU_DEP_2) | instskip(SKIP_1) | instid1(VALU_DEP_1)
	v_cmp_lt_u64_e32 vcc_lo, 0xffffff, v[0:1]
	v_add_nc_u32_e32 v2, 15, v5
	v_cndmask_b32_e32 v4, v10, v2, vcc_lo
	v_cndmask_b32_e64 v2, 0, 1, vcc_lo
	s_delay_alu instid0(VALU_DEP_1)
	v_lshrrev_b64 v[2:3], v2, v[0:1]
; %bb.605:                              ;   in Loop: Header=BB6_130 Depth=2
	s_and_not1_saveexec_b32 s10, s10
; %bb.606:                              ;   in Loop: Header=BB6_130 Depth=2
	v_mov_b64_e32 v[2:3], v[0:1]
	v_bfe_u32 v4, v0, 23, 1
; %bb.607:                              ;   in Loop: Header=BB6_130 Depth=2
	s_or_b32 exec_lo, exec_lo, s10
	s_delay_alu instid0(VALU_DEP_2) | instskip(NEXT) | instid1(VALU_DEP_2)
	v_lshrrev_b64 v[2:3], 21, v[2:3]
	v_cmp_gt_i32_e32 vcc_lo, 32, v4
	v_min_i32_e32 v0, 31, v4
	v_cmp_eq_u32_e64 s10, 0, v4
	s_delay_alu instid0(VALU_DEP_2) | instskip(SKIP_1) | instid1(VALU_DEP_2)
	v_dual_cndmask_b32 v3, 0, v3 :: v_dual_lshlrev_b32 v0, 2, v0
	v_cndmask_b32_e32 v2, 3, v2, vcc_lo
	v_and_b32_e32 v0, 0xfc, v0
	s_delay_alu instid0(VALU_DEP_2) | instskip(NEXT) | instid1(VALU_DEP_2)
	v_cmp_eq_u64_e32 vcc_lo, 0, v[2:3]
	v_and_or_b32 v0, v2, 3, v0
	s_and_b32 s10, s10, vcc_lo
	s_delay_alu instid0(VALU_DEP_1) | instid1(SALU_CYCLE_1)
	v_cndmask_b32_e64 v0, v0, 0, s10
	s_delay_alu instid0(VALU_DEP_1)
	v_or_b32_e32 v62, v0, v8
.LBB6_608:                              ;   in Loop: Header=BB6_130 Depth=2
	s_or_b32 exec_lo, exec_lo, s42
                                        ; implicit-def: $vgpr8
.LBB6_609:                              ;   in Loop: Header=BB6_130 Depth=2
	s_and_not1_saveexec_b32 s10, s41
; %bb.610:                              ;   in Loop: Header=BB6_130 Depth=2
	v_or_b32_e32 v62, 0x7b, v8
; %bb.611:                              ;   in Loop: Header=BB6_130 Depth=2
	s_or_b32 exec_lo, exec_lo, s10
                                        ; implicit-def: $vgpr2
                                        ; implicit-def: $vgpr3
.LBB6_612:                              ;   in Loop: Header=BB6_130 Depth=2
	s_and_not1_saveexec_b32 s10, s40
	s_cbranch_execz .LBB6_618
; %bb.613:                              ;   in Loop: Header=BB6_130 Depth=2
	s_mov_b32 s40, exec_lo
                                        ; implicit-def: $vgpr62
	v_cmpx_ne_u64_e32 0, v[0:1]
	s_xor_b32 s40, exec_lo, s40
; %bb.614:                              ;   in Loop: Header=BB6_130 Depth=2
	v_or_b32_e32 v62, 0x7f, v3
                                        ; implicit-def: $vgpr2
; %bb.615:                              ;   in Loop: Header=BB6_130 Depth=2
	s_and_not1_saveexec_b32 s40, s40
; %bb.616:                              ;   in Loop: Header=BB6_130 Depth=2
	v_cmp_lt_i32_e32 vcc_lo, -1, v2
	v_mov_b32_e32 v0, 0x7c
	s_delay_alu instid0(VALU_DEP_1)
	v_cndmask_b32_e32 v62, 0xfc, v0, vcc_lo
; %bb.617:                              ;   in Loop: Header=BB6_130 Depth=2
	s_or_b32 exec_lo, exec_lo, s40
.LBB6_618:                              ;   in Loop: Header=BB6_130 Depth=2
	s_delay_alu instid0(SALU_CYCLE_1) | instskip(SKIP_3) | instid1(VALU_DEP_1)
	s_or_b32 exec_lo, exec_lo, s10
	global_load_b128 v[10:13], v[102:103], off offset:512 th:TH_LOAD_NT
	s_wait_loadcnt 0x0
	v_and_b32_e32 v0, 0xff, v10
	v_cmp_ne_u16_e32 vcc_lo, 0, v0
	v_mov_b32_e32 v0, 0
	s_wait_xcnt 0x0
	s_and_saveexec_b32 s10, vcc_lo
	s_cbranch_execz .LBB6_628
; %bb.619:                              ;   in Loop: Header=BB6_130 Depth=2
	v_bfe_i32 v3, v10, 0, 8
	v_bfrev_b32_e32 v0, 1
	s_mov_b32 s40, exec_lo
	s_delay_alu instid0(VALU_DEP_2)
	v_cmpx_ne_u16_e32 0xff80, v3
	s_cbranch_execz .LBB6_627
; %bb.620:                              ;   in Loop: Header=BB6_130 Depth=2
	v_and_b32_e32 v0, 0x7c, v10
	v_and_b32_e32 v2, 3, v10
	s_delay_alu instid0(VALU_DEP_2) | instskip(SKIP_1) | instid1(SALU_CYCLE_1)
	v_cmp_ne_u32_e32 vcc_lo, 0x7c, v0
                                        ; implicit-def: $vgpr0
	s_and_saveexec_b32 s41, vcc_lo
	s_xor_b32 s41, exec_lo, s41
	s_cbranch_execz .LBB6_624
; %bb.621:                              ;   in Loop: Header=BB6_130 Depth=2
	v_bfe_u32 v0, v10, 2, 5
	s_mov_b32 s42, exec_lo
	s_delay_alu instid0(VALU_DEP_1)
	v_cmpx_eq_u32_e32 0, v0
; %bb.622:                              ;   in Loop: Header=BB6_130 Depth=2
	v_clz_i32_u32_e32 v0, v2
	s_delay_alu instid0(VALU_DEP_1) | instskip(NEXT) | instid1(VALU_DEP_1)
	v_min_u32_e32 v0, 32, v0
	v_subrev_nc_u32_e32 v2, 29, v0
	s_delay_alu instid0(VALU_DEP_1) | instskip(NEXT) | instid1(VALU_DEP_1)
	v_lshlrev_b64_e32 v[2:3], v2, v[10:11]
	v_dual_sub_nc_u32 v0, 30, v0 :: v_dual_bitop2_b32 v2, 3, v2 bitop3:0x40
; %bb.623:                              ;   in Loop: Header=BB6_130 Depth=2
	s_or_b32 exec_lo, exec_lo, s42
	v_lshlrev_b32_e32 v3, 24, v10
	s_delay_alu instid0(VALU_DEP_1) | instskip(NEXT) | instid1(VALU_DEP_1)
	v_and_b32_e32 v3, 0x80000000, v3
	v_lshl_add_u32 v0, v0, 23, v3
                                        ; implicit-def: $vgpr3
	s_delay_alu instid0(VALU_DEP_1) | instskip(NEXT) | instid1(VALU_DEP_1)
	v_lshl_or_b32 v0, v2, 21, v0
                                        ; implicit-def: $vgpr2
	v_add_nc_u32_e32 v0, 0x38000000, v0
.LBB6_624:                              ;   in Loop: Header=BB6_130 Depth=2
	s_and_not1_saveexec_b32 s41, s41
; %bb.625:                              ;   in Loop: Header=BB6_130 Depth=2
	v_cmp_lt_i16_e32 vcc_lo, -1, v3
	v_mov_b32_e32 v0, 0x7f800000
	s_delay_alu instid0(VALU_DEP_1) | instskip(SKIP_1) | instid1(VALU_DEP_2)
	v_cndmask_b32_e32 v0, 0xff800000, v0, vcc_lo
	v_cmp_eq_u32_e32 vcc_lo, 0, v2
	v_cndmask_b32_e32 v0, 0x7f800001, v0, vcc_lo
; %bb.626:                              ;   in Loop: Header=BB6_130 Depth=2
	s_or_b32 exec_lo, exec_lo, s41
.LBB6_627:                              ;   in Loop: Header=BB6_130 Depth=2
	s_delay_alu instid0(SALU_CYCLE_1)
	s_or_b32 exec_lo, exec_lo, s40
.LBB6_628:                              ;   in Loop: Header=BB6_130 Depth=2
	s_delay_alu instid0(SALU_CYCLE_1) | instskip(NEXT) | instid1(VALU_DEP_1)
	s_or_b32 exec_lo, exec_lo, s10
	v_dual_mul_f32 v2, s29, v0 :: v_dual_mov_b32 v5, v1
                                        ; implicit-def: $vgpr47
	s_mov_b32 s10, exec_lo
	s_delay_alu instid0(VALU_DEP_1) | instskip(SKIP_2) | instid1(VALU_DEP_3)
	v_and_b32_e32 v4, 0x7f800000, v2
	v_and_b32_e32 v0, 0x7fffff, v2
	v_lshrrev_b32_e32 v3, 24, v2
	v_cmpx_ne_u64_e32 0x7f800000, v[4:5]
	s_xor_b32 s40, exec_lo, s10
	s_cbranch_execz .LBB6_642
; %bb.629:                              ;   in Loop: Header=BB6_130 Depth=2
	v_and_b32_e32 v4, 0x7fffffff, v2
	v_mov_b32_e32 v5, v1
	v_and_b32_e32 v8, 0x80, v3
                                        ; implicit-def: $vgpr47
	s_mov_b32 s10, exec_lo
	s_delay_alu instid0(VALU_DEP_2)
	v_cmpx_gt_u64_e32 0x47600001, v[4:5]
	s_xor_b32 s41, exec_lo, s10
	s_cbranch_execz .LBB6_639
; %bb.630:                              ;   in Loop: Header=BB6_130 Depth=2
	v_mov_b32_e32 v47, 0
	s_mov_b32 s42, exec_lo
	v_cmpx_ne_u32_e32 0, v2
	s_cbranch_execz .LBB6_638
; %bb.631:                              ;   in Loop: Header=BB6_130 Depth=2
	v_bfe_u32 v14, v2, 23, 8
	v_or_b32_e32 v4, 0x800000, v0
	s_mov_b32 s43, exec_lo
	s_delay_alu instid0(VALU_DEP_2) | instskip(SKIP_1) | instid1(VALU_DEP_2)
	v_dual_mov_b32 v5, v1 :: v_dual_sub_nc_u32 v2, 0x71, v14
	v_cmp_gt_u32_e32 vcc_lo, 0x72, v14
	v_cndmask_b32_e32 v2, 0, v2, vcc_lo
	v_cmp_eq_u32_e32 vcc_lo, 0, v14
	s_delay_alu instid0(VALU_DEP_2) | instskip(NEXT) | instid1(VALU_DEP_1)
	v_cndmask_b32_e64 v15, v2, 0x70, vcc_lo
	v_dual_cndmask_b32 v4, v4, v0, vcc_lo :: v_dual_add_nc_u32 v2, 21, v15
	v_add_nc_u32_e32 v16, 20, v15
	s_delay_alu instid0(VALU_DEP_2) | instskip(NEXT) | instid1(VALU_DEP_2)
	v_lshlrev_b64_e64 v[2:3], v2, -1
	v_lshlrev_b64_e64 v[16:17], v16, 1
	s_delay_alu instid0(VALU_DEP_2) | instskip(NEXT) | instid1(VALU_DEP_3)
	v_bfi_b32 v19, v3, 0, 0
	v_bfi_b32 v18, v2, 0, v4
	v_lshrrev_b64 v[2:3], v15, v[4:5]
	s_delay_alu instid0(VALU_DEP_1) | instskip(NEXT) | instid1(VALU_DEP_3)
	v_mov_b64_e32 v[4:5], v[2:3]
	v_cmpx_eq_u64_e64 v[18:19], v[16:17]
; %bb.632:                              ;   in Loop: Header=BB6_130 Depth=2
	v_bfe_u32 v4, v2, 21, 1
	v_mov_b32_e32 v5, v1
	s_delay_alu instid0(VALU_DEP_1) | instskip(NEXT) | instid1(VALU_DEP_1)
	v_add_nc_u64_e32 v[4:5], v[2:3], v[4:5]
	v_add_nc_u64_e32 v[4:5], -1, v[4:5]
; %bb.633:                              ;   in Loop: Header=BB6_130 Depth=2
	s_or_b32 exec_lo, exec_lo, s43
	v_add_nc_u32_e32 v0, 0xffffff81, v14
	v_lshrrev_b32_e32 v3, 23, v2
	s_mov_b32 s10, exec_lo
	s_delay_alu instid0(VALU_DEP_2) | instskip(NEXT) | instid1(VALU_DEP_1)
	v_cndmask_b32_e64 v0, v0, 0xffffff82, vcc_lo
	v_add3_u32 v5, v15, v0, v3
	v_and_b32_e32 v0, 0x1fffff, v4
                                        ; implicit-def: $vgpr4
	s_delay_alu instid0(VALU_DEP_1) | instskip(NEXT) | instid1(VALU_DEP_1)
	v_dual_add_nc_u32 v14, 14, v5 :: v_dual_add_nc_u32 v0, v0, v2
                                        ; implicit-def: $vgpr2_vgpr3
	v_cmpx_ne_u32_e32 0, v14
	s_xor_b32 s10, exec_lo, s10
; %bb.634:                              ;   in Loop: Header=BB6_130 Depth=2
	s_delay_alu instid0(VALU_DEP_2) | instskip(SKIP_1) | instid1(VALU_DEP_1)
	v_cmp_lt_u64_e32 vcc_lo, 0xffffff, v[0:1]
	v_add_nc_u32_e32 v2, 15, v5
	v_cndmask_b32_e32 v4, v14, v2, vcc_lo
	v_cndmask_b32_e64 v2, 0, 1, vcc_lo
	s_delay_alu instid0(VALU_DEP_1)
	v_lshrrev_b64 v[2:3], v2, v[0:1]
; %bb.635:                              ;   in Loop: Header=BB6_130 Depth=2
	s_and_not1_saveexec_b32 s10, s10
; %bb.636:                              ;   in Loop: Header=BB6_130 Depth=2
	v_mov_b64_e32 v[2:3], v[0:1]
	v_bfe_u32 v4, v0, 23, 1
; %bb.637:                              ;   in Loop: Header=BB6_130 Depth=2
	s_or_b32 exec_lo, exec_lo, s10
	s_delay_alu instid0(VALU_DEP_2) | instskip(NEXT) | instid1(VALU_DEP_2)
	v_lshrrev_b64 v[2:3], 21, v[2:3]
	v_cmp_gt_i32_e32 vcc_lo, 32, v4
	v_min_i32_e32 v0, 31, v4
	v_cmp_eq_u32_e64 s10, 0, v4
	s_delay_alu instid0(VALU_DEP_2) | instskip(SKIP_1) | instid1(VALU_DEP_2)
	v_dual_cndmask_b32 v3, 0, v3 :: v_dual_lshlrev_b32 v0, 2, v0
	v_cndmask_b32_e32 v2, 3, v2, vcc_lo
	v_and_b32_e32 v0, 0xfc, v0
	s_delay_alu instid0(VALU_DEP_2) | instskip(NEXT) | instid1(VALU_DEP_2)
	v_cmp_eq_u64_e32 vcc_lo, 0, v[2:3]
	v_and_or_b32 v0, v2, 3, v0
	s_and_b32 s10, s10, vcc_lo
	s_delay_alu instid0(VALU_DEP_1) | instid1(SALU_CYCLE_1)
	v_cndmask_b32_e64 v0, v0, 0, s10
	s_delay_alu instid0(VALU_DEP_1)
	v_or_b32_e32 v47, v0, v8
.LBB6_638:                              ;   in Loop: Header=BB6_130 Depth=2
	s_or_b32 exec_lo, exec_lo, s42
                                        ; implicit-def: $vgpr8
.LBB6_639:                              ;   in Loop: Header=BB6_130 Depth=2
	s_and_not1_saveexec_b32 s10, s41
; %bb.640:                              ;   in Loop: Header=BB6_130 Depth=2
	v_or_b32_e32 v47, 0x7b, v8
; %bb.641:                              ;   in Loop: Header=BB6_130 Depth=2
	s_or_b32 exec_lo, exec_lo, s10
                                        ; implicit-def: $vgpr2
                                        ; implicit-def: $vgpr3
.LBB6_642:                              ;   in Loop: Header=BB6_130 Depth=2
	s_and_not1_saveexec_b32 s10, s40
	s_cbranch_execz .LBB6_648
; %bb.643:                              ;   in Loop: Header=BB6_130 Depth=2
	s_mov_b32 s40, exec_lo
                                        ; implicit-def: $vgpr47
	v_cmpx_ne_u64_e32 0, v[0:1]
	s_xor_b32 s40, exec_lo, s40
; %bb.644:                              ;   in Loop: Header=BB6_130 Depth=2
	v_or_b32_e32 v47, 0x7f, v3
                                        ; implicit-def: $vgpr2
; %bb.645:                              ;   in Loop: Header=BB6_130 Depth=2
	s_and_not1_saveexec_b32 s40, s40
; %bb.646:                              ;   in Loop: Header=BB6_130 Depth=2
	v_cmp_lt_i32_e32 vcc_lo, -1, v2
	v_mov_b32_e32 v0, 0x7c
	s_delay_alu instid0(VALU_DEP_1)
	v_cndmask_b32_e32 v47, 0xfc, v0, vcc_lo
; %bb.647:                              ;   in Loop: Header=BB6_130 Depth=2
	s_or_b32 exec_lo, exec_lo, s40
.LBB6_648:                              ;   in Loop: Header=BB6_130 Depth=2
	s_delay_alu instid0(SALU_CYCLE_1) | instskip(SKIP_3) | instid1(VALU_DEP_2)
	s_or_b32 exec_lo, exec_lo, s10
	v_lshrrev_b16 v2, 8, v10
	v_mov_b32_e32 v3, 0
	s_mov_b32 s10, exec_lo
	v_cmpx_ne_u16_e32 0, v2
	s_cbranch_execz .LBB6_658
; %bb.649:                              ;   in Loop: Header=BB6_130 Depth=2
	v_bfrev_b32_e32 v3, 1
	s_mov_b32 s40, exec_lo
	v_cmpx_ne_u16_e32 0x80, v2
	s_cbranch_execz .LBB6_657
; %bb.650:                              ;   in Loop: Header=BB6_130 Depth=2
	v_and_b32_e32 v4, 0xffff, v2
	s_delay_alu instid0(VALU_DEP_1) | instskip(SKIP_1) | instid1(VALU_DEP_2)
	v_and_b32_e32 v3, 0x7c, v4
	v_and_b32_e32 v0, 3, v4
	v_cmp_ne_u32_e32 vcc_lo, 0x7c, v3
                                        ; implicit-def: $vgpr3
	s_and_saveexec_b32 s41, vcc_lo
	s_delay_alu instid0(SALU_CYCLE_1)
	s_xor_b32 s41, exec_lo, s41
	s_cbranch_execz .LBB6_654
; %bb.651:                              ;   in Loop: Header=BB6_130 Depth=2
	v_bfe_u32 v3, v4, 2, 5
	s_mov_b32 s42, exec_lo
	s_delay_alu instid0(VALU_DEP_1)
	v_cmpx_eq_u32_e32 0, v3
; %bb.652:                              ;   in Loop: Header=BB6_130 Depth=2
	v_clz_i32_u32_e32 v0, v0
	v_mov_b32_e32 v3, v1
	s_delay_alu instid0(VALU_DEP_2) | instskip(NEXT) | instid1(VALU_DEP_1)
	v_min_u32_e32 v0, 32, v0
	v_subrev_nc_u32_e32 v4, 29, v0
	s_delay_alu instid0(VALU_DEP_1) | instskip(NEXT) | instid1(VALU_DEP_1)
	v_lshlrev_b64_e32 v[2:3], v4, v[2:3]
	v_dual_sub_nc_u32 v3, 30, v0 :: v_dual_bitop2_b32 v0, 3, v2 bitop3:0x40
; %bb.653:                              ;   in Loop: Header=BB6_130 Depth=2
	s_or_b32 exec_lo, exec_lo, s42
	v_lshlrev_b32_e32 v2, 16, v10
	s_delay_alu instid0(VALU_DEP_1) | instskip(NEXT) | instid1(VALU_DEP_1)
	v_and_b32_e32 v2, 0x80000000, v2
	v_lshl_add_u32 v2, v3, 23, v2
	s_delay_alu instid0(VALU_DEP_1) | instskip(NEXT) | instid1(VALU_DEP_1)
	v_lshl_or_b32 v0, v0, 21, v2
	v_add_nc_u32_e32 v3, 0x38000000, v0
                                        ; implicit-def: $vgpr0
.LBB6_654:                              ;   in Loop: Header=BB6_130 Depth=2
	s_and_not1_saveexec_b32 s41, s41
; %bb.655:                              ;   in Loop: Header=BB6_130 Depth=2
	v_cmp_lt_i16_e32 vcc_lo, -1, v10
	v_mov_b32_e32 v2, 0x7f800000
	s_delay_alu instid0(VALU_DEP_1) | instskip(SKIP_1) | instid1(VALU_DEP_2)
	v_cndmask_b32_e32 v2, 0xff800000, v2, vcc_lo
	v_cmp_eq_u32_e32 vcc_lo, 0, v0
	v_cndmask_b32_e32 v3, 0x7f800001, v2, vcc_lo
; %bb.656:                              ;   in Loop: Header=BB6_130 Depth=2
	s_or_b32 exec_lo, exec_lo, s41
.LBB6_657:                              ;   in Loop: Header=BB6_130 Depth=2
	s_delay_alu instid0(SALU_CYCLE_1)
	s_or_b32 exec_lo, exec_lo, s40
.LBB6_658:                              ;   in Loop: Header=BB6_130 Depth=2
	s_delay_alu instid0(SALU_CYCLE_1) | instskip(NEXT) | instid1(VALU_DEP_1)
	s_or_b32 exec_lo, exec_lo, s10
	v_dual_mul_f32 v2, s29, v3 :: v_dual_mov_b32 v5, v1
                                        ; implicit-def: $vgpr58
	s_mov_b32 s10, exec_lo
	s_delay_alu instid0(VALU_DEP_1) | instskip(SKIP_2) | instid1(VALU_DEP_3)
	v_and_b32_e32 v4, 0x7f800000, v2
	v_and_b32_e32 v0, 0x7fffff, v2
	v_lshrrev_b32_e32 v3, 24, v2
	v_cmpx_ne_u64_e32 0x7f800000, v[4:5]
	s_xor_b32 s40, exec_lo, s10
	s_cbranch_execz .LBB6_672
; %bb.659:                              ;   in Loop: Header=BB6_130 Depth=2
	v_and_b32_e32 v4, 0x7fffffff, v2
	v_mov_b32_e32 v5, v1
	v_and_b32_e32 v8, 0x80, v3
                                        ; implicit-def: $vgpr58
	s_mov_b32 s10, exec_lo
	s_delay_alu instid0(VALU_DEP_2)
	v_cmpx_gt_u64_e32 0x47600001, v[4:5]
	s_xor_b32 s41, exec_lo, s10
	s_cbranch_execz .LBB6_669
; %bb.660:                              ;   in Loop: Header=BB6_130 Depth=2
	v_mov_b32_e32 v58, 0
	s_mov_b32 s42, exec_lo
	v_cmpx_ne_u32_e32 0, v2
	s_cbranch_execz .LBB6_668
; %bb.661:                              ;   in Loop: Header=BB6_130 Depth=2
	v_bfe_u32 v14, v2, 23, 8
	v_or_b32_e32 v4, 0x800000, v0
	s_mov_b32 s43, exec_lo
	s_delay_alu instid0(VALU_DEP_2) | instskip(SKIP_1) | instid1(VALU_DEP_2)
	v_dual_mov_b32 v5, v1 :: v_dual_sub_nc_u32 v2, 0x71, v14
	v_cmp_gt_u32_e32 vcc_lo, 0x72, v14
	v_cndmask_b32_e32 v2, 0, v2, vcc_lo
	v_cmp_eq_u32_e32 vcc_lo, 0, v14
	s_delay_alu instid0(VALU_DEP_2) | instskip(NEXT) | instid1(VALU_DEP_1)
	v_cndmask_b32_e64 v15, v2, 0x70, vcc_lo
	v_dual_cndmask_b32 v4, v4, v0, vcc_lo :: v_dual_add_nc_u32 v2, 21, v15
	v_add_nc_u32_e32 v16, 20, v15
	s_delay_alu instid0(VALU_DEP_2) | instskip(NEXT) | instid1(VALU_DEP_2)
	v_lshlrev_b64_e64 v[2:3], v2, -1
	v_lshlrev_b64_e64 v[16:17], v16, 1
	s_delay_alu instid0(VALU_DEP_2) | instskip(NEXT) | instid1(VALU_DEP_3)
	v_bfi_b32 v19, v3, 0, 0
	v_bfi_b32 v18, v2, 0, v4
	v_lshrrev_b64 v[2:3], v15, v[4:5]
	s_delay_alu instid0(VALU_DEP_1) | instskip(NEXT) | instid1(VALU_DEP_3)
	v_mov_b64_e32 v[4:5], v[2:3]
	v_cmpx_eq_u64_e64 v[18:19], v[16:17]
; %bb.662:                              ;   in Loop: Header=BB6_130 Depth=2
	v_bfe_u32 v4, v2, 21, 1
	v_mov_b32_e32 v5, v1
	s_delay_alu instid0(VALU_DEP_1) | instskip(NEXT) | instid1(VALU_DEP_1)
	v_add_nc_u64_e32 v[4:5], v[2:3], v[4:5]
	v_add_nc_u64_e32 v[4:5], -1, v[4:5]
; %bb.663:                              ;   in Loop: Header=BB6_130 Depth=2
	s_or_b32 exec_lo, exec_lo, s43
	v_add_nc_u32_e32 v0, 0xffffff81, v14
	v_lshrrev_b32_e32 v3, 23, v2
	s_mov_b32 s10, exec_lo
	s_delay_alu instid0(VALU_DEP_2) | instskip(NEXT) | instid1(VALU_DEP_1)
	v_cndmask_b32_e64 v0, v0, 0xffffff82, vcc_lo
	v_add3_u32 v5, v15, v0, v3
	v_and_b32_e32 v0, 0x1fffff, v4
                                        ; implicit-def: $vgpr4
	s_delay_alu instid0(VALU_DEP_1) | instskip(NEXT) | instid1(VALU_DEP_1)
	v_dual_add_nc_u32 v14, 14, v5 :: v_dual_add_nc_u32 v0, v0, v2
                                        ; implicit-def: $vgpr2_vgpr3
	v_cmpx_ne_u32_e32 0, v14
	s_xor_b32 s10, exec_lo, s10
; %bb.664:                              ;   in Loop: Header=BB6_130 Depth=2
	s_delay_alu instid0(VALU_DEP_2) | instskip(SKIP_1) | instid1(VALU_DEP_1)
	v_cmp_lt_u64_e32 vcc_lo, 0xffffff, v[0:1]
	v_add_nc_u32_e32 v2, 15, v5
	v_cndmask_b32_e32 v4, v14, v2, vcc_lo
	v_cndmask_b32_e64 v2, 0, 1, vcc_lo
	s_delay_alu instid0(VALU_DEP_1)
	v_lshrrev_b64 v[2:3], v2, v[0:1]
; %bb.665:                              ;   in Loop: Header=BB6_130 Depth=2
	s_and_not1_saveexec_b32 s10, s10
; %bb.666:                              ;   in Loop: Header=BB6_130 Depth=2
	v_mov_b64_e32 v[2:3], v[0:1]
	v_bfe_u32 v4, v0, 23, 1
; %bb.667:                              ;   in Loop: Header=BB6_130 Depth=2
	s_or_b32 exec_lo, exec_lo, s10
	s_delay_alu instid0(VALU_DEP_2) | instskip(NEXT) | instid1(VALU_DEP_2)
	v_lshrrev_b64 v[2:3], 21, v[2:3]
	v_cmp_gt_i32_e32 vcc_lo, 32, v4
	v_min_i32_e32 v0, 31, v4
	v_cmp_eq_u32_e64 s10, 0, v4
	s_delay_alu instid0(VALU_DEP_2) | instskip(SKIP_1) | instid1(VALU_DEP_2)
	v_dual_cndmask_b32 v3, 0, v3 :: v_dual_lshlrev_b32 v0, 2, v0
	v_cndmask_b32_e32 v2, 3, v2, vcc_lo
	v_and_b32_e32 v0, 0xfc, v0
	s_delay_alu instid0(VALU_DEP_2) | instskip(NEXT) | instid1(VALU_DEP_2)
	v_cmp_eq_u64_e32 vcc_lo, 0, v[2:3]
	v_and_or_b32 v0, v2, 3, v0
	s_and_b32 s10, s10, vcc_lo
	s_delay_alu instid0(VALU_DEP_1) | instid1(SALU_CYCLE_1)
	v_cndmask_b32_e64 v0, v0, 0, s10
	s_delay_alu instid0(VALU_DEP_1)
	v_or_b32_e32 v58, v0, v8
.LBB6_668:                              ;   in Loop: Header=BB6_130 Depth=2
	s_or_b32 exec_lo, exec_lo, s42
                                        ; implicit-def: $vgpr8
.LBB6_669:                              ;   in Loop: Header=BB6_130 Depth=2
	s_and_not1_saveexec_b32 s10, s41
; %bb.670:                              ;   in Loop: Header=BB6_130 Depth=2
	v_or_b32_e32 v58, 0x7b, v8
; %bb.671:                              ;   in Loop: Header=BB6_130 Depth=2
	s_or_b32 exec_lo, exec_lo, s10
                                        ; implicit-def: $vgpr2
                                        ; implicit-def: $vgpr3
.LBB6_672:                              ;   in Loop: Header=BB6_130 Depth=2
	s_and_not1_saveexec_b32 s10, s40
	s_cbranch_execz .LBB6_678
; %bb.673:                              ;   in Loop: Header=BB6_130 Depth=2
	s_mov_b32 s40, exec_lo
                                        ; implicit-def: $vgpr58
	v_cmpx_ne_u64_e32 0, v[0:1]
	s_xor_b32 s40, exec_lo, s40
; %bb.674:                              ;   in Loop: Header=BB6_130 Depth=2
	v_or_b32_e32 v58, 0x7f, v3
                                        ; implicit-def: $vgpr2
; %bb.675:                              ;   in Loop: Header=BB6_130 Depth=2
	s_and_not1_saveexec_b32 s40, s40
; %bb.676:                              ;   in Loop: Header=BB6_130 Depth=2
	v_cmp_lt_i32_e32 vcc_lo, -1, v2
	v_mov_b32_e32 v0, 0x7c
	s_delay_alu instid0(VALU_DEP_1)
	v_cndmask_b32_e32 v58, 0xfc, v0, vcc_lo
; %bb.677:                              ;   in Loop: Header=BB6_130 Depth=2
	s_or_b32 exec_lo, exec_lo, s40
.LBB6_678:                              ;   in Loop: Header=BB6_130 Depth=2
	s_delay_alu instid0(SALU_CYCLE_1) | instskip(SKIP_2) | instid1(VALU_DEP_1)
	s_or_b32 exec_lo, exec_lo, s10
	v_dual_mov_b32 v3, 0 :: v_dual_lshrrev_b32 v0, 16, v10
	s_mov_b32 s10, exec_lo
	v_and_b32_e32 v2, 0xff, v0
	s_delay_alu instid0(VALU_DEP_1)
	v_cmpx_ne_u16_e32 0, v2
	s_cbranch_execz .LBB6_688
; %bb.679:                              ;   in Loop: Header=BB6_130 Depth=2
	v_bfrev_b32_e32 v3, 1
	s_mov_b32 s40, exec_lo
	v_cmpx_ne_u16_e32 0x80, v2
	s_cbranch_execz .LBB6_687
; %bb.680:                              ;   in Loop: Header=BB6_130 Depth=2
	v_and_b32_e32 v3, 0x7c0000, v10
	v_bfe_u32 v2, v10, 16, 2
	s_delay_alu instid0(VALU_DEP_2) | instskip(SKIP_1) | instid1(SALU_CYCLE_1)
	v_cmp_ne_u32_e32 vcc_lo, 0x7c0000, v3
                                        ; implicit-def: $vgpr3
	s_and_saveexec_b32 s41, vcc_lo
	s_xor_b32 s41, exec_lo, s41
	s_cbranch_execz .LBB6_684
; %bb.681:                              ;   in Loop: Header=BB6_130 Depth=2
	v_bfe_u32 v3, v10, 18, 5
	s_mov_b32 s42, exec_lo
	s_delay_alu instid0(VALU_DEP_1)
	v_cmpx_eq_u32_e32 0, v3
; %bb.682:                              ;   in Loop: Header=BB6_130 Depth=2
	v_clz_i32_u32_e32 v2, v2
	s_delay_alu instid0(VALU_DEP_1) | instskip(NEXT) | instid1(VALU_DEP_1)
	v_min_u32_e32 v4, 32, v2
	v_subrev_nc_u32_e32 v2, 29, v4
	s_delay_alu instid0(VALU_DEP_1) | instskip(NEXT) | instid1(VALU_DEP_1)
	v_lshlrev_b64_e32 v[2:3], v2, v[0:1]
	v_dual_sub_nc_u32 v3, 30, v4 :: v_dual_bitop2_b32 v2, 3, v2 bitop3:0x40
; %bb.683:                              ;   in Loop: Header=BB6_130 Depth=2
	s_or_b32 exec_lo, exec_lo, s42
	v_lshlrev_b32_e32 v0, 24, v0
	s_delay_alu instid0(VALU_DEP_1) | instskip(NEXT) | instid1(VALU_DEP_1)
	v_and_b32_e32 v0, 0x80000000, v0
	v_lshl_add_u32 v0, v3, 23, v0
	s_delay_alu instid0(VALU_DEP_1) | instskip(NEXT) | instid1(VALU_DEP_1)
	v_lshl_or_b32 v0, v2, 21, v0
                                        ; implicit-def: $vgpr2
	v_add_nc_u32_e32 v3, 0x38000000, v0
                                        ; implicit-def: $vgpr0
.LBB6_684:                              ;   in Loop: Header=BB6_130 Depth=2
	s_and_not1_saveexec_b32 s41, s41
; %bb.685:                              ;   in Loop: Header=BB6_130 Depth=2
	v_bfe_i32 v0, v0, 0, 8
	s_delay_alu instid0(VALU_DEP_1) | instskip(SKIP_1) | instid1(VALU_DEP_1)
	v_cmp_lt_i16_e32 vcc_lo, -1, v0
	v_mov_b32_e32 v0, 0x7f800000
	v_cndmask_b32_e32 v0, 0xff800000, v0, vcc_lo
	v_cmp_eq_u32_e32 vcc_lo, 0, v2
	s_delay_alu instid0(VALU_DEP_2)
	v_cndmask_b32_e32 v3, 0x7f800001, v0, vcc_lo
; %bb.686:                              ;   in Loop: Header=BB6_130 Depth=2
	s_or_b32 exec_lo, exec_lo, s41
.LBB6_687:                              ;   in Loop: Header=BB6_130 Depth=2
	s_delay_alu instid0(SALU_CYCLE_1)
	s_or_b32 exec_lo, exec_lo, s40
.LBB6_688:                              ;   in Loop: Header=BB6_130 Depth=2
	s_delay_alu instid0(SALU_CYCLE_1) | instskip(NEXT) | instid1(VALU_DEP_1)
	s_or_b32 exec_lo, exec_lo, s10
	v_dual_mul_f32 v2, s29, v3 :: v_dual_mov_b32 v5, v1
                                        ; implicit-def: $vgpr60
	s_mov_b32 s10, exec_lo
	s_delay_alu instid0(VALU_DEP_1) | instskip(SKIP_2) | instid1(VALU_DEP_3)
	v_and_b32_e32 v4, 0x7f800000, v2
	v_and_b32_e32 v0, 0x7fffff, v2
	v_lshrrev_b32_e32 v3, 24, v2
	v_cmpx_ne_u64_e32 0x7f800000, v[4:5]
	s_xor_b32 s40, exec_lo, s10
	s_cbranch_execz .LBB6_702
; %bb.689:                              ;   in Loop: Header=BB6_130 Depth=2
	v_and_b32_e32 v4, 0x7fffffff, v2
	v_mov_b32_e32 v5, v1
	v_and_b32_e32 v8, 0x80, v3
                                        ; implicit-def: $vgpr60
	s_mov_b32 s10, exec_lo
	s_delay_alu instid0(VALU_DEP_2)
	v_cmpx_gt_u64_e32 0x47600001, v[4:5]
	s_xor_b32 s41, exec_lo, s10
	s_cbranch_execz .LBB6_699
; %bb.690:                              ;   in Loop: Header=BB6_130 Depth=2
	v_mov_b32_e32 v60, 0
	s_mov_b32 s42, exec_lo
	v_cmpx_ne_u32_e32 0, v2
	s_cbranch_execz .LBB6_698
; %bb.691:                              ;   in Loop: Header=BB6_130 Depth=2
	v_bfe_u32 v14, v2, 23, 8
	v_or_b32_e32 v4, 0x800000, v0
	s_mov_b32 s43, exec_lo
	s_delay_alu instid0(VALU_DEP_2) | instskip(SKIP_1) | instid1(VALU_DEP_2)
	v_dual_mov_b32 v5, v1 :: v_dual_sub_nc_u32 v2, 0x71, v14
	v_cmp_gt_u32_e32 vcc_lo, 0x72, v14
	v_cndmask_b32_e32 v2, 0, v2, vcc_lo
	v_cmp_eq_u32_e32 vcc_lo, 0, v14
	s_delay_alu instid0(VALU_DEP_2) | instskip(NEXT) | instid1(VALU_DEP_1)
	v_cndmask_b32_e64 v15, v2, 0x70, vcc_lo
	v_dual_cndmask_b32 v4, v4, v0, vcc_lo :: v_dual_add_nc_u32 v2, 21, v15
	v_add_nc_u32_e32 v16, 20, v15
	s_delay_alu instid0(VALU_DEP_2) | instskip(NEXT) | instid1(VALU_DEP_2)
	v_lshlrev_b64_e64 v[2:3], v2, -1
	v_lshlrev_b64_e64 v[16:17], v16, 1
	s_delay_alu instid0(VALU_DEP_2) | instskip(NEXT) | instid1(VALU_DEP_3)
	v_bfi_b32 v19, v3, 0, 0
	v_bfi_b32 v18, v2, 0, v4
	v_lshrrev_b64 v[2:3], v15, v[4:5]
	s_delay_alu instid0(VALU_DEP_1) | instskip(NEXT) | instid1(VALU_DEP_3)
	v_mov_b64_e32 v[4:5], v[2:3]
	v_cmpx_eq_u64_e64 v[18:19], v[16:17]
; %bb.692:                              ;   in Loop: Header=BB6_130 Depth=2
	v_bfe_u32 v4, v2, 21, 1
	v_mov_b32_e32 v5, v1
	s_delay_alu instid0(VALU_DEP_1) | instskip(NEXT) | instid1(VALU_DEP_1)
	v_add_nc_u64_e32 v[4:5], v[2:3], v[4:5]
	v_add_nc_u64_e32 v[4:5], -1, v[4:5]
; %bb.693:                              ;   in Loop: Header=BB6_130 Depth=2
	s_or_b32 exec_lo, exec_lo, s43
	v_add_nc_u32_e32 v0, 0xffffff81, v14
	v_lshrrev_b32_e32 v3, 23, v2
	s_mov_b32 s10, exec_lo
	s_delay_alu instid0(VALU_DEP_2) | instskip(NEXT) | instid1(VALU_DEP_1)
	v_cndmask_b32_e64 v0, v0, 0xffffff82, vcc_lo
	v_add3_u32 v5, v15, v0, v3
	v_and_b32_e32 v0, 0x1fffff, v4
                                        ; implicit-def: $vgpr4
	s_delay_alu instid0(VALU_DEP_1) | instskip(NEXT) | instid1(VALU_DEP_1)
	v_dual_add_nc_u32 v14, 14, v5 :: v_dual_add_nc_u32 v0, v0, v2
                                        ; implicit-def: $vgpr2_vgpr3
	v_cmpx_ne_u32_e32 0, v14
	s_xor_b32 s10, exec_lo, s10
; %bb.694:                              ;   in Loop: Header=BB6_130 Depth=2
	s_delay_alu instid0(VALU_DEP_2) | instskip(SKIP_1) | instid1(VALU_DEP_1)
	v_cmp_lt_u64_e32 vcc_lo, 0xffffff, v[0:1]
	v_add_nc_u32_e32 v2, 15, v5
	v_cndmask_b32_e32 v4, v14, v2, vcc_lo
	v_cndmask_b32_e64 v2, 0, 1, vcc_lo
	s_delay_alu instid0(VALU_DEP_1)
	v_lshrrev_b64 v[2:3], v2, v[0:1]
; %bb.695:                              ;   in Loop: Header=BB6_130 Depth=2
	s_and_not1_saveexec_b32 s10, s10
; %bb.696:                              ;   in Loop: Header=BB6_130 Depth=2
	v_mov_b64_e32 v[2:3], v[0:1]
	v_bfe_u32 v4, v0, 23, 1
; %bb.697:                              ;   in Loop: Header=BB6_130 Depth=2
	s_or_b32 exec_lo, exec_lo, s10
	s_delay_alu instid0(VALU_DEP_2) | instskip(NEXT) | instid1(VALU_DEP_2)
	v_lshrrev_b64 v[2:3], 21, v[2:3]
	v_cmp_gt_i32_e32 vcc_lo, 32, v4
	v_min_i32_e32 v0, 31, v4
	v_cmp_eq_u32_e64 s10, 0, v4
	s_delay_alu instid0(VALU_DEP_2) | instskip(SKIP_1) | instid1(VALU_DEP_2)
	v_dual_cndmask_b32 v3, 0, v3 :: v_dual_lshlrev_b32 v0, 2, v0
	v_cndmask_b32_e32 v2, 3, v2, vcc_lo
	v_and_b32_e32 v0, 0xfc, v0
	s_delay_alu instid0(VALU_DEP_2) | instskip(NEXT) | instid1(VALU_DEP_2)
	v_cmp_eq_u64_e32 vcc_lo, 0, v[2:3]
	v_and_or_b32 v0, v2, 3, v0
	s_and_b32 s10, s10, vcc_lo
	s_delay_alu instid0(VALU_DEP_1) | instid1(SALU_CYCLE_1)
	v_cndmask_b32_e64 v0, v0, 0, s10
	s_delay_alu instid0(VALU_DEP_1)
	v_or_b32_e32 v60, v0, v8
.LBB6_698:                              ;   in Loop: Header=BB6_130 Depth=2
	s_or_b32 exec_lo, exec_lo, s42
                                        ; implicit-def: $vgpr8
.LBB6_699:                              ;   in Loop: Header=BB6_130 Depth=2
	s_and_not1_saveexec_b32 s10, s41
; %bb.700:                              ;   in Loop: Header=BB6_130 Depth=2
	v_or_b32_e32 v60, 0x7b, v8
; %bb.701:                              ;   in Loop: Header=BB6_130 Depth=2
	s_or_b32 exec_lo, exec_lo, s10
                                        ; implicit-def: $vgpr2
                                        ; implicit-def: $vgpr3
.LBB6_702:                              ;   in Loop: Header=BB6_130 Depth=2
	s_and_not1_saveexec_b32 s10, s40
	s_cbranch_execz .LBB6_708
; %bb.703:                              ;   in Loop: Header=BB6_130 Depth=2
	s_mov_b32 s40, exec_lo
                                        ; implicit-def: $vgpr60
	v_cmpx_ne_u64_e32 0, v[0:1]
	s_xor_b32 s40, exec_lo, s40
; %bb.704:                              ;   in Loop: Header=BB6_130 Depth=2
	v_or_b32_e32 v60, 0x7f, v3
                                        ; implicit-def: $vgpr2
; %bb.705:                              ;   in Loop: Header=BB6_130 Depth=2
	s_and_not1_saveexec_b32 s40, s40
; %bb.706:                              ;   in Loop: Header=BB6_130 Depth=2
	v_cmp_lt_i32_e32 vcc_lo, -1, v2
	v_mov_b32_e32 v0, 0x7c
	s_delay_alu instid0(VALU_DEP_1)
	v_cndmask_b32_e32 v60, 0xfc, v0, vcc_lo
; %bb.707:                              ;   in Loop: Header=BB6_130 Depth=2
	s_or_b32 exec_lo, exec_lo, s40
.LBB6_708:                              ;   in Loop: Header=BB6_130 Depth=2
	s_delay_alu instid0(SALU_CYCLE_1)
	s_or_b32 exec_lo, exec_lo, s10
	v_mov_b32_e32 v2, 0
	s_mov_b32 s10, exec_lo
	v_cmpx_lt_u32_e32 0xffffff, v10
	s_cbranch_execz .LBB6_718
; %bb.709:                              ;   in Loop: Header=BB6_130 Depth=2
	v_lshrrev_b32_e32 v0, 24, v10
	v_bfrev_b32_e32 v2, 1
	s_mov_b32 s40, exec_lo
	s_delay_alu instid0(VALU_DEP_2)
	v_cmpx_ne_u32_e32 0x80, v0
	s_cbranch_execz .LBB6_717
; %bb.710:                              ;   in Loop: Header=BB6_130 Depth=2
	v_and_b32_e32 v2, 0x7c000000, v10
	v_bfe_u32 v3, v10, 24, 2
	s_delay_alu instid0(VALU_DEP_2) | instskip(SKIP_1) | instid1(SALU_CYCLE_1)
	v_cmp_ne_u32_e32 vcc_lo, 0x7c000000, v2
                                        ; implicit-def: $vgpr2
	s_and_saveexec_b32 s41, vcc_lo
	s_xor_b32 s41, exec_lo, s41
	s_cbranch_execz .LBB6_714
; %bb.711:                              ;   in Loop: Header=BB6_130 Depth=2
	v_bfe_u32 v2, v10, 26, 5
	s_mov_b32 s42, exec_lo
	s_delay_alu instid0(VALU_DEP_1)
	v_cmpx_eq_u32_e32 0, v2
; %bb.712:                              ;   in Loop: Header=BB6_130 Depth=2
	v_clz_i32_u32_e32 v2, v3
	s_delay_alu instid0(VALU_DEP_1) | instskip(NEXT) | instid1(VALU_DEP_1)
	v_min_u32_e32 v2, 32, v2
	v_subrev_nc_u32_e32 v3, 29, v2
	s_delay_alu instid0(VALU_DEP_1) | instskip(NEXT) | instid1(VALU_DEP_1)
	v_lshlrev_b64_e32 v[4:5], v3, v[0:1]
	v_dual_sub_nc_u32 v2, 30, v2 :: v_dual_bitop2_b32 v3, 3, v4 bitop3:0x40
; %bb.713:                              ;   in Loop: Header=BB6_130 Depth=2
	s_or_b32 exec_lo, exec_lo, s42
	v_and_b32_e32 v0, 0x80000000, v10
	s_delay_alu instid0(VALU_DEP_1) | instskip(NEXT) | instid1(VALU_DEP_1)
	v_lshl_add_u32 v0, v2, 23, v0
	v_lshl_or_b32 v0, v3, 21, v0
                                        ; implicit-def: $vgpr3
	s_delay_alu instid0(VALU_DEP_1)
	v_add_nc_u32_e32 v2, 0x38000000, v0
.LBB6_714:                              ;   in Loop: Header=BB6_130 Depth=2
	s_and_not1_saveexec_b32 s41, s41
; %bb.715:                              ;   in Loop: Header=BB6_130 Depth=2
	v_cmp_lt_i32_e32 vcc_lo, -1, v10
	v_mov_b32_e32 v0, 0x7f800000
	s_delay_alu instid0(VALU_DEP_1) | instskip(SKIP_1) | instid1(VALU_DEP_2)
	v_cndmask_b32_e32 v0, 0xff800000, v0, vcc_lo
	v_cmp_eq_u32_e32 vcc_lo, 0, v3
	v_cndmask_b32_e32 v2, 0x7f800001, v0, vcc_lo
; %bb.716:                              ;   in Loop: Header=BB6_130 Depth=2
	s_or_b32 exec_lo, exec_lo, s41
.LBB6_717:                              ;   in Loop: Header=BB6_130 Depth=2
	s_delay_alu instid0(SALU_CYCLE_1)
	s_or_b32 exec_lo, exec_lo, s40
.LBB6_718:                              ;   in Loop: Header=BB6_130 Depth=2
	s_delay_alu instid0(SALU_CYCLE_1) | instskip(NEXT) | instid1(VALU_DEP_1)
	s_or_b32 exec_lo, exec_lo, s10
	v_dual_mul_f32 v2, s29, v2 :: v_dual_mov_b32 v5, v1
                                        ; implicit-def: $vgpr61
	s_mov_b32 s10, exec_lo
	s_delay_alu instid0(VALU_DEP_1) | instskip(SKIP_2) | instid1(VALU_DEP_3)
	v_and_b32_e32 v4, 0x7f800000, v2
	v_and_b32_e32 v0, 0x7fffff, v2
	v_lshrrev_b32_e32 v3, 24, v2
	v_cmpx_ne_u64_e32 0x7f800000, v[4:5]
	s_xor_b32 s40, exec_lo, s10
	s_cbranch_execz .LBB6_732
; %bb.719:                              ;   in Loop: Header=BB6_130 Depth=2
	v_and_b32_e32 v4, 0x7fffffff, v2
	v_mov_b32_e32 v5, v1
	v_and_b32_e32 v8, 0x80, v3
                                        ; implicit-def: $vgpr61
	s_mov_b32 s10, exec_lo
	s_delay_alu instid0(VALU_DEP_2)
	v_cmpx_gt_u64_e32 0x47600001, v[4:5]
	s_xor_b32 s41, exec_lo, s10
	s_cbranch_execz .LBB6_729
; %bb.720:                              ;   in Loop: Header=BB6_130 Depth=2
	v_mov_b32_e32 v61, 0
	s_mov_b32 s42, exec_lo
	v_cmpx_ne_u32_e32 0, v2
	s_cbranch_execz .LBB6_728
; %bb.721:                              ;   in Loop: Header=BB6_130 Depth=2
	v_bfe_u32 v14, v2, 23, 8
	v_or_b32_e32 v4, 0x800000, v0
	s_mov_b32 s43, exec_lo
	s_delay_alu instid0(VALU_DEP_2) | instskip(SKIP_1) | instid1(VALU_DEP_2)
	v_dual_mov_b32 v5, v1 :: v_dual_sub_nc_u32 v2, 0x71, v14
	v_cmp_gt_u32_e32 vcc_lo, 0x72, v14
	v_cndmask_b32_e32 v2, 0, v2, vcc_lo
	v_cmp_eq_u32_e32 vcc_lo, 0, v14
	s_delay_alu instid0(VALU_DEP_2) | instskip(NEXT) | instid1(VALU_DEP_1)
	v_cndmask_b32_e64 v15, v2, 0x70, vcc_lo
	v_dual_cndmask_b32 v4, v4, v0, vcc_lo :: v_dual_add_nc_u32 v2, 21, v15
	v_add_nc_u32_e32 v16, 20, v15
	s_delay_alu instid0(VALU_DEP_2) | instskip(NEXT) | instid1(VALU_DEP_2)
	v_lshlrev_b64_e64 v[2:3], v2, -1
	v_lshlrev_b64_e64 v[16:17], v16, 1
	s_delay_alu instid0(VALU_DEP_2) | instskip(NEXT) | instid1(VALU_DEP_3)
	v_bfi_b32 v19, v3, 0, 0
	v_bfi_b32 v18, v2, 0, v4
	v_lshrrev_b64 v[2:3], v15, v[4:5]
	s_delay_alu instid0(VALU_DEP_1) | instskip(NEXT) | instid1(VALU_DEP_3)
	v_mov_b64_e32 v[4:5], v[2:3]
	v_cmpx_eq_u64_e64 v[18:19], v[16:17]
; %bb.722:                              ;   in Loop: Header=BB6_130 Depth=2
	v_bfe_u32 v4, v2, 21, 1
	v_mov_b32_e32 v5, v1
	s_delay_alu instid0(VALU_DEP_1) | instskip(NEXT) | instid1(VALU_DEP_1)
	v_add_nc_u64_e32 v[4:5], v[2:3], v[4:5]
	v_add_nc_u64_e32 v[4:5], -1, v[4:5]
; %bb.723:                              ;   in Loop: Header=BB6_130 Depth=2
	s_or_b32 exec_lo, exec_lo, s43
	v_add_nc_u32_e32 v0, 0xffffff81, v14
	v_lshrrev_b32_e32 v3, 23, v2
	s_mov_b32 s10, exec_lo
	s_delay_alu instid0(VALU_DEP_2) | instskip(NEXT) | instid1(VALU_DEP_1)
	v_cndmask_b32_e64 v0, v0, 0xffffff82, vcc_lo
	v_add3_u32 v5, v15, v0, v3
	v_and_b32_e32 v0, 0x1fffff, v4
                                        ; implicit-def: $vgpr4
	s_delay_alu instid0(VALU_DEP_1) | instskip(NEXT) | instid1(VALU_DEP_1)
	v_dual_add_nc_u32 v14, 14, v5 :: v_dual_add_nc_u32 v0, v0, v2
                                        ; implicit-def: $vgpr2_vgpr3
	v_cmpx_ne_u32_e32 0, v14
	s_xor_b32 s10, exec_lo, s10
; %bb.724:                              ;   in Loop: Header=BB6_130 Depth=2
	s_delay_alu instid0(VALU_DEP_2) | instskip(SKIP_1) | instid1(VALU_DEP_1)
	v_cmp_lt_u64_e32 vcc_lo, 0xffffff, v[0:1]
	v_add_nc_u32_e32 v2, 15, v5
	v_cndmask_b32_e32 v4, v14, v2, vcc_lo
	v_cndmask_b32_e64 v2, 0, 1, vcc_lo
	s_delay_alu instid0(VALU_DEP_1)
	v_lshrrev_b64 v[2:3], v2, v[0:1]
; %bb.725:                              ;   in Loop: Header=BB6_130 Depth=2
	s_and_not1_saveexec_b32 s10, s10
; %bb.726:                              ;   in Loop: Header=BB6_130 Depth=2
	v_mov_b64_e32 v[2:3], v[0:1]
	v_bfe_u32 v4, v0, 23, 1
; %bb.727:                              ;   in Loop: Header=BB6_130 Depth=2
	s_or_b32 exec_lo, exec_lo, s10
	s_delay_alu instid0(VALU_DEP_2) | instskip(NEXT) | instid1(VALU_DEP_2)
	v_lshrrev_b64 v[2:3], 21, v[2:3]
	v_cmp_gt_i32_e32 vcc_lo, 32, v4
	v_min_i32_e32 v0, 31, v4
	v_cmp_eq_u32_e64 s10, 0, v4
	s_delay_alu instid0(VALU_DEP_2) | instskip(SKIP_1) | instid1(VALU_DEP_2)
	v_dual_cndmask_b32 v3, 0, v3 :: v_dual_lshlrev_b32 v0, 2, v0
	v_cndmask_b32_e32 v2, 3, v2, vcc_lo
	v_and_b32_e32 v0, 0xfc, v0
	s_delay_alu instid0(VALU_DEP_2) | instskip(NEXT) | instid1(VALU_DEP_2)
	v_cmp_eq_u64_e32 vcc_lo, 0, v[2:3]
	v_and_or_b32 v0, v2, 3, v0
	s_and_b32 s10, s10, vcc_lo
	s_delay_alu instid0(VALU_DEP_1) | instid1(SALU_CYCLE_1)
	v_cndmask_b32_e64 v0, v0, 0, s10
	s_delay_alu instid0(VALU_DEP_1)
	v_or_b32_e32 v61, v0, v8
.LBB6_728:                              ;   in Loop: Header=BB6_130 Depth=2
	s_or_b32 exec_lo, exec_lo, s42
                                        ; implicit-def: $vgpr8
.LBB6_729:                              ;   in Loop: Header=BB6_130 Depth=2
	s_and_not1_saveexec_b32 s10, s41
; %bb.730:                              ;   in Loop: Header=BB6_130 Depth=2
	v_or_b32_e32 v61, 0x7b, v8
; %bb.731:                              ;   in Loop: Header=BB6_130 Depth=2
	s_or_b32 exec_lo, exec_lo, s10
                                        ; implicit-def: $vgpr2
                                        ; implicit-def: $vgpr3
.LBB6_732:                              ;   in Loop: Header=BB6_130 Depth=2
	s_and_not1_saveexec_b32 s10, s40
	s_cbranch_execz .LBB6_738
; %bb.733:                              ;   in Loop: Header=BB6_130 Depth=2
	s_mov_b32 s40, exec_lo
                                        ; implicit-def: $vgpr61
	v_cmpx_ne_u64_e32 0, v[0:1]
	s_xor_b32 s40, exec_lo, s40
; %bb.734:                              ;   in Loop: Header=BB6_130 Depth=2
	v_or_b32_e32 v61, 0x7f, v3
                                        ; implicit-def: $vgpr2
; %bb.735:                              ;   in Loop: Header=BB6_130 Depth=2
	s_and_not1_saveexec_b32 s40, s40
; %bb.736:                              ;   in Loop: Header=BB6_130 Depth=2
	v_cmp_lt_i32_e32 vcc_lo, -1, v2
	v_mov_b32_e32 v0, 0x7c
	s_delay_alu instid0(VALU_DEP_1)
	v_cndmask_b32_e32 v61, 0xfc, v0, vcc_lo
; %bb.737:                              ;   in Loop: Header=BB6_130 Depth=2
	s_or_b32 exec_lo, exec_lo, s40
.LBB6_738:                              ;   in Loop: Header=BB6_130 Depth=2
	s_delay_alu instid0(SALU_CYCLE_1) | instskip(SKIP_3) | instid1(VALU_DEP_2)
	s_or_b32 exec_lo, exec_lo, s10
	v_and_b32_e32 v2, 0xff, v11
	v_dual_mov_b32 v0, v11 :: v_dual_mov_b32 v3, 0
	s_mov_b32 s10, exec_lo
	v_cmpx_ne_u16_e32 0, v2
	s_cbranch_execz .LBB6_748
; %bb.739:                              ;   in Loop: Header=BB6_130 Depth=2
	v_bfrev_b32_e32 v3, 1
	s_mov_b32 s40, exec_lo
	v_cmpx_ne_u16_e32 0x80, v2
	s_cbranch_execz .LBB6_747
; %bb.740:                              ;   in Loop: Header=BB6_130 Depth=2
	v_and_b32_e32 v3, 0x7c, v11
	v_and_b32_e32 v2, 3, v11
	s_delay_alu instid0(VALU_DEP_2) | instskip(SKIP_1) | instid1(SALU_CYCLE_1)
	v_cmp_ne_u32_e32 vcc_lo, 0x7c, v3
                                        ; implicit-def: $vgpr3
	s_and_saveexec_b32 s41, vcc_lo
	s_xor_b32 s41, exec_lo, s41
	s_cbranch_execz .LBB6_744
; %bb.741:                              ;   in Loop: Header=BB6_130 Depth=2
	v_bfe_u32 v3, v11, 2, 5
	s_mov_b32 s42, exec_lo
	s_delay_alu instid0(VALU_DEP_1)
	v_cmpx_eq_u32_e32 0, v3
; %bb.742:                              ;   in Loop: Header=BB6_130 Depth=2
	v_clz_i32_u32_e32 v2, v2
	s_delay_alu instid0(VALU_DEP_1) | instskip(NEXT) | instid1(VALU_DEP_1)
	v_min_u32_e32 v4, 32, v2
	v_subrev_nc_u32_e32 v2, 29, v4
	s_delay_alu instid0(VALU_DEP_1) | instskip(NEXT) | instid1(VALU_DEP_1)
	v_lshlrev_b64_e32 v[2:3], v2, v[0:1]
	v_dual_sub_nc_u32 v3, 30, v4 :: v_dual_bitop2_b32 v2, 3, v2 bitop3:0x40
; %bb.743:                              ;   in Loop: Header=BB6_130 Depth=2
	s_or_b32 exec_lo, exec_lo, s42
	v_lshlrev_b32_e32 v4, 24, v11
	s_delay_alu instid0(VALU_DEP_1) | instskip(NEXT) | instid1(VALU_DEP_1)
	v_and_b32_e32 v4, 0x80000000, v4
	v_lshl_add_u32 v3, v3, 23, v4
	s_delay_alu instid0(VALU_DEP_1) | instskip(NEXT) | instid1(VALU_DEP_1)
	v_lshl_or_b32 v2, v2, 21, v3
	v_add_nc_u32_e32 v3, 0x38000000, v2
                                        ; implicit-def: $vgpr2
.LBB6_744:                              ;   in Loop: Header=BB6_130 Depth=2
	s_and_not1_saveexec_b32 s41, s41
; %bb.745:                              ;   in Loop: Header=BB6_130 Depth=2
	v_bfe_i32 v3, v11, 0, 8
	s_delay_alu instid0(VALU_DEP_1) | instskip(SKIP_1) | instid1(VALU_DEP_1)
	v_cmp_lt_i16_e32 vcc_lo, -1, v3
	v_mov_b32_e32 v3, 0x7f800000
	v_cndmask_b32_e32 v3, 0xff800000, v3, vcc_lo
	v_cmp_eq_u32_e32 vcc_lo, 0, v2
	s_delay_alu instid0(VALU_DEP_2)
	v_cndmask_b32_e32 v3, 0x7f800001, v3, vcc_lo
; %bb.746:                              ;   in Loop: Header=BB6_130 Depth=2
	s_or_b32 exec_lo, exec_lo, s41
.LBB6_747:                              ;   in Loop: Header=BB6_130 Depth=2
	s_delay_alu instid0(SALU_CYCLE_1)
	s_or_b32 exec_lo, exec_lo, s40
.LBB6_748:                              ;   in Loop: Header=BB6_130 Depth=2
	s_delay_alu instid0(SALU_CYCLE_1) | instskip(NEXT) | instid1(VALU_DEP_1)
	s_or_b32 exec_lo, exec_lo, s10
	v_dual_mul_f32 v4, s29, v3 :: v_dual_mov_b32 v15, v1
	v_mov_b32_e32 v3, v1
                                        ; implicit-def: $vgpr42
	s_mov_b32 s10, exec_lo
	s_delay_alu instid0(VALU_DEP_2) | instskip(SKIP_2) | instid1(VALU_DEP_3)
	v_and_b32_e32 v14, 0x7f800000, v4
	v_and_b32_e32 v2, 0x7fffff, v4
	v_lshrrev_b32_e32 v5, 24, v4
	v_cmpx_ne_u64_e32 0x7f800000, v[14:15]
	s_xor_b32 s40, exec_lo, s10
	s_cbranch_execz .LBB6_762
; %bb.749:                              ;   in Loop: Header=BB6_130 Depth=2
	v_and_b32_e32 v14, 0x7fffffff, v4
	v_mov_b32_e32 v15, v1
	v_and_b32_e32 v8, 0x80, v5
                                        ; implicit-def: $vgpr42
	s_mov_b32 s10, exec_lo
	s_delay_alu instid0(VALU_DEP_2)
	v_cmpx_gt_u64_e32 0x47600001, v[14:15]
	s_xor_b32 s41, exec_lo, s10
	s_cbranch_execz .LBB6_759
; %bb.750:                              ;   in Loop: Header=BB6_130 Depth=2
	v_mov_b32_e32 v42, 0
	s_mov_b32 s42, exec_lo
	v_cmpx_ne_u32_e32 0, v4
	s_cbranch_execz .LBB6_758
; %bb.751:                              ;   in Loop: Header=BB6_130 Depth=2
	v_bfe_u32 v14, v4, 23, 8
	v_or_b32_e32 v16, 0x800000, v2
	s_delay_alu instid0(VALU_DEP_2) | instskip(SKIP_1) | instid1(VALU_DEP_2)
	v_sub_nc_u32_e32 v4, 0x71, v14
	v_cmp_gt_u32_e32 vcc_lo, 0x72, v14
	v_cndmask_b32_e32 v4, 0, v4, vcc_lo
	v_cmp_eq_u32_e32 vcc_lo, 0, v14
	s_delay_alu instid0(VALU_DEP_2) | instskip(NEXT) | instid1(VALU_DEP_1)
	v_cndmask_b32_e64 v15, v4, 0x70, vcc_lo
	v_dual_cndmask_b32 v2, v16, v2, vcc_lo :: v_dual_add_nc_u32 v4, 21, v15
	v_add_nc_u32_e32 v17, 20, v15
	s_delay_alu instid0(VALU_DEP_2) | instskip(NEXT) | instid1(VALU_DEP_2)
	v_lshlrev_b64_e64 v[4:5], v4, -1
	v_lshlrev_b64_e64 v[16:17], v17, 1
	s_delay_alu instid0(VALU_DEP_2) | instskip(SKIP_1) | instid1(VALU_DEP_4)
	v_bfi_b32 v4, v4, 0, v2
	v_lshrrev_b64 v[2:3], v15, v[2:3]
	v_bfi_b32 v5, v5, 0, 0
	s_delay_alu instid0(VALU_DEP_1) | instskip(NEXT) | instid1(VALU_DEP_3)
	v_cmp_eq_u64_e64 s10, v[4:5], v[16:17]
	v_mov_b64_e32 v[4:5], v[2:3]
	s_and_saveexec_b32 s43, s10
; %bb.752:                              ;   in Loop: Header=BB6_130 Depth=2
	v_bfe_u32 v4, v2, 21, 1
	v_mov_b32_e32 v5, v1
	s_delay_alu instid0(VALU_DEP_1) | instskip(NEXT) | instid1(VALU_DEP_1)
	v_add_nc_u64_e32 v[4:5], v[2:3], v[4:5]
	v_add_nc_u64_e32 v[4:5], -1, v[4:5]
; %bb.753:                              ;   in Loop: Header=BB6_130 Depth=2
	s_or_b32 exec_lo, exec_lo, s43
	v_add_nc_u32_e32 v3, 0xffffff81, v14
	v_lshrrev_b32_e32 v5, 23, v2
	s_mov_b32 s10, exec_lo
	s_delay_alu instid0(VALU_DEP_2) | instskip(NEXT) | instid1(VALU_DEP_1)
	v_cndmask_b32_e64 v3, v3, 0xffffff82, vcc_lo
	v_add3_u32 v5, v15, v3, v5
	v_and_b32_e32 v3, 0x1fffff, v4
                                        ; implicit-def: $vgpr4
	s_delay_alu instid0(VALU_DEP_1) | instskip(SKIP_1) | instid1(VALU_DEP_2)
	v_dual_add_nc_u32 v14, 14, v5 :: v_dual_add_nc_u32 v2, v3, v2
	v_mov_b32_e32 v3, v1
	v_cmpx_ne_u32_e32 0, v14
	s_xor_b32 s10, exec_lo, s10
; %bb.754:                              ;   in Loop: Header=BB6_130 Depth=2
	s_delay_alu instid0(VALU_DEP_2) | instskip(SKIP_2) | instid1(VALU_DEP_2)
	v_cmp_lt_u64_e32 vcc_lo, 0xffffff, v[2:3]
	v_add_nc_u32_e32 v4, 15, v5
	v_cndmask_b32_e64 v5, 0, 1, vcc_lo
	v_cndmask_b32_e32 v4, v14, v4, vcc_lo
	s_delay_alu instid0(VALU_DEP_2)
	v_lshrrev_b64 v[2:3], v5, v[2:3]
; %bb.755:                              ;   in Loop: Header=BB6_130 Depth=2
	s_and_not1_saveexec_b32 s10, s10
; %bb.756:                              ;   in Loop: Header=BB6_130 Depth=2
	s_delay_alu instid0(VALU_DEP_1)
	v_bfe_u32 v4, v2, 23, 1
; %bb.757:                              ;   in Loop: Header=BB6_130 Depth=2
	s_or_b32 exec_lo, exec_lo, s10
	s_delay_alu instid0(VALU_DEP_2) | instskip(NEXT) | instid1(VALU_DEP_2)
	v_lshrrev_b64 v[2:3], 21, v[2:3]
	v_cmp_gt_i32_e32 vcc_lo, 32, v4
	v_min_i32_e32 v5, 31, v4
	v_cmp_eq_u32_e64 s10, 0, v4
	s_delay_alu instid0(VALU_DEP_2) | instskip(SKIP_1) | instid1(VALU_DEP_2)
	v_dual_cndmask_b32 v3, 0, v3, vcc_lo :: v_dual_lshlrev_b32 v5, 2, v5
	v_cndmask_b32_e32 v2, 3, v2, vcc_lo
	v_and_b32_e32 v5, 0xfc, v5
	s_delay_alu instid0(VALU_DEP_2) | instskip(NEXT) | instid1(VALU_DEP_2)
	v_cmp_eq_u64_e32 vcc_lo, 0, v[2:3]
	v_and_or_b32 v2, v2, 3, v5
	s_and_b32 s10, s10, vcc_lo
	s_delay_alu instid0(VALU_DEP_1) | instid1(SALU_CYCLE_1)
	v_cndmask_b32_e64 v2, v2, 0, s10
	s_delay_alu instid0(VALU_DEP_1)
	v_or_b32_e32 v42, v2, v8
.LBB6_758:                              ;   in Loop: Header=BB6_130 Depth=2
	s_or_b32 exec_lo, exec_lo, s42
                                        ; implicit-def: $vgpr8
.LBB6_759:                              ;   in Loop: Header=BB6_130 Depth=2
	s_and_not1_saveexec_b32 s10, s41
; %bb.760:                              ;   in Loop: Header=BB6_130 Depth=2
	v_or_b32_e32 v42, 0x7b, v8
; %bb.761:                              ;   in Loop: Header=BB6_130 Depth=2
	s_or_b32 exec_lo, exec_lo, s10
                                        ; implicit-def: $vgpr4
                                        ; implicit-def: $vgpr2_vgpr3
                                        ; implicit-def: $vgpr5
.LBB6_762:                              ;   in Loop: Header=BB6_130 Depth=2
	s_and_not1_saveexec_b32 s10, s40
	s_cbranch_execz .LBB6_768
; %bb.763:                              ;   in Loop: Header=BB6_130 Depth=2
	s_mov_b32 s40, exec_lo
                                        ; implicit-def: $vgpr42
	v_cmpx_ne_u64_e32 0, v[2:3]
	s_xor_b32 s40, exec_lo, s40
; %bb.764:                              ;   in Loop: Header=BB6_130 Depth=2
	v_or_b32_e32 v42, 0x7f, v5
                                        ; implicit-def: $vgpr4
; %bb.765:                              ;   in Loop: Header=BB6_130 Depth=2
	s_and_not1_saveexec_b32 s40, s40
; %bb.766:                              ;   in Loop: Header=BB6_130 Depth=2
	v_cmp_lt_i32_e32 vcc_lo, -1, v4
	v_mov_b32_e32 v2, 0x7c
	s_delay_alu instid0(VALU_DEP_1)
	v_cndmask_b32_e32 v42, 0xfc, v2, vcc_lo
; %bb.767:                              ;   in Loop: Header=BB6_130 Depth=2
	s_or_b32 exec_lo, exec_lo, s40
.LBB6_768:                              ;   in Loop: Header=BB6_130 Depth=2
	s_delay_alu instid0(SALU_CYCLE_1) | instskip(SKIP_3) | instid1(VALU_DEP_2)
	s_or_b32 exec_lo, exec_lo, s10
	v_lshrrev_b16 v2, 8, v0
	v_mov_b32_e32 v4, 0
	s_mov_b32 s10, exec_lo
	v_cmpx_ne_u16_e32 0, v2
	s_cbranch_execz .LBB6_778
; %bb.769:                              ;   in Loop: Header=BB6_130 Depth=2
	v_bfrev_b32_e32 v4, 1
	s_mov_b32 s40, exec_lo
	v_cmpx_ne_u16_e32 0x80, v2
	s_cbranch_execz .LBB6_777
; %bb.770:                              ;   in Loop: Header=BB6_130 Depth=2
	v_and_b32_e32 v5, 0xffff, v2
	s_delay_alu instid0(VALU_DEP_1) | instskip(SKIP_1) | instid1(VALU_DEP_2)
	v_and_b32_e32 v4, 0x7c, v5
	v_and_b32_e32 v3, 3, v5
	v_cmp_ne_u32_e32 vcc_lo, 0x7c, v4
                                        ; implicit-def: $vgpr4
	s_and_saveexec_b32 s41, vcc_lo
	s_delay_alu instid0(SALU_CYCLE_1)
	s_xor_b32 s41, exec_lo, s41
	s_cbranch_execz .LBB6_774
; %bb.771:                              ;   in Loop: Header=BB6_130 Depth=2
	v_bfe_u32 v4, v5, 2, 5
	s_mov_b32 s42, exec_lo
	s_delay_alu instid0(VALU_DEP_1)
	v_cmpx_eq_u32_e32 0, v4
	s_cbranch_execz .LBB6_773
; %bb.772:                              ;   in Loop: Header=BB6_130 Depth=2
	v_clz_i32_u32_e32 v3, v3
	s_delay_alu instid0(VALU_DEP_1) | instskip(SKIP_1) | instid1(VALU_DEP_2)
	v_min_u32_e32 v4, 32, v3
	v_mov_b32_e32 v3, v1
	v_subrev_nc_u32_e32 v5, 29, v4
	v_sub_nc_u32_e32 v4, 30, v4
	s_delay_alu instid0(VALU_DEP_2) | instskip(NEXT) | instid1(VALU_DEP_1)
	v_lshlrev_b64_e32 v[2:3], v5, v[2:3]
	v_and_b32_e32 v3, 3, v2
.LBB6_773:                              ;   in Loop: Header=BB6_130 Depth=2
	s_or_b32 exec_lo, exec_lo, s42
	v_lshlrev_b32_e32 v0, 16, v0
	s_delay_alu instid0(VALU_DEP_1) | instskip(NEXT) | instid1(VALU_DEP_1)
	v_and_b32_e32 v0, 0x80000000, v0
	v_lshl_add_u32 v0, v4, 23, v0
	s_delay_alu instid0(VALU_DEP_1) | instskip(NEXT) | instid1(VALU_DEP_1)
	v_lshl_or_b32 v0, v3, 21, v0
                                        ; implicit-def: $vgpr3
	v_add_nc_u32_e32 v4, 0x38000000, v0
.LBB6_774:                              ;   in Loop: Header=BB6_130 Depth=2
	s_and_not1_saveexec_b32 s41, s41
; %bb.775:                              ;   in Loop: Header=BB6_130 Depth=2
	v_cmp_lt_i16_e32 vcc_lo, -1, v0
	v_mov_b32_e32 v0, 0x7f800000
	s_delay_alu instid0(VALU_DEP_1) | instskip(SKIP_1) | instid1(VALU_DEP_2)
	v_cndmask_b32_e32 v0, 0xff800000, v0, vcc_lo
	v_cmp_eq_u32_e32 vcc_lo, 0, v3
	v_cndmask_b32_e32 v4, 0x7f800001, v0, vcc_lo
; %bb.776:                              ;   in Loop: Header=BB6_130 Depth=2
	s_or_b32 exec_lo, exec_lo, s41
.LBB6_777:                              ;   in Loop: Header=BB6_130 Depth=2
	s_delay_alu instid0(SALU_CYCLE_1)
	s_or_b32 exec_lo, exec_lo, s40
.LBB6_778:                              ;   in Loop: Header=BB6_130 Depth=2
	s_delay_alu instid0(SALU_CYCLE_1) | instskip(NEXT) | instid1(VALU_DEP_1)
	s_or_b32 exec_lo, exec_lo, s10
	v_dual_mul_f32 v2, s29, v4 :: v_dual_mov_b32 v5, v1
                                        ; implicit-def: $vgpr44
	s_mov_b32 s10, exec_lo
	s_delay_alu instid0(VALU_DEP_1) | instskip(SKIP_2) | instid1(VALU_DEP_3)
	v_and_b32_e32 v4, 0x7f800000, v2
	v_and_b32_e32 v0, 0x7fffff, v2
	v_lshrrev_b32_e32 v3, 24, v2
	v_cmpx_ne_u64_e32 0x7f800000, v[4:5]
	s_xor_b32 s40, exec_lo, s10
	s_cbranch_execz .LBB6_792
; %bb.779:                              ;   in Loop: Header=BB6_130 Depth=2
	v_and_b32_e32 v4, 0x7fffffff, v2
	v_mov_b32_e32 v5, v1
	v_and_b32_e32 v8, 0x80, v3
                                        ; implicit-def: $vgpr44
	s_mov_b32 s10, exec_lo
	s_delay_alu instid0(VALU_DEP_2)
	v_cmpx_gt_u64_e32 0x47600001, v[4:5]
	s_xor_b32 s41, exec_lo, s10
	s_cbranch_execz .LBB6_789
; %bb.780:                              ;   in Loop: Header=BB6_130 Depth=2
	v_mov_b32_e32 v44, 0
	s_mov_b32 s42, exec_lo
	v_cmpx_ne_u32_e32 0, v2
	s_cbranch_execz .LBB6_788
; %bb.781:                              ;   in Loop: Header=BB6_130 Depth=2
	v_bfe_u32 v14, v2, 23, 8
	v_or_b32_e32 v4, 0x800000, v0
	s_mov_b32 s43, exec_lo
	s_delay_alu instid0(VALU_DEP_2) | instskip(SKIP_1) | instid1(VALU_DEP_2)
	v_dual_mov_b32 v5, v1 :: v_dual_sub_nc_u32 v2, 0x71, v14
	v_cmp_gt_u32_e32 vcc_lo, 0x72, v14
	v_cndmask_b32_e32 v2, 0, v2, vcc_lo
	v_cmp_eq_u32_e32 vcc_lo, 0, v14
	s_delay_alu instid0(VALU_DEP_2) | instskip(NEXT) | instid1(VALU_DEP_1)
	v_cndmask_b32_e64 v15, v2, 0x70, vcc_lo
	v_dual_cndmask_b32 v4, v4, v0, vcc_lo :: v_dual_add_nc_u32 v2, 21, v15
	v_add_nc_u32_e32 v16, 20, v15
	s_delay_alu instid0(VALU_DEP_2) | instskip(NEXT) | instid1(VALU_DEP_2)
	v_lshlrev_b64_e64 v[2:3], v2, -1
	v_lshlrev_b64_e64 v[16:17], v16, 1
	s_delay_alu instid0(VALU_DEP_2) | instskip(NEXT) | instid1(VALU_DEP_3)
	v_bfi_b32 v19, v3, 0, 0
	v_bfi_b32 v18, v2, 0, v4
	v_lshrrev_b64 v[2:3], v15, v[4:5]
	s_delay_alu instid0(VALU_DEP_1) | instskip(NEXT) | instid1(VALU_DEP_3)
	v_mov_b64_e32 v[4:5], v[2:3]
	v_cmpx_eq_u64_e64 v[18:19], v[16:17]
; %bb.782:                              ;   in Loop: Header=BB6_130 Depth=2
	v_bfe_u32 v4, v2, 21, 1
	v_mov_b32_e32 v5, v1
	s_delay_alu instid0(VALU_DEP_1) | instskip(NEXT) | instid1(VALU_DEP_1)
	v_add_nc_u64_e32 v[4:5], v[2:3], v[4:5]
	v_add_nc_u64_e32 v[4:5], -1, v[4:5]
; %bb.783:                              ;   in Loop: Header=BB6_130 Depth=2
	s_or_b32 exec_lo, exec_lo, s43
	v_add_nc_u32_e32 v0, 0xffffff81, v14
	v_lshrrev_b32_e32 v3, 23, v2
	s_mov_b32 s10, exec_lo
	s_delay_alu instid0(VALU_DEP_2) | instskip(NEXT) | instid1(VALU_DEP_1)
	v_cndmask_b32_e64 v0, v0, 0xffffff82, vcc_lo
	v_add3_u32 v5, v15, v0, v3
	v_and_b32_e32 v0, 0x1fffff, v4
                                        ; implicit-def: $vgpr4
	s_delay_alu instid0(VALU_DEP_1) | instskip(NEXT) | instid1(VALU_DEP_1)
	v_dual_add_nc_u32 v14, 14, v5 :: v_dual_add_nc_u32 v0, v0, v2
                                        ; implicit-def: $vgpr2_vgpr3
	v_cmpx_ne_u32_e32 0, v14
	s_xor_b32 s10, exec_lo, s10
; %bb.784:                              ;   in Loop: Header=BB6_130 Depth=2
	s_delay_alu instid0(VALU_DEP_2) | instskip(SKIP_1) | instid1(VALU_DEP_1)
	v_cmp_lt_u64_e32 vcc_lo, 0xffffff, v[0:1]
	v_add_nc_u32_e32 v2, 15, v5
	v_cndmask_b32_e32 v4, v14, v2, vcc_lo
	v_cndmask_b32_e64 v2, 0, 1, vcc_lo
	s_delay_alu instid0(VALU_DEP_1)
	v_lshrrev_b64 v[2:3], v2, v[0:1]
; %bb.785:                              ;   in Loop: Header=BB6_130 Depth=2
	s_and_not1_saveexec_b32 s10, s10
; %bb.786:                              ;   in Loop: Header=BB6_130 Depth=2
	v_mov_b64_e32 v[2:3], v[0:1]
	v_bfe_u32 v4, v0, 23, 1
; %bb.787:                              ;   in Loop: Header=BB6_130 Depth=2
	s_or_b32 exec_lo, exec_lo, s10
	s_delay_alu instid0(VALU_DEP_2) | instskip(NEXT) | instid1(VALU_DEP_2)
	v_lshrrev_b64 v[2:3], 21, v[2:3]
	v_cmp_gt_i32_e32 vcc_lo, 32, v4
	v_min_i32_e32 v0, 31, v4
	v_cmp_eq_u32_e64 s10, 0, v4
	s_delay_alu instid0(VALU_DEP_2) | instskip(SKIP_1) | instid1(VALU_DEP_2)
	v_dual_cndmask_b32 v3, 0, v3 :: v_dual_lshlrev_b32 v0, 2, v0
	v_cndmask_b32_e32 v2, 3, v2, vcc_lo
	v_and_b32_e32 v0, 0xfc, v0
	s_delay_alu instid0(VALU_DEP_2) | instskip(NEXT) | instid1(VALU_DEP_2)
	v_cmp_eq_u64_e32 vcc_lo, 0, v[2:3]
	v_and_or_b32 v0, v2, 3, v0
	s_and_b32 s10, s10, vcc_lo
	s_delay_alu instid0(VALU_DEP_1) | instid1(SALU_CYCLE_1)
	v_cndmask_b32_e64 v0, v0, 0, s10
	s_delay_alu instid0(VALU_DEP_1)
	v_or_b32_e32 v44, v0, v8
.LBB6_788:                              ;   in Loop: Header=BB6_130 Depth=2
	s_or_b32 exec_lo, exec_lo, s42
                                        ; implicit-def: $vgpr8
.LBB6_789:                              ;   in Loop: Header=BB6_130 Depth=2
	s_and_not1_saveexec_b32 s10, s41
; %bb.790:                              ;   in Loop: Header=BB6_130 Depth=2
	v_or_b32_e32 v44, 0x7b, v8
; %bb.791:                              ;   in Loop: Header=BB6_130 Depth=2
	s_or_b32 exec_lo, exec_lo, s10
                                        ; implicit-def: $vgpr2
                                        ; implicit-def: $vgpr3
.LBB6_792:                              ;   in Loop: Header=BB6_130 Depth=2
	s_and_not1_saveexec_b32 s10, s40
	s_cbranch_execz .LBB6_798
; %bb.793:                              ;   in Loop: Header=BB6_130 Depth=2
	s_mov_b32 s40, exec_lo
                                        ; implicit-def: $vgpr44
	v_cmpx_ne_u64_e32 0, v[0:1]
	s_xor_b32 s40, exec_lo, s40
; %bb.794:                              ;   in Loop: Header=BB6_130 Depth=2
	v_or_b32_e32 v44, 0x7f, v3
                                        ; implicit-def: $vgpr2
; %bb.795:                              ;   in Loop: Header=BB6_130 Depth=2
	s_and_not1_saveexec_b32 s40, s40
; %bb.796:                              ;   in Loop: Header=BB6_130 Depth=2
	v_cmp_lt_i32_e32 vcc_lo, -1, v2
	v_mov_b32_e32 v0, 0x7c
	s_delay_alu instid0(VALU_DEP_1)
	v_cndmask_b32_e32 v44, 0xfc, v0, vcc_lo
; %bb.797:                              ;   in Loop: Header=BB6_130 Depth=2
	s_or_b32 exec_lo, exec_lo, s40
.LBB6_798:                              ;   in Loop: Header=BB6_130 Depth=2
	s_delay_alu instid0(SALU_CYCLE_1) | instskip(SKIP_2) | instid1(VALU_DEP_1)
	s_or_b32 exec_lo, exec_lo, s10
	v_dual_mov_b32 v3, 0 :: v_dual_lshrrev_b32 v0, 16, v11
	s_mov_b32 s10, exec_lo
	v_and_b32_e32 v2, 0xff, v0
	s_delay_alu instid0(VALU_DEP_1)
	v_cmpx_ne_u16_e32 0, v2
	s_cbranch_execz .LBB6_808
; %bb.799:                              ;   in Loop: Header=BB6_130 Depth=2
	v_bfrev_b32_e32 v3, 1
	s_mov_b32 s40, exec_lo
	v_cmpx_ne_u16_e32 0x80, v2
	s_cbranch_execz .LBB6_807
; %bb.800:                              ;   in Loop: Header=BB6_130 Depth=2
	v_and_b32_e32 v3, 0x7c0000, v11
	v_bfe_u32 v2, v11, 16, 2
	s_delay_alu instid0(VALU_DEP_2) | instskip(SKIP_1) | instid1(SALU_CYCLE_1)
	v_cmp_ne_u32_e32 vcc_lo, 0x7c0000, v3
                                        ; implicit-def: $vgpr3
	s_and_saveexec_b32 s41, vcc_lo
	s_xor_b32 s41, exec_lo, s41
	s_cbranch_execz .LBB6_804
; %bb.801:                              ;   in Loop: Header=BB6_130 Depth=2
	v_bfe_u32 v3, v11, 18, 5
	s_mov_b32 s42, exec_lo
	s_delay_alu instid0(VALU_DEP_1)
	v_cmpx_eq_u32_e32 0, v3
; %bb.802:                              ;   in Loop: Header=BB6_130 Depth=2
	v_clz_i32_u32_e32 v2, v2
	s_delay_alu instid0(VALU_DEP_1) | instskip(NEXT) | instid1(VALU_DEP_1)
	v_min_u32_e32 v4, 32, v2
	v_subrev_nc_u32_e32 v2, 29, v4
	s_delay_alu instid0(VALU_DEP_1) | instskip(NEXT) | instid1(VALU_DEP_1)
	v_lshlrev_b64_e32 v[2:3], v2, v[0:1]
	v_dual_sub_nc_u32 v3, 30, v4 :: v_dual_bitop2_b32 v2, 3, v2 bitop3:0x40
; %bb.803:                              ;   in Loop: Header=BB6_130 Depth=2
	s_or_b32 exec_lo, exec_lo, s42
	v_lshlrev_b32_e32 v0, 24, v0
	s_delay_alu instid0(VALU_DEP_1) | instskip(NEXT) | instid1(VALU_DEP_1)
	v_and_b32_e32 v0, 0x80000000, v0
	v_lshl_add_u32 v0, v3, 23, v0
	s_delay_alu instid0(VALU_DEP_1) | instskip(NEXT) | instid1(VALU_DEP_1)
	v_lshl_or_b32 v0, v2, 21, v0
                                        ; implicit-def: $vgpr2
	v_add_nc_u32_e32 v3, 0x38000000, v0
                                        ; implicit-def: $vgpr0
.LBB6_804:                              ;   in Loop: Header=BB6_130 Depth=2
	s_and_not1_saveexec_b32 s41, s41
; %bb.805:                              ;   in Loop: Header=BB6_130 Depth=2
	v_bfe_i32 v0, v0, 0, 8
	s_delay_alu instid0(VALU_DEP_1) | instskip(SKIP_1) | instid1(VALU_DEP_1)
	v_cmp_lt_i16_e32 vcc_lo, -1, v0
	v_mov_b32_e32 v0, 0x7f800000
	v_cndmask_b32_e32 v0, 0xff800000, v0, vcc_lo
	v_cmp_eq_u32_e32 vcc_lo, 0, v2
	s_delay_alu instid0(VALU_DEP_2)
	v_cndmask_b32_e32 v3, 0x7f800001, v0, vcc_lo
; %bb.806:                              ;   in Loop: Header=BB6_130 Depth=2
	s_or_b32 exec_lo, exec_lo, s41
.LBB6_807:                              ;   in Loop: Header=BB6_130 Depth=2
	s_delay_alu instid0(SALU_CYCLE_1)
	s_or_b32 exec_lo, exec_lo, s40
.LBB6_808:                              ;   in Loop: Header=BB6_130 Depth=2
	s_delay_alu instid0(SALU_CYCLE_1) | instskip(NEXT) | instid1(VALU_DEP_1)
	s_or_b32 exec_lo, exec_lo, s10
	v_dual_mul_f32 v2, s29, v3 :: v_dual_mov_b32 v5, v1
                                        ; implicit-def: $vgpr56
	s_mov_b32 s10, exec_lo
	s_delay_alu instid0(VALU_DEP_1) | instskip(SKIP_2) | instid1(VALU_DEP_3)
	v_and_b32_e32 v4, 0x7f800000, v2
	v_and_b32_e32 v0, 0x7fffff, v2
	v_lshrrev_b32_e32 v3, 24, v2
	v_cmpx_ne_u64_e32 0x7f800000, v[4:5]
	s_xor_b32 s40, exec_lo, s10
	s_cbranch_execz .LBB6_822
; %bb.809:                              ;   in Loop: Header=BB6_130 Depth=2
	v_and_b32_e32 v4, 0x7fffffff, v2
	v_mov_b32_e32 v5, v1
	v_and_b32_e32 v8, 0x80, v3
                                        ; implicit-def: $vgpr56
	s_mov_b32 s10, exec_lo
	s_delay_alu instid0(VALU_DEP_2)
	v_cmpx_gt_u64_e32 0x47600001, v[4:5]
	s_xor_b32 s41, exec_lo, s10
	s_cbranch_execz .LBB6_819
; %bb.810:                              ;   in Loop: Header=BB6_130 Depth=2
	v_mov_b32_e32 v56, 0
	s_mov_b32 s42, exec_lo
	v_cmpx_ne_u32_e32 0, v2
	s_cbranch_execz .LBB6_818
; %bb.811:                              ;   in Loop: Header=BB6_130 Depth=2
	v_bfe_u32 v14, v2, 23, 8
	v_or_b32_e32 v4, 0x800000, v0
	s_mov_b32 s43, exec_lo
	s_delay_alu instid0(VALU_DEP_2) | instskip(SKIP_1) | instid1(VALU_DEP_2)
	v_dual_mov_b32 v5, v1 :: v_dual_sub_nc_u32 v2, 0x71, v14
	v_cmp_gt_u32_e32 vcc_lo, 0x72, v14
	v_cndmask_b32_e32 v2, 0, v2, vcc_lo
	v_cmp_eq_u32_e32 vcc_lo, 0, v14
	s_delay_alu instid0(VALU_DEP_2) | instskip(NEXT) | instid1(VALU_DEP_1)
	v_cndmask_b32_e64 v15, v2, 0x70, vcc_lo
	v_dual_cndmask_b32 v4, v4, v0, vcc_lo :: v_dual_add_nc_u32 v2, 21, v15
	v_add_nc_u32_e32 v16, 20, v15
	s_delay_alu instid0(VALU_DEP_2) | instskip(NEXT) | instid1(VALU_DEP_2)
	v_lshlrev_b64_e64 v[2:3], v2, -1
	v_lshlrev_b64_e64 v[16:17], v16, 1
	s_delay_alu instid0(VALU_DEP_2) | instskip(NEXT) | instid1(VALU_DEP_3)
	v_bfi_b32 v19, v3, 0, 0
	v_bfi_b32 v18, v2, 0, v4
	v_lshrrev_b64 v[2:3], v15, v[4:5]
	s_delay_alu instid0(VALU_DEP_1) | instskip(NEXT) | instid1(VALU_DEP_3)
	v_mov_b64_e32 v[4:5], v[2:3]
	v_cmpx_eq_u64_e64 v[18:19], v[16:17]
; %bb.812:                              ;   in Loop: Header=BB6_130 Depth=2
	v_bfe_u32 v4, v2, 21, 1
	v_mov_b32_e32 v5, v1
	s_delay_alu instid0(VALU_DEP_1) | instskip(NEXT) | instid1(VALU_DEP_1)
	v_add_nc_u64_e32 v[4:5], v[2:3], v[4:5]
	v_add_nc_u64_e32 v[4:5], -1, v[4:5]
; %bb.813:                              ;   in Loop: Header=BB6_130 Depth=2
	s_or_b32 exec_lo, exec_lo, s43
	v_add_nc_u32_e32 v0, 0xffffff81, v14
	v_lshrrev_b32_e32 v3, 23, v2
	s_mov_b32 s10, exec_lo
	s_delay_alu instid0(VALU_DEP_2) | instskip(NEXT) | instid1(VALU_DEP_1)
	v_cndmask_b32_e64 v0, v0, 0xffffff82, vcc_lo
	v_add3_u32 v5, v15, v0, v3
	v_and_b32_e32 v0, 0x1fffff, v4
                                        ; implicit-def: $vgpr4
	s_delay_alu instid0(VALU_DEP_1) | instskip(NEXT) | instid1(VALU_DEP_1)
	v_dual_add_nc_u32 v14, 14, v5 :: v_dual_add_nc_u32 v0, v0, v2
                                        ; implicit-def: $vgpr2_vgpr3
	v_cmpx_ne_u32_e32 0, v14
	s_xor_b32 s10, exec_lo, s10
; %bb.814:                              ;   in Loop: Header=BB6_130 Depth=2
	s_delay_alu instid0(VALU_DEP_2) | instskip(SKIP_1) | instid1(VALU_DEP_1)
	v_cmp_lt_u64_e32 vcc_lo, 0xffffff, v[0:1]
	v_add_nc_u32_e32 v2, 15, v5
	v_cndmask_b32_e32 v4, v14, v2, vcc_lo
	v_cndmask_b32_e64 v2, 0, 1, vcc_lo
	s_delay_alu instid0(VALU_DEP_1)
	v_lshrrev_b64 v[2:3], v2, v[0:1]
; %bb.815:                              ;   in Loop: Header=BB6_130 Depth=2
	s_and_not1_saveexec_b32 s10, s10
; %bb.816:                              ;   in Loop: Header=BB6_130 Depth=2
	v_mov_b64_e32 v[2:3], v[0:1]
	v_bfe_u32 v4, v0, 23, 1
; %bb.817:                              ;   in Loop: Header=BB6_130 Depth=2
	s_or_b32 exec_lo, exec_lo, s10
	s_delay_alu instid0(VALU_DEP_2) | instskip(NEXT) | instid1(VALU_DEP_2)
	v_lshrrev_b64 v[2:3], 21, v[2:3]
	v_cmp_gt_i32_e32 vcc_lo, 32, v4
	v_min_i32_e32 v0, 31, v4
	v_cmp_eq_u32_e64 s10, 0, v4
	s_delay_alu instid0(VALU_DEP_2) | instskip(SKIP_1) | instid1(VALU_DEP_2)
	v_dual_cndmask_b32 v3, 0, v3 :: v_dual_lshlrev_b32 v0, 2, v0
	v_cndmask_b32_e32 v2, 3, v2, vcc_lo
	v_and_b32_e32 v0, 0xfc, v0
	s_delay_alu instid0(VALU_DEP_2) | instskip(NEXT) | instid1(VALU_DEP_2)
	v_cmp_eq_u64_e32 vcc_lo, 0, v[2:3]
	v_and_or_b32 v0, v2, 3, v0
	s_and_b32 s10, s10, vcc_lo
	s_delay_alu instid0(VALU_DEP_1) | instid1(SALU_CYCLE_1)
	v_cndmask_b32_e64 v0, v0, 0, s10
	s_delay_alu instid0(VALU_DEP_1)
	v_or_b32_e32 v56, v0, v8
.LBB6_818:                              ;   in Loop: Header=BB6_130 Depth=2
	s_or_b32 exec_lo, exec_lo, s42
                                        ; implicit-def: $vgpr8
.LBB6_819:                              ;   in Loop: Header=BB6_130 Depth=2
	s_and_not1_saveexec_b32 s10, s41
; %bb.820:                              ;   in Loop: Header=BB6_130 Depth=2
	v_or_b32_e32 v56, 0x7b, v8
; %bb.821:                              ;   in Loop: Header=BB6_130 Depth=2
	s_or_b32 exec_lo, exec_lo, s10
                                        ; implicit-def: $vgpr2
                                        ; implicit-def: $vgpr3
.LBB6_822:                              ;   in Loop: Header=BB6_130 Depth=2
	s_and_not1_saveexec_b32 s10, s40
	s_cbranch_execz .LBB6_828
; %bb.823:                              ;   in Loop: Header=BB6_130 Depth=2
	s_mov_b32 s40, exec_lo
                                        ; implicit-def: $vgpr56
	v_cmpx_ne_u64_e32 0, v[0:1]
	s_xor_b32 s40, exec_lo, s40
; %bb.824:                              ;   in Loop: Header=BB6_130 Depth=2
	v_or_b32_e32 v56, 0x7f, v3
                                        ; implicit-def: $vgpr2
; %bb.825:                              ;   in Loop: Header=BB6_130 Depth=2
	s_and_not1_saveexec_b32 s40, s40
; %bb.826:                              ;   in Loop: Header=BB6_130 Depth=2
	v_cmp_lt_i32_e32 vcc_lo, -1, v2
	v_mov_b32_e32 v0, 0x7c
	s_delay_alu instid0(VALU_DEP_1)
	v_cndmask_b32_e32 v56, 0xfc, v0, vcc_lo
; %bb.827:                              ;   in Loop: Header=BB6_130 Depth=2
	s_or_b32 exec_lo, exec_lo, s40
.LBB6_828:                              ;   in Loop: Header=BB6_130 Depth=2
	s_delay_alu instid0(SALU_CYCLE_1)
	s_or_b32 exec_lo, exec_lo, s10
	v_mov_b32_e32 v2, 0
	s_mov_b32 s10, exec_lo
	v_cmpx_lt_u64_e64 s[12:13], v[10:11]
	s_cbranch_execz .LBB6_838
; %bb.829:                              ;   in Loop: Header=BB6_130 Depth=2
	v_lshrrev_b32_e32 v0, 24, v11
	v_bfrev_b32_e32 v2, 1
	s_mov_b32 s40, exec_lo
	s_delay_alu instid0(VALU_DEP_2)
	v_cmpx_ne_u32_e32 0x80, v0
	s_cbranch_execz .LBB6_837
; %bb.830:                              ;   in Loop: Header=BB6_130 Depth=2
	v_and_b32_e32 v2, 0x7c000000, v11
	v_bfe_u32 v3, v11, 24, 2
	s_delay_alu instid0(VALU_DEP_2) | instskip(SKIP_1) | instid1(SALU_CYCLE_1)
	v_cmp_ne_u32_e32 vcc_lo, 0x7c000000, v2
                                        ; implicit-def: $vgpr2
	s_and_saveexec_b32 s41, vcc_lo
	s_xor_b32 s41, exec_lo, s41
	s_cbranch_execz .LBB6_834
; %bb.831:                              ;   in Loop: Header=BB6_130 Depth=2
	v_bfe_u32 v2, v11, 26, 5
	s_mov_b32 s42, exec_lo
	s_delay_alu instid0(VALU_DEP_1)
	v_cmpx_eq_u32_e32 0, v2
; %bb.832:                              ;   in Loop: Header=BB6_130 Depth=2
	v_clz_i32_u32_e32 v2, v3
	s_delay_alu instid0(VALU_DEP_1) | instskip(NEXT) | instid1(VALU_DEP_1)
	v_min_u32_e32 v2, 32, v2
	v_subrev_nc_u32_e32 v3, 29, v2
	s_delay_alu instid0(VALU_DEP_1) | instskip(NEXT) | instid1(VALU_DEP_1)
	v_lshlrev_b64_e32 v[4:5], v3, v[0:1]
	v_dual_sub_nc_u32 v2, 30, v2 :: v_dual_bitop2_b32 v3, 3, v4 bitop3:0x40
; %bb.833:                              ;   in Loop: Header=BB6_130 Depth=2
	s_or_b32 exec_lo, exec_lo, s42
	v_and_b32_e32 v0, 0x80000000, v11
	s_delay_alu instid0(VALU_DEP_1) | instskip(NEXT) | instid1(VALU_DEP_1)
	v_lshl_add_u32 v0, v2, 23, v0
	v_lshl_or_b32 v0, v3, 21, v0
                                        ; implicit-def: $vgpr3
	s_delay_alu instid0(VALU_DEP_1)
	v_add_nc_u32_e32 v2, 0x38000000, v0
.LBB6_834:                              ;   in Loop: Header=BB6_130 Depth=2
	s_and_not1_saveexec_b32 s41, s41
; %bb.835:                              ;   in Loop: Header=BB6_130 Depth=2
	v_cmp_lt_i64_e32 vcc_lo, -1, v[10:11]
	v_mov_b32_e32 v0, 0x7f800000
	s_delay_alu instid0(VALU_DEP_1) | instskip(SKIP_1) | instid1(VALU_DEP_2)
	v_cndmask_b32_e32 v0, 0xff800000, v0, vcc_lo
	v_cmp_eq_u32_e32 vcc_lo, 0, v3
	v_cndmask_b32_e32 v2, 0x7f800001, v0, vcc_lo
; %bb.836:                              ;   in Loop: Header=BB6_130 Depth=2
	s_or_b32 exec_lo, exec_lo, s41
.LBB6_837:                              ;   in Loop: Header=BB6_130 Depth=2
	s_delay_alu instid0(SALU_CYCLE_1)
	s_or_b32 exec_lo, exec_lo, s40
.LBB6_838:                              ;   in Loop: Header=BB6_130 Depth=2
	s_delay_alu instid0(SALU_CYCLE_1) | instskip(NEXT) | instid1(VALU_DEP_1)
	s_or_b32 exec_lo, exec_lo, s10
	v_dual_mul_f32 v2, s29, v2 :: v_dual_mov_b32 v5, v1
                                        ; implicit-def: $vgpr59
	s_mov_b32 s10, exec_lo
	s_delay_alu instid0(VALU_DEP_1) | instskip(SKIP_2) | instid1(VALU_DEP_3)
	v_and_b32_e32 v4, 0x7f800000, v2
	v_and_b32_e32 v0, 0x7fffff, v2
	v_lshrrev_b32_e32 v3, 24, v2
	v_cmpx_ne_u64_e32 0x7f800000, v[4:5]
	s_xor_b32 s40, exec_lo, s10
	s_cbranch_execz .LBB6_852
; %bb.839:                              ;   in Loop: Header=BB6_130 Depth=2
	v_and_b32_e32 v4, 0x7fffffff, v2
	v_mov_b32_e32 v5, v1
	v_and_b32_e32 v8, 0x80, v3
                                        ; implicit-def: $vgpr59
	s_mov_b32 s10, exec_lo
	s_delay_alu instid0(VALU_DEP_2)
	v_cmpx_gt_u64_e32 0x47600001, v[4:5]
	s_xor_b32 s41, exec_lo, s10
	s_cbranch_execz .LBB6_849
; %bb.840:                              ;   in Loop: Header=BB6_130 Depth=2
	v_mov_b32_e32 v59, 0
	s_mov_b32 s42, exec_lo
	v_cmpx_ne_u32_e32 0, v2
	s_cbranch_execz .LBB6_848
; %bb.841:                              ;   in Loop: Header=BB6_130 Depth=2
	v_bfe_u32 v10, v2, 23, 8
	v_or_b32_e32 v4, 0x800000, v0
	s_mov_b32 s43, exec_lo
	s_delay_alu instid0(VALU_DEP_2) | instskip(SKIP_1) | instid1(VALU_DEP_2)
	v_dual_mov_b32 v5, v1 :: v_dual_sub_nc_u32 v2, 0x71, v10
	v_cmp_gt_u32_e32 vcc_lo, 0x72, v10
	v_cndmask_b32_e32 v2, 0, v2, vcc_lo
	v_cmp_eq_u32_e32 vcc_lo, 0, v10
	s_delay_alu instid0(VALU_DEP_2) | instskip(NEXT) | instid1(VALU_DEP_1)
	v_cndmask_b32_e64 v11, v2, 0x70, vcc_lo
	v_dual_cndmask_b32 v4, v4, v0, vcc_lo :: v_dual_add_nc_u32 v2, 21, v11
	v_add_nc_u32_e32 v14, 20, v11
	s_delay_alu instid0(VALU_DEP_2) | instskip(NEXT) | instid1(VALU_DEP_2)
	v_lshlrev_b64_e64 v[2:3], v2, -1
	v_lshlrev_b64_e64 v[14:15], v14, 1
	s_delay_alu instid0(VALU_DEP_2) | instskip(NEXT) | instid1(VALU_DEP_3)
	v_bfi_b32 v17, v3, 0, 0
	v_bfi_b32 v16, v2, 0, v4
	v_lshrrev_b64 v[2:3], v11, v[4:5]
	s_delay_alu instid0(VALU_DEP_1) | instskip(NEXT) | instid1(VALU_DEP_3)
	v_mov_b64_e32 v[4:5], v[2:3]
	v_cmpx_eq_u64_e64 v[16:17], v[14:15]
; %bb.842:                              ;   in Loop: Header=BB6_130 Depth=2
	v_bfe_u32 v4, v2, 21, 1
	v_mov_b32_e32 v5, v1
	s_delay_alu instid0(VALU_DEP_1) | instskip(NEXT) | instid1(VALU_DEP_1)
	v_add_nc_u64_e32 v[4:5], v[2:3], v[4:5]
	v_add_nc_u64_e32 v[4:5], -1, v[4:5]
; %bb.843:                              ;   in Loop: Header=BB6_130 Depth=2
	s_or_b32 exec_lo, exec_lo, s43
	v_add_nc_u32_e32 v0, 0xffffff81, v10
	v_lshrrev_b32_e32 v3, 23, v2
	s_mov_b32 s10, exec_lo
	s_delay_alu instid0(VALU_DEP_2) | instskip(NEXT) | instid1(VALU_DEP_1)
	v_cndmask_b32_e64 v0, v0, 0xffffff82, vcc_lo
	v_add3_u32 v5, v11, v0, v3
	v_and_b32_e32 v0, 0x1fffff, v4
                                        ; implicit-def: $vgpr4
	s_delay_alu instid0(VALU_DEP_1) | instskip(NEXT) | instid1(VALU_DEP_1)
	v_dual_add_nc_u32 v10, 14, v5 :: v_dual_add_nc_u32 v0, v0, v2
                                        ; implicit-def: $vgpr2_vgpr3
	v_cmpx_ne_u32_e32 0, v10
	s_xor_b32 s10, exec_lo, s10
; %bb.844:                              ;   in Loop: Header=BB6_130 Depth=2
	s_delay_alu instid0(VALU_DEP_2) | instskip(SKIP_1) | instid1(VALU_DEP_1)
	v_cmp_lt_u64_e32 vcc_lo, 0xffffff, v[0:1]
	v_add_nc_u32_e32 v2, 15, v5
	v_cndmask_b32_e32 v4, v10, v2, vcc_lo
	v_cndmask_b32_e64 v2, 0, 1, vcc_lo
	s_delay_alu instid0(VALU_DEP_1)
	v_lshrrev_b64 v[2:3], v2, v[0:1]
; %bb.845:                              ;   in Loop: Header=BB6_130 Depth=2
	s_and_not1_saveexec_b32 s10, s10
; %bb.846:                              ;   in Loop: Header=BB6_130 Depth=2
	v_mov_b64_e32 v[2:3], v[0:1]
	v_bfe_u32 v4, v0, 23, 1
; %bb.847:                              ;   in Loop: Header=BB6_130 Depth=2
	s_or_b32 exec_lo, exec_lo, s10
	s_delay_alu instid0(VALU_DEP_2) | instskip(NEXT) | instid1(VALU_DEP_2)
	v_lshrrev_b64 v[2:3], 21, v[2:3]
	v_cmp_gt_i32_e32 vcc_lo, 32, v4
	v_min_i32_e32 v0, 31, v4
	v_cmp_eq_u32_e64 s10, 0, v4
	s_delay_alu instid0(VALU_DEP_2) | instskip(SKIP_1) | instid1(VALU_DEP_2)
	v_dual_cndmask_b32 v3, 0, v3 :: v_dual_lshlrev_b32 v0, 2, v0
	v_cndmask_b32_e32 v2, 3, v2, vcc_lo
	v_and_b32_e32 v0, 0xfc, v0
	s_delay_alu instid0(VALU_DEP_2) | instskip(NEXT) | instid1(VALU_DEP_2)
	v_cmp_eq_u64_e32 vcc_lo, 0, v[2:3]
	v_and_or_b32 v0, v2, 3, v0
	s_and_b32 s10, s10, vcc_lo
	s_delay_alu instid0(VALU_DEP_1) | instid1(SALU_CYCLE_1)
	v_cndmask_b32_e64 v0, v0, 0, s10
	s_delay_alu instid0(VALU_DEP_1)
	v_or_b32_e32 v59, v0, v8
.LBB6_848:                              ;   in Loop: Header=BB6_130 Depth=2
	s_or_b32 exec_lo, exec_lo, s42
                                        ; implicit-def: $vgpr8
.LBB6_849:                              ;   in Loop: Header=BB6_130 Depth=2
	s_and_not1_saveexec_b32 s10, s41
; %bb.850:                              ;   in Loop: Header=BB6_130 Depth=2
	v_or_b32_e32 v59, 0x7b, v8
; %bb.851:                              ;   in Loop: Header=BB6_130 Depth=2
	s_or_b32 exec_lo, exec_lo, s10
                                        ; implicit-def: $vgpr2
                                        ; implicit-def: $vgpr3
.LBB6_852:                              ;   in Loop: Header=BB6_130 Depth=2
	s_and_not1_saveexec_b32 s10, s40
	s_cbranch_execz .LBB6_858
; %bb.853:                              ;   in Loop: Header=BB6_130 Depth=2
	s_mov_b32 s40, exec_lo
                                        ; implicit-def: $vgpr59
	v_cmpx_ne_u64_e32 0, v[0:1]
	s_xor_b32 s40, exec_lo, s40
; %bb.854:                              ;   in Loop: Header=BB6_130 Depth=2
	v_or_b32_e32 v59, 0x7f, v3
                                        ; implicit-def: $vgpr2
; %bb.855:                              ;   in Loop: Header=BB6_130 Depth=2
	s_and_not1_saveexec_b32 s40, s40
; %bb.856:                              ;   in Loop: Header=BB6_130 Depth=2
	v_cmp_lt_i32_e32 vcc_lo, -1, v2
	v_mov_b32_e32 v0, 0x7c
	s_delay_alu instid0(VALU_DEP_1)
	v_cndmask_b32_e32 v59, 0xfc, v0, vcc_lo
; %bb.857:                              ;   in Loop: Header=BB6_130 Depth=2
	s_or_b32 exec_lo, exec_lo, s40
.LBB6_858:                              ;   in Loop: Header=BB6_130 Depth=2
	s_delay_alu instid0(SALU_CYCLE_1) | instskip(SKIP_1) | instid1(VALU_DEP_1)
	s_or_b32 exec_lo, exec_lo, s10
	v_and_b32_e32 v0, 0xff, v12
	v_cmp_ne_u16_e32 vcc_lo, 0, v0
	v_mov_b32_e32 v0, 0
	s_and_saveexec_b32 s10, vcc_lo
	s_cbranch_execz .LBB6_868
; %bb.859:                              ;   in Loop: Header=BB6_130 Depth=2
	v_bfe_i32 v3, v12, 0, 8
	v_bfrev_b32_e32 v0, 1
	s_mov_b32 s40, exec_lo
	s_delay_alu instid0(VALU_DEP_2)
	v_cmpx_ne_u16_e32 0xff80, v3
	s_cbranch_execz .LBB6_867
; %bb.860:                              ;   in Loop: Header=BB6_130 Depth=2
	v_and_b32_e32 v0, 0x7c, v12
	v_and_b32_e32 v2, 3, v12
	s_delay_alu instid0(VALU_DEP_2) | instskip(SKIP_1) | instid1(SALU_CYCLE_1)
	v_cmp_ne_u32_e32 vcc_lo, 0x7c, v0
                                        ; implicit-def: $vgpr0
	s_and_saveexec_b32 s41, vcc_lo
	s_xor_b32 s41, exec_lo, s41
	s_cbranch_execz .LBB6_864
; %bb.861:                              ;   in Loop: Header=BB6_130 Depth=2
	v_bfe_u32 v0, v12, 2, 5
	s_mov_b32 s42, exec_lo
	s_delay_alu instid0(VALU_DEP_1)
	v_cmpx_eq_u32_e32 0, v0
; %bb.862:                              ;   in Loop: Header=BB6_130 Depth=2
	v_clz_i32_u32_e32 v0, v2
	s_delay_alu instid0(VALU_DEP_1) | instskip(NEXT) | instid1(VALU_DEP_1)
	v_min_u32_e32 v0, 32, v0
	v_subrev_nc_u32_e32 v2, 29, v0
	s_delay_alu instid0(VALU_DEP_1) | instskip(NEXT) | instid1(VALU_DEP_1)
	v_lshlrev_b64_e32 v[2:3], v2, v[12:13]
	v_dual_sub_nc_u32 v0, 30, v0 :: v_dual_bitop2_b32 v2, 3, v2 bitop3:0x40
; %bb.863:                              ;   in Loop: Header=BB6_130 Depth=2
	s_or_b32 exec_lo, exec_lo, s42
	v_lshlrev_b32_e32 v3, 24, v12
	s_delay_alu instid0(VALU_DEP_1) | instskip(NEXT) | instid1(VALU_DEP_1)
	v_and_b32_e32 v3, 0x80000000, v3
	v_lshl_add_u32 v0, v0, 23, v3
                                        ; implicit-def: $vgpr3
	s_delay_alu instid0(VALU_DEP_1) | instskip(NEXT) | instid1(VALU_DEP_1)
	v_lshl_or_b32 v0, v2, 21, v0
                                        ; implicit-def: $vgpr2
	v_add_nc_u32_e32 v0, 0x38000000, v0
.LBB6_864:                              ;   in Loop: Header=BB6_130 Depth=2
	s_and_not1_saveexec_b32 s41, s41
; %bb.865:                              ;   in Loop: Header=BB6_130 Depth=2
	v_cmp_lt_i16_e32 vcc_lo, -1, v3
	v_mov_b32_e32 v0, 0x7f800000
	s_delay_alu instid0(VALU_DEP_1) | instskip(SKIP_1) | instid1(VALU_DEP_2)
	v_cndmask_b32_e32 v0, 0xff800000, v0, vcc_lo
	v_cmp_eq_u32_e32 vcc_lo, 0, v2
	v_cndmask_b32_e32 v0, 0x7f800001, v0, vcc_lo
; %bb.866:                              ;   in Loop: Header=BB6_130 Depth=2
	s_or_b32 exec_lo, exec_lo, s41
.LBB6_867:                              ;   in Loop: Header=BB6_130 Depth=2
	s_delay_alu instid0(SALU_CYCLE_1)
	s_or_b32 exec_lo, exec_lo, s40
.LBB6_868:                              ;   in Loop: Header=BB6_130 Depth=2
	s_delay_alu instid0(SALU_CYCLE_1) | instskip(NEXT) | instid1(VALU_DEP_1)
	s_or_b32 exec_lo, exec_lo, s10
	v_dual_mul_f32 v2, s29, v0 :: v_dual_mov_b32 v5, v1
                                        ; implicit-def: $vgpr116
	s_mov_b32 s10, exec_lo
	s_delay_alu instid0(VALU_DEP_1) | instskip(SKIP_2) | instid1(VALU_DEP_3)
	v_and_b32_e32 v4, 0x7f800000, v2
	v_and_b32_e32 v0, 0x7fffff, v2
	v_lshrrev_b32_e32 v3, 24, v2
	v_cmpx_ne_u64_e32 0x7f800000, v[4:5]
	s_xor_b32 s40, exec_lo, s10
	s_cbranch_execz .LBB6_882
; %bb.869:                              ;   in Loop: Header=BB6_130 Depth=2
	v_and_b32_e32 v4, 0x7fffffff, v2
	v_mov_b32_e32 v5, v1
	v_and_b32_e32 v8, 0x80, v3
                                        ; implicit-def: $vgpr116
	s_mov_b32 s10, exec_lo
	s_delay_alu instid0(VALU_DEP_2)
	v_cmpx_gt_u64_e32 0x47600001, v[4:5]
	s_xor_b32 s41, exec_lo, s10
	s_cbranch_execz .LBB6_879
; %bb.870:                              ;   in Loop: Header=BB6_130 Depth=2
	v_mov_b32_e32 v116, 0
	s_mov_b32 s42, exec_lo
	v_cmpx_ne_u32_e32 0, v2
	s_cbranch_execz .LBB6_878
; %bb.871:                              ;   in Loop: Header=BB6_130 Depth=2
	v_bfe_u32 v10, v2, 23, 8
	v_or_b32_e32 v4, 0x800000, v0
	s_mov_b32 s43, exec_lo
	s_delay_alu instid0(VALU_DEP_2) | instskip(SKIP_1) | instid1(VALU_DEP_2)
	v_dual_mov_b32 v5, v1 :: v_dual_sub_nc_u32 v2, 0x71, v10
	v_cmp_gt_u32_e32 vcc_lo, 0x72, v10
	v_cndmask_b32_e32 v2, 0, v2, vcc_lo
	v_cmp_eq_u32_e32 vcc_lo, 0, v10
	s_delay_alu instid0(VALU_DEP_2) | instskip(NEXT) | instid1(VALU_DEP_1)
	v_cndmask_b32_e64 v11, v2, 0x70, vcc_lo
	v_dual_cndmask_b32 v4, v4, v0, vcc_lo :: v_dual_add_nc_u32 v2, 21, v11
	v_add_nc_u32_e32 v14, 20, v11
	s_delay_alu instid0(VALU_DEP_2) | instskip(NEXT) | instid1(VALU_DEP_2)
	v_lshlrev_b64_e64 v[2:3], v2, -1
	v_lshlrev_b64_e64 v[14:15], v14, 1
	s_delay_alu instid0(VALU_DEP_2) | instskip(NEXT) | instid1(VALU_DEP_3)
	v_bfi_b32 v17, v3, 0, 0
	v_bfi_b32 v16, v2, 0, v4
	v_lshrrev_b64 v[2:3], v11, v[4:5]
	s_delay_alu instid0(VALU_DEP_1) | instskip(NEXT) | instid1(VALU_DEP_3)
	v_mov_b64_e32 v[4:5], v[2:3]
	v_cmpx_eq_u64_e64 v[16:17], v[14:15]
; %bb.872:                              ;   in Loop: Header=BB6_130 Depth=2
	v_bfe_u32 v4, v2, 21, 1
	v_mov_b32_e32 v5, v1
	s_delay_alu instid0(VALU_DEP_1) | instskip(NEXT) | instid1(VALU_DEP_1)
	v_add_nc_u64_e32 v[4:5], v[2:3], v[4:5]
	v_add_nc_u64_e32 v[4:5], -1, v[4:5]
; %bb.873:                              ;   in Loop: Header=BB6_130 Depth=2
	s_or_b32 exec_lo, exec_lo, s43
	v_add_nc_u32_e32 v0, 0xffffff81, v10
	v_lshrrev_b32_e32 v3, 23, v2
	s_mov_b32 s10, exec_lo
	s_delay_alu instid0(VALU_DEP_2) | instskip(NEXT) | instid1(VALU_DEP_1)
	v_cndmask_b32_e64 v0, v0, 0xffffff82, vcc_lo
	v_add3_u32 v5, v11, v0, v3
	v_and_b32_e32 v0, 0x1fffff, v4
                                        ; implicit-def: $vgpr4
	s_delay_alu instid0(VALU_DEP_1) | instskip(NEXT) | instid1(VALU_DEP_1)
	v_dual_add_nc_u32 v10, 14, v5 :: v_dual_add_nc_u32 v0, v0, v2
                                        ; implicit-def: $vgpr2_vgpr3
	v_cmpx_ne_u32_e32 0, v10
	s_xor_b32 s10, exec_lo, s10
; %bb.874:                              ;   in Loop: Header=BB6_130 Depth=2
	s_delay_alu instid0(VALU_DEP_2) | instskip(SKIP_1) | instid1(VALU_DEP_1)
	v_cmp_lt_u64_e32 vcc_lo, 0xffffff, v[0:1]
	v_add_nc_u32_e32 v2, 15, v5
	v_cndmask_b32_e32 v4, v10, v2, vcc_lo
	v_cndmask_b32_e64 v2, 0, 1, vcc_lo
	s_delay_alu instid0(VALU_DEP_1)
	v_lshrrev_b64 v[2:3], v2, v[0:1]
; %bb.875:                              ;   in Loop: Header=BB6_130 Depth=2
	s_and_not1_saveexec_b32 s10, s10
; %bb.876:                              ;   in Loop: Header=BB6_130 Depth=2
	v_mov_b64_e32 v[2:3], v[0:1]
	v_bfe_u32 v4, v0, 23, 1
; %bb.877:                              ;   in Loop: Header=BB6_130 Depth=2
	s_or_b32 exec_lo, exec_lo, s10
	s_delay_alu instid0(VALU_DEP_2) | instskip(NEXT) | instid1(VALU_DEP_2)
	v_lshrrev_b64 v[2:3], 21, v[2:3]
	v_cmp_gt_i32_e32 vcc_lo, 32, v4
	v_min_i32_e32 v0, 31, v4
	v_cmp_eq_u32_e64 s10, 0, v4
	s_delay_alu instid0(VALU_DEP_2) | instskip(SKIP_1) | instid1(VALU_DEP_2)
	v_dual_cndmask_b32 v3, 0, v3 :: v_dual_lshlrev_b32 v0, 2, v0
	v_cndmask_b32_e32 v2, 3, v2, vcc_lo
	v_and_b32_e32 v0, 0xfc, v0
	s_delay_alu instid0(VALU_DEP_2) | instskip(NEXT) | instid1(VALU_DEP_2)
	v_cmp_eq_u64_e32 vcc_lo, 0, v[2:3]
	v_and_or_b32 v0, v2, 3, v0
	s_and_b32 s10, s10, vcc_lo
	s_delay_alu instid0(VALU_DEP_1) | instid1(SALU_CYCLE_1)
	v_cndmask_b32_e64 v0, v0, 0, s10
	s_delay_alu instid0(VALU_DEP_1)
	v_or_b32_e32 v116, v0, v8
.LBB6_878:                              ;   in Loop: Header=BB6_130 Depth=2
	s_or_b32 exec_lo, exec_lo, s42
                                        ; implicit-def: $vgpr8
.LBB6_879:                              ;   in Loop: Header=BB6_130 Depth=2
	s_and_not1_saveexec_b32 s10, s41
; %bb.880:                              ;   in Loop: Header=BB6_130 Depth=2
	v_or_b32_e32 v116, 0x7b, v8
; %bb.881:                              ;   in Loop: Header=BB6_130 Depth=2
	s_or_b32 exec_lo, exec_lo, s10
                                        ; implicit-def: $vgpr2
                                        ; implicit-def: $vgpr3
.LBB6_882:                              ;   in Loop: Header=BB6_130 Depth=2
	s_and_not1_saveexec_b32 s10, s40
	s_cbranch_execz .LBB6_888
; %bb.883:                              ;   in Loop: Header=BB6_130 Depth=2
	s_mov_b32 s40, exec_lo
                                        ; implicit-def: $vgpr116
	v_cmpx_ne_u64_e32 0, v[0:1]
	s_xor_b32 s40, exec_lo, s40
; %bb.884:                              ;   in Loop: Header=BB6_130 Depth=2
	v_or_b32_e32 v116, 0x7f, v3
                                        ; implicit-def: $vgpr2
; %bb.885:                              ;   in Loop: Header=BB6_130 Depth=2
	s_and_not1_saveexec_b32 s40, s40
; %bb.886:                              ;   in Loop: Header=BB6_130 Depth=2
	v_cmp_lt_i32_e32 vcc_lo, -1, v2
	v_mov_b32_e32 v0, 0x7c
	s_delay_alu instid0(VALU_DEP_1)
	v_cndmask_b32_e32 v116, 0xfc, v0, vcc_lo
; %bb.887:                              ;   in Loop: Header=BB6_130 Depth=2
	s_or_b32 exec_lo, exec_lo, s40
.LBB6_888:                              ;   in Loop: Header=BB6_130 Depth=2
	s_delay_alu instid0(SALU_CYCLE_1) | instskip(SKIP_3) | instid1(VALU_DEP_2)
	s_or_b32 exec_lo, exec_lo, s10
	v_lshrrev_b16 v2, 8, v12
	v_mov_b32_e32 v3, 0
	s_mov_b32 s10, exec_lo
	v_cmpx_ne_u16_e32 0, v2
	s_cbranch_execz .LBB6_898
; %bb.889:                              ;   in Loop: Header=BB6_130 Depth=2
	v_bfrev_b32_e32 v3, 1
	s_mov_b32 s40, exec_lo
	v_cmpx_ne_u16_e32 0x80, v2
	s_cbranch_execz .LBB6_897
; %bb.890:                              ;   in Loop: Header=BB6_130 Depth=2
	v_and_b32_e32 v4, 0xffff, v2
	s_delay_alu instid0(VALU_DEP_1) | instskip(SKIP_1) | instid1(VALU_DEP_2)
	v_and_b32_e32 v3, 0x7c, v4
	v_and_b32_e32 v0, 3, v4
	v_cmp_ne_u32_e32 vcc_lo, 0x7c, v3
                                        ; implicit-def: $vgpr3
	s_and_saveexec_b32 s41, vcc_lo
	s_delay_alu instid0(SALU_CYCLE_1)
	s_xor_b32 s41, exec_lo, s41
	s_cbranch_execz .LBB6_894
; %bb.891:                              ;   in Loop: Header=BB6_130 Depth=2
	v_bfe_u32 v3, v4, 2, 5
	s_mov_b32 s42, exec_lo
	s_delay_alu instid0(VALU_DEP_1)
	v_cmpx_eq_u32_e32 0, v3
; %bb.892:                              ;   in Loop: Header=BB6_130 Depth=2
	v_clz_i32_u32_e32 v0, v0
	v_mov_b32_e32 v3, v1
	s_delay_alu instid0(VALU_DEP_2) | instskip(NEXT) | instid1(VALU_DEP_1)
	v_min_u32_e32 v0, 32, v0
	v_subrev_nc_u32_e32 v4, 29, v0
	s_delay_alu instid0(VALU_DEP_1) | instskip(NEXT) | instid1(VALU_DEP_1)
	v_lshlrev_b64_e32 v[2:3], v4, v[2:3]
	v_dual_sub_nc_u32 v3, 30, v0 :: v_dual_bitop2_b32 v0, 3, v2 bitop3:0x40
; %bb.893:                              ;   in Loop: Header=BB6_130 Depth=2
	s_or_b32 exec_lo, exec_lo, s42
	v_lshlrev_b32_e32 v2, 16, v12
	s_delay_alu instid0(VALU_DEP_1) | instskip(NEXT) | instid1(VALU_DEP_1)
	v_and_b32_e32 v2, 0x80000000, v2
	v_lshl_add_u32 v2, v3, 23, v2
	s_delay_alu instid0(VALU_DEP_1) | instskip(NEXT) | instid1(VALU_DEP_1)
	v_lshl_or_b32 v0, v0, 21, v2
	v_add_nc_u32_e32 v3, 0x38000000, v0
                                        ; implicit-def: $vgpr0
.LBB6_894:                              ;   in Loop: Header=BB6_130 Depth=2
	s_and_not1_saveexec_b32 s41, s41
; %bb.895:                              ;   in Loop: Header=BB6_130 Depth=2
	v_cmp_lt_i16_e32 vcc_lo, -1, v12
	v_mov_b32_e32 v2, 0x7f800000
	s_delay_alu instid0(VALU_DEP_1) | instskip(SKIP_1) | instid1(VALU_DEP_2)
	v_cndmask_b32_e32 v2, 0xff800000, v2, vcc_lo
	v_cmp_eq_u32_e32 vcc_lo, 0, v0
	v_cndmask_b32_e32 v3, 0x7f800001, v2, vcc_lo
; %bb.896:                              ;   in Loop: Header=BB6_130 Depth=2
	s_or_b32 exec_lo, exec_lo, s41
.LBB6_897:                              ;   in Loop: Header=BB6_130 Depth=2
	s_delay_alu instid0(SALU_CYCLE_1)
	s_or_b32 exec_lo, exec_lo, s40
.LBB6_898:                              ;   in Loop: Header=BB6_130 Depth=2
	s_delay_alu instid0(SALU_CYCLE_1) | instskip(NEXT) | instid1(VALU_DEP_1)
	s_or_b32 exec_lo, exec_lo, s10
	v_dual_mul_f32 v2, s29, v3 :: v_dual_mov_b32 v5, v1
                                        ; implicit-def: $vgpr119
	s_mov_b32 s10, exec_lo
	s_delay_alu instid0(VALU_DEP_1) | instskip(SKIP_2) | instid1(VALU_DEP_3)
	v_and_b32_e32 v4, 0x7f800000, v2
	v_and_b32_e32 v0, 0x7fffff, v2
	v_lshrrev_b32_e32 v3, 24, v2
	v_cmpx_ne_u64_e32 0x7f800000, v[4:5]
	s_xor_b32 s40, exec_lo, s10
	s_cbranch_execz .LBB6_912
; %bb.899:                              ;   in Loop: Header=BB6_130 Depth=2
	v_and_b32_e32 v4, 0x7fffffff, v2
	v_mov_b32_e32 v5, v1
	v_and_b32_e32 v8, 0x80, v3
                                        ; implicit-def: $vgpr119
	s_mov_b32 s10, exec_lo
	s_delay_alu instid0(VALU_DEP_2)
	v_cmpx_gt_u64_e32 0x47600001, v[4:5]
	s_xor_b32 s41, exec_lo, s10
	s_cbranch_execz .LBB6_909
; %bb.900:                              ;   in Loop: Header=BB6_130 Depth=2
	v_mov_b32_e32 v119, 0
	s_mov_b32 s42, exec_lo
	v_cmpx_ne_u32_e32 0, v2
	s_cbranch_execz .LBB6_908
; %bb.901:                              ;   in Loop: Header=BB6_130 Depth=2
	v_bfe_u32 v10, v2, 23, 8
	v_or_b32_e32 v4, 0x800000, v0
	s_mov_b32 s43, exec_lo
	s_delay_alu instid0(VALU_DEP_2) | instskip(SKIP_1) | instid1(VALU_DEP_2)
	v_dual_mov_b32 v5, v1 :: v_dual_sub_nc_u32 v2, 0x71, v10
	v_cmp_gt_u32_e32 vcc_lo, 0x72, v10
	v_cndmask_b32_e32 v2, 0, v2, vcc_lo
	v_cmp_eq_u32_e32 vcc_lo, 0, v10
	s_delay_alu instid0(VALU_DEP_2) | instskip(NEXT) | instid1(VALU_DEP_1)
	v_cndmask_b32_e64 v11, v2, 0x70, vcc_lo
	v_dual_cndmask_b32 v4, v4, v0, vcc_lo :: v_dual_add_nc_u32 v2, 21, v11
	v_add_nc_u32_e32 v14, 20, v11
	s_delay_alu instid0(VALU_DEP_2) | instskip(NEXT) | instid1(VALU_DEP_2)
	v_lshlrev_b64_e64 v[2:3], v2, -1
	v_lshlrev_b64_e64 v[14:15], v14, 1
	s_delay_alu instid0(VALU_DEP_2) | instskip(NEXT) | instid1(VALU_DEP_3)
	v_bfi_b32 v17, v3, 0, 0
	v_bfi_b32 v16, v2, 0, v4
	v_lshrrev_b64 v[2:3], v11, v[4:5]
	s_delay_alu instid0(VALU_DEP_1) | instskip(NEXT) | instid1(VALU_DEP_3)
	v_mov_b64_e32 v[4:5], v[2:3]
	v_cmpx_eq_u64_e64 v[16:17], v[14:15]
; %bb.902:                              ;   in Loop: Header=BB6_130 Depth=2
	v_bfe_u32 v4, v2, 21, 1
	v_mov_b32_e32 v5, v1
	s_delay_alu instid0(VALU_DEP_1) | instskip(NEXT) | instid1(VALU_DEP_1)
	v_add_nc_u64_e32 v[4:5], v[2:3], v[4:5]
	v_add_nc_u64_e32 v[4:5], -1, v[4:5]
; %bb.903:                              ;   in Loop: Header=BB6_130 Depth=2
	s_or_b32 exec_lo, exec_lo, s43
	v_add_nc_u32_e32 v0, 0xffffff81, v10
	v_lshrrev_b32_e32 v3, 23, v2
	s_mov_b32 s10, exec_lo
	s_delay_alu instid0(VALU_DEP_2) | instskip(NEXT) | instid1(VALU_DEP_1)
	v_cndmask_b32_e64 v0, v0, 0xffffff82, vcc_lo
	v_add3_u32 v5, v11, v0, v3
	v_and_b32_e32 v0, 0x1fffff, v4
                                        ; implicit-def: $vgpr4
	s_delay_alu instid0(VALU_DEP_1) | instskip(NEXT) | instid1(VALU_DEP_1)
	v_dual_add_nc_u32 v10, 14, v5 :: v_dual_add_nc_u32 v0, v0, v2
                                        ; implicit-def: $vgpr2_vgpr3
	v_cmpx_ne_u32_e32 0, v10
	s_xor_b32 s10, exec_lo, s10
; %bb.904:                              ;   in Loop: Header=BB6_130 Depth=2
	s_delay_alu instid0(VALU_DEP_2) | instskip(SKIP_1) | instid1(VALU_DEP_1)
	v_cmp_lt_u64_e32 vcc_lo, 0xffffff, v[0:1]
	v_add_nc_u32_e32 v2, 15, v5
	v_cndmask_b32_e32 v4, v10, v2, vcc_lo
	v_cndmask_b32_e64 v2, 0, 1, vcc_lo
	s_delay_alu instid0(VALU_DEP_1)
	v_lshrrev_b64 v[2:3], v2, v[0:1]
; %bb.905:                              ;   in Loop: Header=BB6_130 Depth=2
	s_and_not1_saveexec_b32 s10, s10
; %bb.906:                              ;   in Loop: Header=BB6_130 Depth=2
	v_mov_b64_e32 v[2:3], v[0:1]
	v_bfe_u32 v4, v0, 23, 1
; %bb.907:                              ;   in Loop: Header=BB6_130 Depth=2
	s_or_b32 exec_lo, exec_lo, s10
	s_delay_alu instid0(VALU_DEP_2) | instskip(NEXT) | instid1(VALU_DEP_2)
	v_lshrrev_b64 v[2:3], 21, v[2:3]
	v_cmp_gt_i32_e32 vcc_lo, 32, v4
	v_min_i32_e32 v0, 31, v4
	v_cmp_eq_u32_e64 s10, 0, v4
	s_delay_alu instid0(VALU_DEP_2) | instskip(SKIP_1) | instid1(VALU_DEP_2)
	v_dual_cndmask_b32 v3, 0, v3 :: v_dual_lshlrev_b32 v0, 2, v0
	v_cndmask_b32_e32 v2, 3, v2, vcc_lo
	v_and_b32_e32 v0, 0xfc, v0
	s_delay_alu instid0(VALU_DEP_2) | instskip(NEXT) | instid1(VALU_DEP_2)
	v_cmp_eq_u64_e32 vcc_lo, 0, v[2:3]
	v_and_or_b32 v0, v2, 3, v0
	s_and_b32 s10, s10, vcc_lo
	s_delay_alu instid0(VALU_DEP_1) | instid1(SALU_CYCLE_1)
	v_cndmask_b32_e64 v0, v0, 0, s10
	s_delay_alu instid0(VALU_DEP_1)
	v_or_b32_e32 v119, v0, v8
.LBB6_908:                              ;   in Loop: Header=BB6_130 Depth=2
	s_or_b32 exec_lo, exec_lo, s42
                                        ; implicit-def: $vgpr8
.LBB6_909:                              ;   in Loop: Header=BB6_130 Depth=2
	s_and_not1_saveexec_b32 s10, s41
; %bb.910:                              ;   in Loop: Header=BB6_130 Depth=2
	v_or_b32_e32 v119, 0x7b, v8
; %bb.911:                              ;   in Loop: Header=BB6_130 Depth=2
	s_or_b32 exec_lo, exec_lo, s10
                                        ; implicit-def: $vgpr2
                                        ; implicit-def: $vgpr3
.LBB6_912:                              ;   in Loop: Header=BB6_130 Depth=2
	s_and_not1_saveexec_b32 s10, s40
	s_cbranch_execz .LBB6_918
; %bb.913:                              ;   in Loop: Header=BB6_130 Depth=2
	s_mov_b32 s40, exec_lo
                                        ; implicit-def: $vgpr119
	v_cmpx_ne_u64_e32 0, v[0:1]
	s_xor_b32 s40, exec_lo, s40
; %bb.914:                              ;   in Loop: Header=BB6_130 Depth=2
	v_or_b32_e32 v119, 0x7f, v3
                                        ; implicit-def: $vgpr2
; %bb.915:                              ;   in Loop: Header=BB6_130 Depth=2
	s_and_not1_saveexec_b32 s40, s40
; %bb.916:                              ;   in Loop: Header=BB6_130 Depth=2
	v_cmp_lt_i32_e32 vcc_lo, -1, v2
	v_mov_b32_e32 v0, 0x7c
	s_delay_alu instid0(VALU_DEP_1)
	v_cndmask_b32_e32 v119, 0xfc, v0, vcc_lo
; %bb.917:                              ;   in Loop: Header=BB6_130 Depth=2
	s_or_b32 exec_lo, exec_lo, s40
.LBB6_918:                              ;   in Loop: Header=BB6_130 Depth=2
	s_delay_alu instid0(SALU_CYCLE_1) | instskip(SKIP_2) | instid1(VALU_DEP_1)
	s_or_b32 exec_lo, exec_lo, s10
	v_dual_mov_b32 v3, 0 :: v_dual_lshrrev_b32 v0, 16, v12
	s_mov_b32 s10, exec_lo
	v_and_b32_e32 v2, 0xff, v0
	s_delay_alu instid0(VALU_DEP_1)
	v_cmpx_ne_u16_e32 0, v2
	s_cbranch_execz .LBB6_928
; %bb.919:                              ;   in Loop: Header=BB6_130 Depth=2
	v_bfrev_b32_e32 v3, 1
	s_mov_b32 s40, exec_lo
	v_cmpx_ne_u16_e32 0x80, v2
	s_cbranch_execz .LBB6_927
; %bb.920:                              ;   in Loop: Header=BB6_130 Depth=2
	v_and_b32_e32 v3, 0x7c0000, v12
	v_bfe_u32 v2, v12, 16, 2
	s_delay_alu instid0(VALU_DEP_2) | instskip(SKIP_1) | instid1(SALU_CYCLE_1)
	v_cmp_ne_u32_e32 vcc_lo, 0x7c0000, v3
                                        ; implicit-def: $vgpr3
	s_and_saveexec_b32 s41, vcc_lo
	s_xor_b32 s41, exec_lo, s41
	s_cbranch_execz .LBB6_924
; %bb.921:                              ;   in Loop: Header=BB6_130 Depth=2
	v_bfe_u32 v3, v12, 18, 5
	s_mov_b32 s42, exec_lo
	s_delay_alu instid0(VALU_DEP_1)
	v_cmpx_eq_u32_e32 0, v3
; %bb.922:                              ;   in Loop: Header=BB6_130 Depth=2
	v_clz_i32_u32_e32 v2, v2
	s_delay_alu instid0(VALU_DEP_1) | instskip(NEXT) | instid1(VALU_DEP_1)
	v_min_u32_e32 v4, 32, v2
	v_subrev_nc_u32_e32 v2, 29, v4
	s_delay_alu instid0(VALU_DEP_1) | instskip(NEXT) | instid1(VALU_DEP_1)
	v_lshlrev_b64_e32 v[2:3], v2, v[0:1]
	v_dual_sub_nc_u32 v3, 30, v4 :: v_dual_bitop2_b32 v2, 3, v2 bitop3:0x40
; %bb.923:                              ;   in Loop: Header=BB6_130 Depth=2
	s_or_b32 exec_lo, exec_lo, s42
	v_lshlrev_b32_e32 v0, 24, v0
	s_delay_alu instid0(VALU_DEP_1) | instskip(NEXT) | instid1(VALU_DEP_1)
	v_and_b32_e32 v0, 0x80000000, v0
	v_lshl_add_u32 v0, v3, 23, v0
	s_delay_alu instid0(VALU_DEP_1) | instskip(NEXT) | instid1(VALU_DEP_1)
	v_lshl_or_b32 v0, v2, 21, v0
                                        ; implicit-def: $vgpr2
	v_add_nc_u32_e32 v3, 0x38000000, v0
                                        ; implicit-def: $vgpr0
.LBB6_924:                              ;   in Loop: Header=BB6_130 Depth=2
	s_and_not1_saveexec_b32 s41, s41
; %bb.925:                              ;   in Loop: Header=BB6_130 Depth=2
	v_bfe_i32 v0, v0, 0, 8
	s_delay_alu instid0(VALU_DEP_1) | instskip(SKIP_1) | instid1(VALU_DEP_1)
	v_cmp_lt_i16_e32 vcc_lo, -1, v0
	v_mov_b32_e32 v0, 0x7f800000
	v_cndmask_b32_e32 v0, 0xff800000, v0, vcc_lo
	v_cmp_eq_u32_e32 vcc_lo, 0, v2
	s_delay_alu instid0(VALU_DEP_2)
	v_cndmask_b32_e32 v3, 0x7f800001, v0, vcc_lo
; %bb.926:                              ;   in Loop: Header=BB6_130 Depth=2
	s_or_b32 exec_lo, exec_lo, s41
.LBB6_927:                              ;   in Loop: Header=BB6_130 Depth=2
	s_delay_alu instid0(SALU_CYCLE_1)
	s_or_b32 exec_lo, exec_lo, s40
.LBB6_928:                              ;   in Loop: Header=BB6_130 Depth=2
	s_delay_alu instid0(SALU_CYCLE_1) | instskip(NEXT) | instid1(VALU_DEP_1)
	s_or_b32 exec_lo, exec_lo, s10
	v_dual_mul_f32 v2, s29, v3 :: v_dual_mov_b32 v5, v1
                                        ; implicit-def: $vgpr43
	s_mov_b32 s10, exec_lo
	s_delay_alu instid0(VALU_DEP_1) | instskip(SKIP_2) | instid1(VALU_DEP_3)
	v_and_b32_e32 v4, 0x7f800000, v2
	v_and_b32_e32 v0, 0x7fffff, v2
	v_lshrrev_b32_e32 v3, 24, v2
	v_cmpx_ne_u64_e32 0x7f800000, v[4:5]
	s_xor_b32 s40, exec_lo, s10
	s_cbranch_execz .LBB6_942
; %bb.929:                              ;   in Loop: Header=BB6_130 Depth=2
	v_and_b32_e32 v4, 0x7fffffff, v2
	v_mov_b32_e32 v5, v1
	v_and_b32_e32 v8, 0x80, v3
                                        ; implicit-def: $vgpr43
	s_mov_b32 s10, exec_lo
	s_delay_alu instid0(VALU_DEP_2)
	v_cmpx_gt_u64_e32 0x47600001, v[4:5]
	s_xor_b32 s41, exec_lo, s10
	s_cbranch_execz .LBB6_939
; %bb.930:                              ;   in Loop: Header=BB6_130 Depth=2
	v_mov_b32_e32 v43, 0
	s_mov_b32 s42, exec_lo
	v_cmpx_ne_u32_e32 0, v2
	s_cbranch_execz .LBB6_938
; %bb.931:                              ;   in Loop: Header=BB6_130 Depth=2
	v_bfe_u32 v10, v2, 23, 8
	v_or_b32_e32 v4, 0x800000, v0
	s_mov_b32 s43, exec_lo
	s_delay_alu instid0(VALU_DEP_2) | instskip(SKIP_1) | instid1(VALU_DEP_2)
	v_dual_mov_b32 v5, v1 :: v_dual_sub_nc_u32 v2, 0x71, v10
	v_cmp_gt_u32_e32 vcc_lo, 0x72, v10
	v_cndmask_b32_e32 v2, 0, v2, vcc_lo
	v_cmp_eq_u32_e32 vcc_lo, 0, v10
	s_delay_alu instid0(VALU_DEP_2) | instskip(NEXT) | instid1(VALU_DEP_1)
	v_cndmask_b32_e64 v11, v2, 0x70, vcc_lo
	v_dual_cndmask_b32 v4, v4, v0, vcc_lo :: v_dual_add_nc_u32 v2, 21, v11
	v_add_nc_u32_e32 v14, 20, v11
	s_delay_alu instid0(VALU_DEP_2) | instskip(NEXT) | instid1(VALU_DEP_2)
	v_lshlrev_b64_e64 v[2:3], v2, -1
	v_lshlrev_b64_e64 v[14:15], v14, 1
	s_delay_alu instid0(VALU_DEP_2) | instskip(NEXT) | instid1(VALU_DEP_3)
	v_bfi_b32 v17, v3, 0, 0
	v_bfi_b32 v16, v2, 0, v4
	v_lshrrev_b64 v[2:3], v11, v[4:5]
	s_delay_alu instid0(VALU_DEP_1) | instskip(NEXT) | instid1(VALU_DEP_3)
	v_mov_b64_e32 v[4:5], v[2:3]
	v_cmpx_eq_u64_e64 v[16:17], v[14:15]
; %bb.932:                              ;   in Loop: Header=BB6_130 Depth=2
	v_bfe_u32 v4, v2, 21, 1
	v_mov_b32_e32 v5, v1
	s_delay_alu instid0(VALU_DEP_1) | instskip(NEXT) | instid1(VALU_DEP_1)
	v_add_nc_u64_e32 v[4:5], v[2:3], v[4:5]
	v_add_nc_u64_e32 v[4:5], -1, v[4:5]
; %bb.933:                              ;   in Loop: Header=BB6_130 Depth=2
	s_or_b32 exec_lo, exec_lo, s43
	v_add_nc_u32_e32 v0, 0xffffff81, v10
	v_lshrrev_b32_e32 v3, 23, v2
	s_mov_b32 s10, exec_lo
	s_delay_alu instid0(VALU_DEP_2) | instskip(NEXT) | instid1(VALU_DEP_1)
	v_cndmask_b32_e64 v0, v0, 0xffffff82, vcc_lo
	v_add3_u32 v5, v11, v0, v3
	v_and_b32_e32 v0, 0x1fffff, v4
                                        ; implicit-def: $vgpr4
	s_delay_alu instid0(VALU_DEP_1) | instskip(NEXT) | instid1(VALU_DEP_1)
	v_dual_add_nc_u32 v10, 14, v5 :: v_dual_add_nc_u32 v0, v0, v2
                                        ; implicit-def: $vgpr2_vgpr3
	v_cmpx_ne_u32_e32 0, v10
	s_xor_b32 s10, exec_lo, s10
; %bb.934:                              ;   in Loop: Header=BB6_130 Depth=2
	s_delay_alu instid0(VALU_DEP_2) | instskip(SKIP_1) | instid1(VALU_DEP_1)
	v_cmp_lt_u64_e32 vcc_lo, 0xffffff, v[0:1]
	v_add_nc_u32_e32 v2, 15, v5
	v_cndmask_b32_e32 v4, v10, v2, vcc_lo
	v_cndmask_b32_e64 v2, 0, 1, vcc_lo
	s_delay_alu instid0(VALU_DEP_1)
	v_lshrrev_b64 v[2:3], v2, v[0:1]
; %bb.935:                              ;   in Loop: Header=BB6_130 Depth=2
	s_and_not1_saveexec_b32 s10, s10
; %bb.936:                              ;   in Loop: Header=BB6_130 Depth=2
	v_mov_b64_e32 v[2:3], v[0:1]
	v_bfe_u32 v4, v0, 23, 1
; %bb.937:                              ;   in Loop: Header=BB6_130 Depth=2
	s_or_b32 exec_lo, exec_lo, s10
	s_delay_alu instid0(VALU_DEP_2) | instskip(NEXT) | instid1(VALU_DEP_2)
	v_lshrrev_b64 v[2:3], 21, v[2:3]
	v_cmp_gt_i32_e32 vcc_lo, 32, v4
	v_min_i32_e32 v0, 31, v4
	v_cmp_eq_u32_e64 s10, 0, v4
	s_delay_alu instid0(VALU_DEP_2) | instskip(SKIP_1) | instid1(VALU_DEP_2)
	v_dual_cndmask_b32 v3, 0, v3 :: v_dual_lshlrev_b32 v0, 2, v0
	v_cndmask_b32_e32 v2, 3, v2, vcc_lo
	v_and_b32_e32 v0, 0xfc, v0
	s_delay_alu instid0(VALU_DEP_2) | instskip(NEXT) | instid1(VALU_DEP_2)
	v_cmp_eq_u64_e32 vcc_lo, 0, v[2:3]
	v_and_or_b32 v0, v2, 3, v0
	s_and_b32 s10, s10, vcc_lo
	s_delay_alu instid0(VALU_DEP_1) | instid1(SALU_CYCLE_1)
	v_cndmask_b32_e64 v0, v0, 0, s10
	s_delay_alu instid0(VALU_DEP_1)
	v_or_b32_e32 v43, v0, v8
.LBB6_938:                              ;   in Loop: Header=BB6_130 Depth=2
	s_or_b32 exec_lo, exec_lo, s42
                                        ; implicit-def: $vgpr8
.LBB6_939:                              ;   in Loop: Header=BB6_130 Depth=2
	s_and_not1_saveexec_b32 s10, s41
; %bb.940:                              ;   in Loop: Header=BB6_130 Depth=2
	v_or_b32_e32 v43, 0x7b, v8
; %bb.941:                              ;   in Loop: Header=BB6_130 Depth=2
	s_or_b32 exec_lo, exec_lo, s10
                                        ; implicit-def: $vgpr2
                                        ; implicit-def: $vgpr3
.LBB6_942:                              ;   in Loop: Header=BB6_130 Depth=2
	s_and_not1_saveexec_b32 s10, s40
	s_cbranch_execz .LBB6_948
; %bb.943:                              ;   in Loop: Header=BB6_130 Depth=2
	s_mov_b32 s40, exec_lo
                                        ; implicit-def: $vgpr43
	v_cmpx_ne_u64_e32 0, v[0:1]
	s_xor_b32 s40, exec_lo, s40
; %bb.944:                              ;   in Loop: Header=BB6_130 Depth=2
	v_or_b32_e32 v43, 0x7f, v3
                                        ; implicit-def: $vgpr2
; %bb.945:                              ;   in Loop: Header=BB6_130 Depth=2
	s_and_not1_saveexec_b32 s40, s40
; %bb.946:                              ;   in Loop: Header=BB6_130 Depth=2
	v_cmp_lt_i32_e32 vcc_lo, -1, v2
	v_mov_b32_e32 v0, 0x7c
	s_delay_alu instid0(VALU_DEP_1)
	v_cndmask_b32_e32 v43, 0xfc, v0, vcc_lo
; %bb.947:                              ;   in Loop: Header=BB6_130 Depth=2
	s_or_b32 exec_lo, exec_lo, s40
.LBB6_948:                              ;   in Loop: Header=BB6_130 Depth=2
	s_delay_alu instid0(SALU_CYCLE_1)
	s_or_b32 exec_lo, exec_lo, s10
	v_mov_b32_e32 v2, 0
	s_mov_b32 s10, exec_lo
	v_cmpx_lt_u32_e32 0xffffff, v12
	s_cbranch_execz .LBB6_958
; %bb.949:                              ;   in Loop: Header=BB6_130 Depth=2
	v_lshrrev_b32_e32 v0, 24, v12
	v_bfrev_b32_e32 v2, 1
	s_mov_b32 s40, exec_lo
	s_delay_alu instid0(VALU_DEP_2)
	v_cmpx_ne_u32_e32 0x80, v0
	s_cbranch_execz .LBB6_957
; %bb.950:                              ;   in Loop: Header=BB6_130 Depth=2
	v_and_b32_e32 v2, 0x7c000000, v12
	v_bfe_u32 v3, v12, 24, 2
	s_delay_alu instid0(VALU_DEP_2) | instskip(SKIP_1) | instid1(SALU_CYCLE_1)
	v_cmp_ne_u32_e32 vcc_lo, 0x7c000000, v2
                                        ; implicit-def: $vgpr2
	s_and_saveexec_b32 s41, vcc_lo
	s_xor_b32 s41, exec_lo, s41
	s_cbranch_execz .LBB6_954
; %bb.951:                              ;   in Loop: Header=BB6_130 Depth=2
	v_bfe_u32 v2, v12, 26, 5
	s_mov_b32 s42, exec_lo
	s_delay_alu instid0(VALU_DEP_1)
	v_cmpx_eq_u32_e32 0, v2
; %bb.952:                              ;   in Loop: Header=BB6_130 Depth=2
	v_clz_i32_u32_e32 v2, v3
	s_delay_alu instid0(VALU_DEP_1) | instskip(NEXT) | instid1(VALU_DEP_1)
	v_min_u32_e32 v2, 32, v2
	v_subrev_nc_u32_e32 v3, 29, v2
	s_delay_alu instid0(VALU_DEP_1) | instskip(NEXT) | instid1(VALU_DEP_1)
	v_lshlrev_b64_e32 v[4:5], v3, v[0:1]
	v_dual_sub_nc_u32 v2, 30, v2 :: v_dual_bitop2_b32 v3, 3, v4 bitop3:0x40
; %bb.953:                              ;   in Loop: Header=BB6_130 Depth=2
	s_or_b32 exec_lo, exec_lo, s42
	v_and_b32_e32 v0, 0x80000000, v12
	s_delay_alu instid0(VALU_DEP_1) | instskip(NEXT) | instid1(VALU_DEP_1)
	v_lshl_add_u32 v0, v2, 23, v0
	v_lshl_or_b32 v0, v3, 21, v0
                                        ; implicit-def: $vgpr3
	s_delay_alu instid0(VALU_DEP_1)
	v_add_nc_u32_e32 v2, 0x38000000, v0
.LBB6_954:                              ;   in Loop: Header=BB6_130 Depth=2
	s_and_not1_saveexec_b32 s41, s41
; %bb.955:                              ;   in Loop: Header=BB6_130 Depth=2
	v_cmp_lt_i32_e32 vcc_lo, -1, v12
	v_mov_b32_e32 v0, 0x7f800000
	s_delay_alu instid0(VALU_DEP_1) | instskip(SKIP_1) | instid1(VALU_DEP_2)
	v_cndmask_b32_e32 v0, 0xff800000, v0, vcc_lo
	v_cmp_eq_u32_e32 vcc_lo, 0, v3
	v_cndmask_b32_e32 v2, 0x7f800001, v0, vcc_lo
; %bb.956:                              ;   in Loop: Header=BB6_130 Depth=2
	s_or_b32 exec_lo, exec_lo, s41
.LBB6_957:                              ;   in Loop: Header=BB6_130 Depth=2
	s_delay_alu instid0(SALU_CYCLE_1)
	s_or_b32 exec_lo, exec_lo, s40
.LBB6_958:                              ;   in Loop: Header=BB6_130 Depth=2
	s_delay_alu instid0(SALU_CYCLE_1) | instskip(NEXT) | instid1(VALU_DEP_1)
	s_or_b32 exec_lo, exec_lo, s10
	v_dual_mul_f32 v2, s29, v2 :: v_dual_mov_b32 v5, v1
                                        ; implicit-def: $vgpr45
	s_mov_b32 s10, exec_lo
	s_delay_alu instid0(VALU_DEP_1) | instskip(SKIP_2) | instid1(VALU_DEP_3)
	v_and_b32_e32 v4, 0x7f800000, v2
	v_and_b32_e32 v0, 0x7fffff, v2
	v_lshrrev_b32_e32 v3, 24, v2
	v_cmpx_ne_u64_e32 0x7f800000, v[4:5]
	s_xor_b32 s40, exec_lo, s10
	s_cbranch_execz .LBB6_972
; %bb.959:                              ;   in Loop: Header=BB6_130 Depth=2
	v_and_b32_e32 v4, 0x7fffffff, v2
	v_mov_b32_e32 v5, v1
	v_and_b32_e32 v8, 0x80, v3
                                        ; implicit-def: $vgpr45
	s_mov_b32 s10, exec_lo
	s_delay_alu instid0(VALU_DEP_2)
	v_cmpx_gt_u64_e32 0x47600001, v[4:5]
	s_xor_b32 s41, exec_lo, s10
	s_cbranch_execz .LBB6_969
; %bb.960:                              ;   in Loop: Header=BB6_130 Depth=2
	v_mov_b32_e32 v45, 0
	s_mov_b32 s42, exec_lo
	v_cmpx_ne_u32_e32 0, v2
	s_cbranch_execz .LBB6_968
; %bb.961:                              ;   in Loop: Header=BB6_130 Depth=2
	v_bfe_u32 v10, v2, 23, 8
	v_or_b32_e32 v4, 0x800000, v0
	s_mov_b32 s43, exec_lo
	s_delay_alu instid0(VALU_DEP_2) | instskip(SKIP_1) | instid1(VALU_DEP_2)
	v_dual_mov_b32 v5, v1 :: v_dual_sub_nc_u32 v2, 0x71, v10
	v_cmp_gt_u32_e32 vcc_lo, 0x72, v10
	v_cndmask_b32_e32 v2, 0, v2, vcc_lo
	v_cmp_eq_u32_e32 vcc_lo, 0, v10
	s_delay_alu instid0(VALU_DEP_2) | instskip(NEXT) | instid1(VALU_DEP_1)
	v_cndmask_b32_e64 v11, v2, 0x70, vcc_lo
	v_dual_cndmask_b32 v4, v4, v0, vcc_lo :: v_dual_add_nc_u32 v2, 21, v11
	v_add_nc_u32_e32 v14, 20, v11
	s_delay_alu instid0(VALU_DEP_2) | instskip(NEXT) | instid1(VALU_DEP_2)
	v_lshlrev_b64_e64 v[2:3], v2, -1
	v_lshlrev_b64_e64 v[14:15], v14, 1
	s_delay_alu instid0(VALU_DEP_2) | instskip(NEXT) | instid1(VALU_DEP_3)
	v_bfi_b32 v17, v3, 0, 0
	v_bfi_b32 v16, v2, 0, v4
	v_lshrrev_b64 v[2:3], v11, v[4:5]
	s_delay_alu instid0(VALU_DEP_1) | instskip(NEXT) | instid1(VALU_DEP_3)
	v_mov_b64_e32 v[4:5], v[2:3]
	v_cmpx_eq_u64_e64 v[16:17], v[14:15]
; %bb.962:                              ;   in Loop: Header=BB6_130 Depth=2
	v_bfe_u32 v4, v2, 21, 1
	v_mov_b32_e32 v5, v1
	s_delay_alu instid0(VALU_DEP_1) | instskip(NEXT) | instid1(VALU_DEP_1)
	v_add_nc_u64_e32 v[4:5], v[2:3], v[4:5]
	v_add_nc_u64_e32 v[4:5], -1, v[4:5]
; %bb.963:                              ;   in Loop: Header=BB6_130 Depth=2
	s_or_b32 exec_lo, exec_lo, s43
	v_add_nc_u32_e32 v0, 0xffffff81, v10
	v_lshrrev_b32_e32 v3, 23, v2
	s_mov_b32 s10, exec_lo
	s_delay_alu instid0(VALU_DEP_2) | instskip(NEXT) | instid1(VALU_DEP_1)
	v_cndmask_b32_e64 v0, v0, 0xffffff82, vcc_lo
	v_add3_u32 v5, v11, v0, v3
	v_and_b32_e32 v0, 0x1fffff, v4
                                        ; implicit-def: $vgpr4
	s_delay_alu instid0(VALU_DEP_1) | instskip(NEXT) | instid1(VALU_DEP_1)
	v_dual_add_nc_u32 v10, 14, v5 :: v_dual_add_nc_u32 v0, v0, v2
                                        ; implicit-def: $vgpr2_vgpr3
	v_cmpx_ne_u32_e32 0, v10
	s_xor_b32 s10, exec_lo, s10
; %bb.964:                              ;   in Loop: Header=BB6_130 Depth=2
	s_delay_alu instid0(VALU_DEP_2) | instskip(SKIP_1) | instid1(VALU_DEP_1)
	v_cmp_lt_u64_e32 vcc_lo, 0xffffff, v[0:1]
	v_add_nc_u32_e32 v2, 15, v5
	v_cndmask_b32_e32 v4, v10, v2, vcc_lo
	v_cndmask_b32_e64 v2, 0, 1, vcc_lo
	s_delay_alu instid0(VALU_DEP_1)
	v_lshrrev_b64 v[2:3], v2, v[0:1]
; %bb.965:                              ;   in Loop: Header=BB6_130 Depth=2
	s_and_not1_saveexec_b32 s10, s10
; %bb.966:                              ;   in Loop: Header=BB6_130 Depth=2
	v_mov_b64_e32 v[2:3], v[0:1]
	v_bfe_u32 v4, v0, 23, 1
; %bb.967:                              ;   in Loop: Header=BB6_130 Depth=2
	s_or_b32 exec_lo, exec_lo, s10
	s_delay_alu instid0(VALU_DEP_2) | instskip(NEXT) | instid1(VALU_DEP_2)
	v_lshrrev_b64 v[2:3], 21, v[2:3]
	v_cmp_gt_i32_e32 vcc_lo, 32, v4
	v_min_i32_e32 v0, 31, v4
	v_cmp_eq_u32_e64 s10, 0, v4
	s_delay_alu instid0(VALU_DEP_2) | instskip(SKIP_1) | instid1(VALU_DEP_2)
	v_dual_cndmask_b32 v3, 0, v3 :: v_dual_lshlrev_b32 v0, 2, v0
	v_cndmask_b32_e32 v2, 3, v2, vcc_lo
	v_and_b32_e32 v0, 0xfc, v0
	s_delay_alu instid0(VALU_DEP_2) | instskip(NEXT) | instid1(VALU_DEP_2)
	v_cmp_eq_u64_e32 vcc_lo, 0, v[2:3]
	v_and_or_b32 v0, v2, 3, v0
	s_and_b32 s10, s10, vcc_lo
	s_delay_alu instid0(VALU_DEP_1) | instid1(SALU_CYCLE_1)
	v_cndmask_b32_e64 v0, v0, 0, s10
	s_delay_alu instid0(VALU_DEP_1)
	v_or_b32_e32 v45, v0, v8
.LBB6_968:                              ;   in Loop: Header=BB6_130 Depth=2
	s_or_b32 exec_lo, exec_lo, s42
                                        ; implicit-def: $vgpr8
.LBB6_969:                              ;   in Loop: Header=BB6_130 Depth=2
	s_and_not1_saveexec_b32 s10, s41
; %bb.970:                              ;   in Loop: Header=BB6_130 Depth=2
	v_or_b32_e32 v45, 0x7b, v8
; %bb.971:                              ;   in Loop: Header=BB6_130 Depth=2
	s_or_b32 exec_lo, exec_lo, s10
                                        ; implicit-def: $vgpr2
                                        ; implicit-def: $vgpr3
.LBB6_972:                              ;   in Loop: Header=BB6_130 Depth=2
	s_and_not1_saveexec_b32 s10, s40
	s_cbranch_execz .LBB6_978
; %bb.973:                              ;   in Loop: Header=BB6_130 Depth=2
	s_mov_b32 s40, exec_lo
                                        ; implicit-def: $vgpr45
	v_cmpx_ne_u64_e32 0, v[0:1]
	s_xor_b32 s40, exec_lo, s40
; %bb.974:                              ;   in Loop: Header=BB6_130 Depth=2
	v_or_b32_e32 v45, 0x7f, v3
                                        ; implicit-def: $vgpr2
; %bb.975:                              ;   in Loop: Header=BB6_130 Depth=2
	s_and_not1_saveexec_b32 s40, s40
; %bb.976:                              ;   in Loop: Header=BB6_130 Depth=2
	v_cmp_lt_i32_e32 vcc_lo, -1, v2
	v_mov_b32_e32 v0, 0x7c
	s_delay_alu instid0(VALU_DEP_1)
	v_cndmask_b32_e32 v45, 0xfc, v0, vcc_lo
; %bb.977:                              ;   in Loop: Header=BB6_130 Depth=2
	s_or_b32 exec_lo, exec_lo, s40
.LBB6_978:                              ;   in Loop: Header=BB6_130 Depth=2
	s_delay_alu instid0(SALU_CYCLE_1) | instskip(SKIP_3) | instid1(VALU_DEP_2)
	s_or_b32 exec_lo, exec_lo, s10
	v_and_b32_e32 v2, 0xff, v13
	v_dual_mov_b32 v0, v13 :: v_dual_mov_b32 v3, 0
	s_mov_b32 s10, exec_lo
	v_cmpx_ne_u16_e32 0, v2
	s_cbranch_execz .LBB6_988
; %bb.979:                              ;   in Loop: Header=BB6_130 Depth=2
	v_bfrev_b32_e32 v3, 1
	s_mov_b32 s40, exec_lo
	v_cmpx_ne_u16_e32 0x80, v2
	s_cbranch_execz .LBB6_987
; %bb.980:                              ;   in Loop: Header=BB6_130 Depth=2
	v_and_b32_e32 v3, 0x7c, v13
	v_and_b32_e32 v2, 3, v13
	s_delay_alu instid0(VALU_DEP_2) | instskip(SKIP_1) | instid1(SALU_CYCLE_1)
	v_cmp_ne_u32_e32 vcc_lo, 0x7c, v3
                                        ; implicit-def: $vgpr3
	s_and_saveexec_b32 s41, vcc_lo
	s_xor_b32 s41, exec_lo, s41
	s_cbranch_execz .LBB6_984
; %bb.981:                              ;   in Loop: Header=BB6_130 Depth=2
	v_bfe_u32 v3, v13, 2, 5
	s_mov_b32 s42, exec_lo
	s_delay_alu instid0(VALU_DEP_1)
	v_cmpx_eq_u32_e32 0, v3
; %bb.982:                              ;   in Loop: Header=BB6_130 Depth=2
	v_clz_i32_u32_e32 v2, v2
	s_delay_alu instid0(VALU_DEP_1) | instskip(NEXT) | instid1(VALU_DEP_1)
	v_min_u32_e32 v4, 32, v2
	v_subrev_nc_u32_e32 v2, 29, v4
	s_delay_alu instid0(VALU_DEP_1) | instskip(NEXT) | instid1(VALU_DEP_1)
	v_lshlrev_b64_e32 v[2:3], v2, v[0:1]
	v_dual_sub_nc_u32 v3, 30, v4 :: v_dual_bitop2_b32 v2, 3, v2 bitop3:0x40
; %bb.983:                              ;   in Loop: Header=BB6_130 Depth=2
	s_or_b32 exec_lo, exec_lo, s42
	v_lshlrev_b32_e32 v4, 24, v13
	s_delay_alu instid0(VALU_DEP_1) | instskip(NEXT) | instid1(VALU_DEP_1)
	v_and_b32_e32 v4, 0x80000000, v4
	v_lshl_add_u32 v3, v3, 23, v4
	s_delay_alu instid0(VALU_DEP_1) | instskip(NEXT) | instid1(VALU_DEP_1)
	v_lshl_or_b32 v2, v2, 21, v3
	v_add_nc_u32_e32 v3, 0x38000000, v2
                                        ; implicit-def: $vgpr2
.LBB6_984:                              ;   in Loop: Header=BB6_130 Depth=2
	s_and_not1_saveexec_b32 s41, s41
; %bb.985:                              ;   in Loop: Header=BB6_130 Depth=2
	v_bfe_i32 v3, v13, 0, 8
	s_delay_alu instid0(VALU_DEP_1) | instskip(SKIP_1) | instid1(VALU_DEP_1)
	v_cmp_lt_i16_e32 vcc_lo, -1, v3
	v_mov_b32_e32 v3, 0x7f800000
	v_cndmask_b32_e32 v3, 0xff800000, v3, vcc_lo
	v_cmp_eq_u32_e32 vcc_lo, 0, v2
	s_delay_alu instid0(VALU_DEP_2)
	v_cndmask_b32_e32 v3, 0x7f800001, v3, vcc_lo
; %bb.986:                              ;   in Loop: Header=BB6_130 Depth=2
	s_or_b32 exec_lo, exec_lo, s41
.LBB6_987:                              ;   in Loop: Header=BB6_130 Depth=2
	s_delay_alu instid0(SALU_CYCLE_1)
	s_or_b32 exec_lo, exec_lo, s40
.LBB6_988:                              ;   in Loop: Header=BB6_130 Depth=2
	s_delay_alu instid0(SALU_CYCLE_1) | instskip(NEXT) | instid1(VALU_DEP_1)
	s_or_b32 exec_lo, exec_lo, s10
	v_dual_mul_f32 v4, s29, v3 :: v_dual_mov_b32 v11, v1
	v_mov_b32_e32 v3, v1
                                        ; implicit-def: $vgpr85
	s_mov_b32 s10, exec_lo
	s_delay_alu instid0(VALU_DEP_2) | instskip(SKIP_2) | instid1(VALU_DEP_3)
	v_and_b32_e32 v10, 0x7f800000, v4
	v_and_b32_e32 v2, 0x7fffff, v4
	v_lshrrev_b32_e32 v5, 24, v4
	v_cmpx_ne_u64_e32 0x7f800000, v[10:11]
	s_xor_b32 s40, exec_lo, s10
	s_cbranch_execz .LBB6_1002
; %bb.989:                              ;   in Loop: Header=BB6_130 Depth=2
	v_and_b32_e32 v10, 0x7fffffff, v4
	v_mov_b32_e32 v11, v1
	v_and_b32_e32 v8, 0x80, v5
                                        ; implicit-def: $vgpr85
	s_mov_b32 s10, exec_lo
	s_delay_alu instid0(VALU_DEP_2)
	v_cmpx_gt_u64_e32 0x47600001, v[10:11]
	s_xor_b32 s41, exec_lo, s10
	s_cbranch_execz .LBB6_999
; %bb.990:                              ;   in Loop: Header=BB6_130 Depth=2
	v_mov_b32_e32 v85, 0
	s_mov_b32 s42, exec_lo
	v_cmpx_ne_u32_e32 0, v4
	s_cbranch_execz .LBB6_998
; %bb.991:                              ;   in Loop: Header=BB6_130 Depth=2
	v_bfe_u32 v10, v4, 23, 8
	v_or_b32_e32 v14, 0x800000, v2
	s_delay_alu instid0(VALU_DEP_2) | instskip(SKIP_1) | instid1(VALU_DEP_2)
	v_sub_nc_u32_e32 v4, 0x71, v10
	v_cmp_gt_u32_e32 vcc_lo, 0x72, v10
	v_cndmask_b32_e32 v4, 0, v4, vcc_lo
	v_cmp_eq_u32_e32 vcc_lo, 0, v10
	s_delay_alu instid0(VALU_DEP_2) | instskip(NEXT) | instid1(VALU_DEP_1)
	v_cndmask_b32_e64 v11, v4, 0x70, vcc_lo
	v_dual_cndmask_b32 v2, v14, v2, vcc_lo :: v_dual_add_nc_u32 v4, 21, v11
	v_add_nc_u32_e32 v15, 20, v11
	s_delay_alu instid0(VALU_DEP_2) | instskip(NEXT) | instid1(VALU_DEP_2)
	v_lshlrev_b64_e64 v[4:5], v4, -1
	v_lshlrev_b64_e64 v[14:15], v15, 1
	s_delay_alu instid0(VALU_DEP_2) | instskip(SKIP_1) | instid1(VALU_DEP_4)
	v_bfi_b32 v4, v4, 0, v2
	v_lshrrev_b64 v[2:3], v11, v[2:3]
	v_bfi_b32 v5, v5, 0, 0
	s_delay_alu instid0(VALU_DEP_1) | instskip(NEXT) | instid1(VALU_DEP_3)
	v_cmp_eq_u64_e64 s10, v[4:5], v[14:15]
	v_mov_b64_e32 v[4:5], v[2:3]
	s_and_saveexec_b32 s43, s10
; %bb.992:                              ;   in Loop: Header=BB6_130 Depth=2
	v_bfe_u32 v4, v2, 21, 1
	v_mov_b32_e32 v5, v1
	s_delay_alu instid0(VALU_DEP_1) | instskip(NEXT) | instid1(VALU_DEP_1)
	v_add_nc_u64_e32 v[4:5], v[2:3], v[4:5]
	v_add_nc_u64_e32 v[4:5], -1, v[4:5]
; %bb.993:                              ;   in Loop: Header=BB6_130 Depth=2
	s_or_b32 exec_lo, exec_lo, s43
	v_add_nc_u32_e32 v3, 0xffffff81, v10
	v_lshrrev_b32_e32 v5, 23, v2
	s_mov_b32 s10, exec_lo
	s_delay_alu instid0(VALU_DEP_2) | instskip(NEXT) | instid1(VALU_DEP_1)
	v_cndmask_b32_e64 v3, v3, 0xffffff82, vcc_lo
	v_add3_u32 v5, v11, v3, v5
	v_and_b32_e32 v3, 0x1fffff, v4
                                        ; implicit-def: $vgpr4
	s_delay_alu instid0(VALU_DEP_1) | instskip(SKIP_1) | instid1(VALU_DEP_2)
	v_dual_add_nc_u32 v10, 14, v5 :: v_dual_add_nc_u32 v2, v3, v2
	v_mov_b32_e32 v3, v1
	v_cmpx_ne_u32_e32 0, v10
	s_xor_b32 s10, exec_lo, s10
; %bb.994:                              ;   in Loop: Header=BB6_130 Depth=2
	s_delay_alu instid0(VALU_DEP_2) | instskip(SKIP_2) | instid1(VALU_DEP_2)
	v_cmp_lt_u64_e32 vcc_lo, 0xffffff, v[2:3]
	v_add_nc_u32_e32 v4, 15, v5
	v_cndmask_b32_e64 v5, 0, 1, vcc_lo
	v_cndmask_b32_e32 v4, v10, v4, vcc_lo
	s_delay_alu instid0(VALU_DEP_2)
	v_lshrrev_b64 v[2:3], v5, v[2:3]
; %bb.995:                              ;   in Loop: Header=BB6_130 Depth=2
	s_and_not1_saveexec_b32 s10, s10
; %bb.996:                              ;   in Loop: Header=BB6_130 Depth=2
	s_delay_alu instid0(VALU_DEP_1)
	v_bfe_u32 v4, v2, 23, 1
; %bb.997:                              ;   in Loop: Header=BB6_130 Depth=2
	s_or_b32 exec_lo, exec_lo, s10
	s_delay_alu instid0(VALU_DEP_2) | instskip(NEXT) | instid1(VALU_DEP_2)
	v_lshrrev_b64 v[2:3], 21, v[2:3]
	v_cmp_gt_i32_e32 vcc_lo, 32, v4
	v_min_i32_e32 v5, 31, v4
	v_cmp_eq_u32_e64 s10, 0, v4
	s_delay_alu instid0(VALU_DEP_2) | instskip(SKIP_1) | instid1(VALU_DEP_2)
	v_dual_cndmask_b32 v3, 0, v3, vcc_lo :: v_dual_lshlrev_b32 v5, 2, v5
	v_cndmask_b32_e32 v2, 3, v2, vcc_lo
	v_and_b32_e32 v5, 0xfc, v5
	s_delay_alu instid0(VALU_DEP_2) | instskip(NEXT) | instid1(VALU_DEP_2)
	v_cmp_eq_u64_e32 vcc_lo, 0, v[2:3]
	v_and_or_b32 v2, v2, 3, v5
	s_and_b32 s10, s10, vcc_lo
	s_delay_alu instid0(VALU_DEP_1) | instid1(SALU_CYCLE_1)
	v_cndmask_b32_e64 v2, v2, 0, s10
	s_delay_alu instid0(VALU_DEP_1)
	v_or_b32_e32 v85, v2, v8
.LBB6_998:                              ;   in Loop: Header=BB6_130 Depth=2
	s_or_b32 exec_lo, exec_lo, s42
                                        ; implicit-def: $vgpr8
.LBB6_999:                              ;   in Loop: Header=BB6_130 Depth=2
	s_and_not1_saveexec_b32 s10, s41
; %bb.1000:                             ;   in Loop: Header=BB6_130 Depth=2
	v_or_b32_e32 v85, 0x7b, v8
; %bb.1001:                             ;   in Loop: Header=BB6_130 Depth=2
	s_or_b32 exec_lo, exec_lo, s10
                                        ; implicit-def: $vgpr4
                                        ; implicit-def: $vgpr2_vgpr3
                                        ; implicit-def: $vgpr5
.LBB6_1002:                             ;   in Loop: Header=BB6_130 Depth=2
	s_and_not1_saveexec_b32 s10, s40
	s_cbranch_execz .LBB6_1008
; %bb.1003:                             ;   in Loop: Header=BB6_130 Depth=2
	s_mov_b32 s40, exec_lo
                                        ; implicit-def: $vgpr85
	v_cmpx_ne_u64_e32 0, v[2:3]
	s_xor_b32 s40, exec_lo, s40
; %bb.1004:                             ;   in Loop: Header=BB6_130 Depth=2
	v_or_b32_e32 v85, 0x7f, v5
                                        ; implicit-def: $vgpr4
; %bb.1005:                             ;   in Loop: Header=BB6_130 Depth=2
	s_and_not1_saveexec_b32 s40, s40
; %bb.1006:                             ;   in Loop: Header=BB6_130 Depth=2
	v_cmp_lt_i32_e32 vcc_lo, -1, v4
	v_mov_b32_e32 v2, 0x7c
	s_delay_alu instid0(VALU_DEP_1)
	v_cndmask_b32_e32 v85, 0xfc, v2, vcc_lo
; %bb.1007:                             ;   in Loop: Header=BB6_130 Depth=2
	s_or_b32 exec_lo, exec_lo, s40
.LBB6_1008:                             ;   in Loop: Header=BB6_130 Depth=2
	s_delay_alu instid0(SALU_CYCLE_1) | instskip(SKIP_3) | instid1(VALU_DEP_2)
	s_or_b32 exec_lo, exec_lo, s10
	v_lshrrev_b16 v2, 8, v0
	v_mov_b32_e32 v4, 0
	s_mov_b32 s10, exec_lo
	v_cmpx_ne_u16_e32 0, v2
	s_cbranch_execz .LBB6_1018
; %bb.1009:                             ;   in Loop: Header=BB6_130 Depth=2
	v_bfrev_b32_e32 v4, 1
	s_mov_b32 s40, exec_lo
	v_cmpx_ne_u16_e32 0x80, v2
	s_cbranch_execz .LBB6_1017
; %bb.1010:                             ;   in Loop: Header=BB6_130 Depth=2
	v_and_b32_e32 v5, 0xffff, v2
	s_delay_alu instid0(VALU_DEP_1) | instskip(SKIP_1) | instid1(VALU_DEP_2)
	v_and_b32_e32 v4, 0x7c, v5
	v_and_b32_e32 v3, 3, v5
	v_cmp_ne_u32_e32 vcc_lo, 0x7c, v4
                                        ; implicit-def: $vgpr4
	s_and_saveexec_b32 s41, vcc_lo
	s_delay_alu instid0(SALU_CYCLE_1)
	s_xor_b32 s41, exec_lo, s41
	s_cbranch_execz .LBB6_1014
; %bb.1011:                             ;   in Loop: Header=BB6_130 Depth=2
	v_bfe_u32 v4, v5, 2, 5
	s_mov_b32 s42, exec_lo
	s_delay_alu instid0(VALU_DEP_1)
	v_cmpx_eq_u32_e32 0, v4
	s_cbranch_execz .LBB6_1013
; %bb.1012:                             ;   in Loop: Header=BB6_130 Depth=2
	v_clz_i32_u32_e32 v3, v3
	s_delay_alu instid0(VALU_DEP_1) | instskip(SKIP_1) | instid1(VALU_DEP_2)
	v_min_u32_e32 v4, 32, v3
	v_mov_b32_e32 v3, v1
	v_subrev_nc_u32_e32 v5, 29, v4
	v_sub_nc_u32_e32 v4, 30, v4
	s_delay_alu instid0(VALU_DEP_2) | instskip(NEXT) | instid1(VALU_DEP_1)
	v_lshlrev_b64_e32 v[2:3], v5, v[2:3]
	v_and_b32_e32 v3, 3, v2
.LBB6_1013:                             ;   in Loop: Header=BB6_130 Depth=2
	s_or_b32 exec_lo, exec_lo, s42
	v_lshlrev_b32_e32 v0, 16, v0
	s_delay_alu instid0(VALU_DEP_1) | instskip(NEXT) | instid1(VALU_DEP_1)
	v_and_b32_e32 v0, 0x80000000, v0
	v_lshl_add_u32 v0, v4, 23, v0
	s_delay_alu instid0(VALU_DEP_1) | instskip(NEXT) | instid1(VALU_DEP_1)
	v_lshl_or_b32 v0, v3, 21, v0
                                        ; implicit-def: $vgpr3
	v_add_nc_u32_e32 v4, 0x38000000, v0
.LBB6_1014:                             ;   in Loop: Header=BB6_130 Depth=2
	s_and_not1_saveexec_b32 s41, s41
; %bb.1015:                             ;   in Loop: Header=BB6_130 Depth=2
	v_cmp_lt_i16_e32 vcc_lo, -1, v0
	v_mov_b32_e32 v0, 0x7f800000
	s_delay_alu instid0(VALU_DEP_1) | instskip(SKIP_1) | instid1(VALU_DEP_2)
	v_cndmask_b32_e32 v0, 0xff800000, v0, vcc_lo
	v_cmp_eq_u32_e32 vcc_lo, 0, v3
	v_cndmask_b32_e32 v4, 0x7f800001, v0, vcc_lo
; %bb.1016:                             ;   in Loop: Header=BB6_130 Depth=2
	s_or_b32 exec_lo, exec_lo, s41
.LBB6_1017:                             ;   in Loop: Header=BB6_130 Depth=2
	s_delay_alu instid0(SALU_CYCLE_1)
	s_or_b32 exec_lo, exec_lo, s40
.LBB6_1018:                             ;   in Loop: Header=BB6_130 Depth=2
	s_delay_alu instid0(SALU_CYCLE_1) | instskip(NEXT) | instid1(VALU_DEP_1)
	s_or_b32 exec_lo, exec_lo, s10
	v_dual_mul_f32 v2, s29, v4 :: v_dual_mov_b32 v5, v1
                                        ; implicit-def: $vgpr96
	s_mov_b32 s10, exec_lo
	s_delay_alu instid0(VALU_DEP_1) | instskip(SKIP_2) | instid1(VALU_DEP_3)
	v_and_b32_e32 v4, 0x7f800000, v2
	v_and_b32_e32 v0, 0x7fffff, v2
	v_lshrrev_b32_e32 v3, 24, v2
	v_cmpx_ne_u64_e32 0x7f800000, v[4:5]
	s_xor_b32 s40, exec_lo, s10
	s_cbranch_execz .LBB6_1032
; %bb.1019:                             ;   in Loop: Header=BB6_130 Depth=2
	v_and_b32_e32 v4, 0x7fffffff, v2
	v_mov_b32_e32 v5, v1
	v_and_b32_e32 v8, 0x80, v3
                                        ; implicit-def: $vgpr96
	s_mov_b32 s10, exec_lo
	s_delay_alu instid0(VALU_DEP_2)
	v_cmpx_gt_u64_e32 0x47600001, v[4:5]
	s_xor_b32 s41, exec_lo, s10
	s_cbranch_execz .LBB6_1029
; %bb.1020:                             ;   in Loop: Header=BB6_130 Depth=2
	v_mov_b32_e32 v96, 0
	s_mov_b32 s42, exec_lo
	v_cmpx_ne_u32_e32 0, v2
	s_cbranch_execz .LBB6_1028
; %bb.1021:                             ;   in Loop: Header=BB6_130 Depth=2
	v_bfe_u32 v10, v2, 23, 8
	v_or_b32_e32 v4, 0x800000, v0
	s_mov_b32 s43, exec_lo
	s_delay_alu instid0(VALU_DEP_2) | instskip(SKIP_1) | instid1(VALU_DEP_2)
	v_dual_mov_b32 v5, v1 :: v_dual_sub_nc_u32 v2, 0x71, v10
	v_cmp_gt_u32_e32 vcc_lo, 0x72, v10
	v_cndmask_b32_e32 v2, 0, v2, vcc_lo
	v_cmp_eq_u32_e32 vcc_lo, 0, v10
	s_delay_alu instid0(VALU_DEP_2) | instskip(NEXT) | instid1(VALU_DEP_1)
	v_cndmask_b32_e64 v11, v2, 0x70, vcc_lo
	v_dual_cndmask_b32 v4, v4, v0, vcc_lo :: v_dual_add_nc_u32 v2, 21, v11
	v_add_nc_u32_e32 v14, 20, v11
	s_delay_alu instid0(VALU_DEP_2) | instskip(NEXT) | instid1(VALU_DEP_2)
	v_lshlrev_b64_e64 v[2:3], v2, -1
	v_lshlrev_b64_e64 v[14:15], v14, 1
	s_delay_alu instid0(VALU_DEP_2) | instskip(NEXT) | instid1(VALU_DEP_3)
	v_bfi_b32 v17, v3, 0, 0
	v_bfi_b32 v16, v2, 0, v4
	v_lshrrev_b64 v[2:3], v11, v[4:5]
	s_delay_alu instid0(VALU_DEP_1) | instskip(NEXT) | instid1(VALU_DEP_3)
	v_mov_b64_e32 v[4:5], v[2:3]
	v_cmpx_eq_u64_e64 v[16:17], v[14:15]
; %bb.1022:                             ;   in Loop: Header=BB6_130 Depth=2
	v_bfe_u32 v4, v2, 21, 1
	v_mov_b32_e32 v5, v1
	s_delay_alu instid0(VALU_DEP_1) | instskip(NEXT) | instid1(VALU_DEP_1)
	v_add_nc_u64_e32 v[4:5], v[2:3], v[4:5]
	v_add_nc_u64_e32 v[4:5], -1, v[4:5]
; %bb.1023:                             ;   in Loop: Header=BB6_130 Depth=2
	s_or_b32 exec_lo, exec_lo, s43
	v_add_nc_u32_e32 v0, 0xffffff81, v10
	v_lshrrev_b32_e32 v3, 23, v2
	s_mov_b32 s10, exec_lo
	s_delay_alu instid0(VALU_DEP_2) | instskip(NEXT) | instid1(VALU_DEP_1)
	v_cndmask_b32_e64 v0, v0, 0xffffff82, vcc_lo
	v_add3_u32 v5, v11, v0, v3
	v_and_b32_e32 v0, 0x1fffff, v4
                                        ; implicit-def: $vgpr4
	s_delay_alu instid0(VALU_DEP_1) | instskip(NEXT) | instid1(VALU_DEP_1)
	v_dual_add_nc_u32 v10, 14, v5 :: v_dual_add_nc_u32 v0, v0, v2
                                        ; implicit-def: $vgpr2_vgpr3
	v_cmpx_ne_u32_e32 0, v10
	s_xor_b32 s10, exec_lo, s10
; %bb.1024:                             ;   in Loop: Header=BB6_130 Depth=2
	s_delay_alu instid0(VALU_DEP_2) | instskip(SKIP_1) | instid1(VALU_DEP_1)
	v_cmp_lt_u64_e32 vcc_lo, 0xffffff, v[0:1]
	v_add_nc_u32_e32 v2, 15, v5
	v_cndmask_b32_e32 v4, v10, v2, vcc_lo
	v_cndmask_b32_e64 v2, 0, 1, vcc_lo
	s_delay_alu instid0(VALU_DEP_1)
	v_lshrrev_b64 v[2:3], v2, v[0:1]
; %bb.1025:                             ;   in Loop: Header=BB6_130 Depth=2
	s_and_not1_saveexec_b32 s10, s10
; %bb.1026:                             ;   in Loop: Header=BB6_130 Depth=2
	v_mov_b64_e32 v[2:3], v[0:1]
	v_bfe_u32 v4, v0, 23, 1
; %bb.1027:                             ;   in Loop: Header=BB6_130 Depth=2
	s_or_b32 exec_lo, exec_lo, s10
	s_delay_alu instid0(VALU_DEP_2) | instskip(NEXT) | instid1(VALU_DEP_2)
	v_lshrrev_b64 v[2:3], 21, v[2:3]
	v_cmp_gt_i32_e32 vcc_lo, 32, v4
	v_min_i32_e32 v0, 31, v4
	v_cmp_eq_u32_e64 s10, 0, v4
	s_delay_alu instid0(VALU_DEP_2) | instskip(SKIP_1) | instid1(VALU_DEP_2)
	v_dual_cndmask_b32 v3, 0, v3 :: v_dual_lshlrev_b32 v0, 2, v0
	v_cndmask_b32_e32 v2, 3, v2, vcc_lo
	v_and_b32_e32 v0, 0xfc, v0
	s_delay_alu instid0(VALU_DEP_2) | instskip(NEXT) | instid1(VALU_DEP_2)
	v_cmp_eq_u64_e32 vcc_lo, 0, v[2:3]
	v_and_or_b32 v0, v2, 3, v0
	s_and_b32 s10, s10, vcc_lo
	s_delay_alu instid0(VALU_DEP_1) | instid1(SALU_CYCLE_1)
	v_cndmask_b32_e64 v0, v0, 0, s10
	s_delay_alu instid0(VALU_DEP_1)
	v_or_b32_e32 v96, v0, v8
.LBB6_1028:                             ;   in Loop: Header=BB6_130 Depth=2
	s_or_b32 exec_lo, exec_lo, s42
                                        ; implicit-def: $vgpr8
.LBB6_1029:                             ;   in Loop: Header=BB6_130 Depth=2
	s_and_not1_saveexec_b32 s10, s41
; %bb.1030:                             ;   in Loop: Header=BB6_130 Depth=2
	v_or_b32_e32 v96, 0x7b, v8
; %bb.1031:                             ;   in Loop: Header=BB6_130 Depth=2
	s_or_b32 exec_lo, exec_lo, s10
                                        ; implicit-def: $vgpr2
                                        ; implicit-def: $vgpr3
.LBB6_1032:                             ;   in Loop: Header=BB6_130 Depth=2
	s_and_not1_saveexec_b32 s10, s40
	s_cbranch_execz .LBB6_1038
; %bb.1033:                             ;   in Loop: Header=BB6_130 Depth=2
	s_mov_b32 s40, exec_lo
                                        ; implicit-def: $vgpr96
	v_cmpx_ne_u64_e32 0, v[0:1]
	s_xor_b32 s40, exec_lo, s40
; %bb.1034:                             ;   in Loop: Header=BB6_130 Depth=2
	v_or_b32_e32 v96, 0x7f, v3
                                        ; implicit-def: $vgpr2
; %bb.1035:                             ;   in Loop: Header=BB6_130 Depth=2
	s_and_not1_saveexec_b32 s40, s40
; %bb.1036:                             ;   in Loop: Header=BB6_130 Depth=2
	v_cmp_lt_i32_e32 vcc_lo, -1, v2
	v_mov_b32_e32 v0, 0x7c
	s_delay_alu instid0(VALU_DEP_1)
	v_cndmask_b32_e32 v96, 0xfc, v0, vcc_lo
; %bb.1037:                             ;   in Loop: Header=BB6_130 Depth=2
	s_or_b32 exec_lo, exec_lo, s40
.LBB6_1038:                             ;   in Loop: Header=BB6_130 Depth=2
	s_delay_alu instid0(SALU_CYCLE_1) | instskip(SKIP_2) | instid1(VALU_DEP_1)
	s_or_b32 exec_lo, exec_lo, s10
	v_dual_mov_b32 v3, 0 :: v_dual_lshrrev_b32 v0, 16, v13
	s_mov_b32 s10, exec_lo
	v_and_b32_e32 v2, 0xff, v0
	s_delay_alu instid0(VALU_DEP_1)
	v_cmpx_ne_u16_e32 0, v2
	s_cbranch_execz .LBB6_1048
; %bb.1039:                             ;   in Loop: Header=BB6_130 Depth=2
	v_bfrev_b32_e32 v3, 1
	s_mov_b32 s40, exec_lo
	v_cmpx_ne_u16_e32 0x80, v2
	s_cbranch_execz .LBB6_1047
; %bb.1040:                             ;   in Loop: Header=BB6_130 Depth=2
	v_and_b32_e32 v3, 0x7c0000, v13
	v_bfe_u32 v2, v13, 16, 2
	s_delay_alu instid0(VALU_DEP_2) | instskip(SKIP_1) | instid1(SALU_CYCLE_1)
	v_cmp_ne_u32_e32 vcc_lo, 0x7c0000, v3
                                        ; implicit-def: $vgpr3
	s_and_saveexec_b32 s41, vcc_lo
	s_xor_b32 s41, exec_lo, s41
	s_cbranch_execz .LBB6_1044
; %bb.1041:                             ;   in Loop: Header=BB6_130 Depth=2
	v_bfe_u32 v3, v13, 18, 5
	s_mov_b32 s42, exec_lo
	s_delay_alu instid0(VALU_DEP_1)
	v_cmpx_eq_u32_e32 0, v3
; %bb.1042:                             ;   in Loop: Header=BB6_130 Depth=2
	v_clz_i32_u32_e32 v2, v2
	s_delay_alu instid0(VALU_DEP_1) | instskip(NEXT) | instid1(VALU_DEP_1)
	v_min_u32_e32 v4, 32, v2
	v_subrev_nc_u32_e32 v2, 29, v4
	s_delay_alu instid0(VALU_DEP_1) | instskip(NEXT) | instid1(VALU_DEP_1)
	v_lshlrev_b64_e32 v[2:3], v2, v[0:1]
	v_dual_sub_nc_u32 v3, 30, v4 :: v_dual_bitop2_b32 v2, 3, v2 bitop3:0x40
; %bb.1043:                             ;   in Loop: Header=BB6_130 Depth=2
	s_or_b32 exec_lo, exec_lo, s42
	v_lshlrev_b32_e32 v0, 24, v0
	s_delay_alu instid0(VALU_DEP_1) | instskip(NEXT) | instid1(VALU_DEP_1)
	v_and_b32_e32 v0, 0x80000000, v0
	v_lshl_add_u32 v0, v3, 23, v0
	s_delay_alu instid0(VALU_DEP_1) | instskip(NEXT) | instid1(VALU_DEP_1)
	v_lshl_or_b32 v0, v2, 21, v0
                                        ; implicit-def: $vgpr2
	v_add_nc_u32_e32 v3, 0x38000000, v0
                                        ; implicit-def: $vgpr0
.LBB6_1044:                             ;   in Loop: Header=BB6_130 Depth=2
	s_and_not1_saveexec_b32 s41, s41
; %bb.1045:                             ;   in Loop: Header=BB6_130 Depth=2
	v_bfe_i32 v0, v0, 0, 8
	s_delay_alu instid0(VALU_DEP_1) | instskip(SKIP_1) | instid1(VALU_DEP_1)
	v_cmp_lt_i16_e32 vcc_lo, -1, v0
	v_mov_b32_e32 v0, 0x7f800000
	v_cndmask_b32_e32 v0, 0xff800000, v0, vcc_lo
	v_cmp_eq_u32_e32 vcc_lo, 0, v2
	s_delay_alu instid0(VALU_DEP_2)
	v_cndmask_b32_e32 v3, 0x7f800001, v0, vcc_lo
; %bb.1046:                             ;   in Loop: Header=BB6_130 Depth=2
	s_or_b32 exec_lo, exec_lo, s41
.LBB6_1047:                             ;   in Loop: Header=BB6_130 Depth=2
	s_delay_alu instid0(SALU_CYCLE_1)
	s_or_b32 exec_lo, exec_lo, s40
.LBB6_1048:                             ;   in Loop: Header=BB6_130 Depth=2
	s_delay_alu instid0(SALU_CYCLE_1) | instskip(NEXT) | instid1(VALU_DEP_1)
	s_or_b32 exec_lo, exec_lo, s10
	v_dual_mul_f32 v2, s29, v3 :: v_dual_mov_b32 v5, v1
                                        ; implicit-def: $vgpr117
	s_mov_b32 s10, exec_lo
	s_delay_alu instid0(VALU_DEP_1) | instskip(SKIP_2) | instid1(VALU_DEP_3)
	v_and_b32_e32 v4, 0x7f800000, v2
	v_and_b32_e32 v0, 0x7fffff, v2
	v_lshrrev_b32_e32 v3, 24, v2
	v_cmpx_ne_u64_e32 0x7f800000, v[4:5]
	s_xor_b32 s40, exec_lo, s10
	s_cbranch_execz .LBB6_1062
; %bb.1049:                             ;   in Loop: Header=BB6_130 Depth=2
	v_and_b32_e32 v4, 0x7fffffff, v2
	v_mov_b32_e32 v5, v1
	v_and_b32_e32 v8, 0x80, v3
                                        ; implicit-def: $vgpr117
	s_mov_b32 s10, exec_lo
	s_delay_alu instid0(VALU_DEP_2)
	v_cmpx_gt_u64_e32 0x47600001, v[4:5]
	s_xor_b32 s41, exec_lo, s10
	s_cbranch_execz .LBB6_1059
; %bb.1050:                             ;   in Loop: Header=BB6_130 Depth=2
	v_mov_b32_e32 v117, 0
	s_mov_b32 s42, exec_lo
	v_cmpx_ne_u32_e32 0, v2
	s_cbranch_execz .LBB6_1058
; %bb.1051:                             ;   in Loop: Header=BB6_130 Depth=2
	v_bfe_u32 v10, v2, 23, 8
	v_or_b32_e32 v4, 0x800000, v0
	s_mov_b32 s43, exec_lo
	s_delay_alu instid0(VALU_DEP_2) | instskip(SKIP_1) | instid1(VALU_DEP_2)
	v_dual_mov_b32 v5, v1 :: v_dual_sub_nc_u32 v2, 0x71, v10
	v_cmp_gt_u32_e32 vcc_lo, 0x72, v10
	v_cndmask_b32_e32 v2, 0, v2, vcc_lo
	v_cmp_eq_u32_e32 vcc_lo, 0, v10
	s_delay_alu instid0(VALU_DEP_2) | instskip(NEXT) | instid1(VALU_DEP_1)
	v_cndmask_b32_e64 v11, v2, 0x70, vcc_lo
	v_dual_cndmask_b32 v4, v4, v0, vcc_lo :: v_dual_add_nc_u32 v2, 21, v11
	v_add_nc_u32_e32 v14, 20, v11
	s_delay_alu instid0(VALU_DEP_2) | instskip(NEXT) | instid1(VALU_DEP_2)
	v_lshlrev_b64_e64 v[2:3], v2, -1
	v_lshlrev_b64_e64 v[14:15], v14, 1
	s_delay_alu instid0(VALU_DEP_2) | instskip(NEXT) | instid1(VALU_DEP_3)
	v_bfi_b32 v17, v3, 0, 0
	v_bfi_b32 v16, v2, 0, v4
	v_lshrrev_b64 v[2:3], v11, v[4:5]
	s_delay_alu instid0(VALU_DEP_1) | instskip(NEXT) | instid1(VALU_DEP_3)
	v_mov_b64_e32 v[4:5], v[2:3]
	v_cmpx_eq_u64_e64 v[16:17], v[14:15]
; %bb.1052:                             ;   in Loop: Header=BB6_130 Depth=2
	v_bfe_u32 v4, v2, 21, 1
	v_mov_b32_e32 v5, v1
	s_delay_alu instid0(VALU_DEP_1) | instskip(NEXT) | instid1(VALU_DEP_1)
	v_add_nc_u64_e32 v[4:5], v[2:3], v[4:5]
	v_add_nc_u64_e32 v[4:5], -1, v[4:5]
; %bb.1053:                             ;   in Loop: Header=BB6_130 Depth=2
	s_or_b32 exec_lo, exec_lo, s43
	v_add_nc_u32_e32 v0, 0xffffff81, v10
	v_lshrrev_b32_e32 v3, 23, v2
	s_mov_b32 s10, exec_lo
	s_delay_alu instid0(VALU_DEP_2) | instskip(NEXT) | instid1(VALU_DEP_1)
	v_cndmask_b32_e64 v0, v0, 0xffffff82, vcc_lo
	v_add3_u32 v5, v11, v0, v3
	v_and_b32_e32 v0, 0x1fffff, v4
                                        ; implicit-def: $vgpr4
	s_delay_alu instid0(VALU_DEP_1) | instskip(NEXT) | instid1(VALU_DEP_1)
	v_dual_add_nc_u32 v10, 14, v5 :: v_dual_add_nc_u32 v0, v0, v2
                                        ; implicit-def: $vgpr2_vgpr3
	v_cmpx_ne_u32_e32 0, v10
	s_xor_b32 s10, exec_lo, s10
; %bb.1054:                             ;   in Loop: Header=BB6_130 Depth=2
	s_delay_alu instid0(VALU_DEP_2) | instskip(SKIP_1) | instid1(VALU_DEP_1)
	v_cmp_lt_u64_e32 vcc_lo, 0xffffff, v[0:1]
	v_add_nc_u32_e32 v2, 15, v5
	v_cndmask_b32_e32 v4, v10, v2, vcc_lo
	v_cndmask_b32_e64 v2, 0, 1, vcc_lo
	s_delay_alu instid0(VALU_DEP_1)
	v_lshrrev_b64 v[2:3], v2, v[0:1]
; %bb.1055:                             ;   in Loop: Header=BB6_130 Depth=2
	s_and_not1_saveexec_b32 s10, s10
; %bb.1056:                             ;   in Loop: Header=BB6_130 Depth=2
	v_mov_b64_e32 v[2:3], v[0:1]
	v_bfe_u32 v4, v0, 23, 1
; %bb.1057:                             ;   in Loop: Header=BB6_130 Depth=2
	s_or_b32 exec_lo, exec_lo, s10
	s_delay_alu instid0(VALU_DEP_2) | instskip(NEXT) | instid1(VALU_DEP_2)
	v_lshrrev_b64 v[2:3], 21, v[2:3]
	v_cmp_gt_i32_e32 vcc_lo, 32, v4
	v_min_i32_e32 v0, 31, v4
	v_cmp_eq_u32_e64 s10, 0, v4
	s_delay_alu instid0(VALU_DEP_2) | instskip(SKIP_1) | instid1(VALU_DEP_2)
	v_dual_cndmask_b32 v3, 0, v3 :: v_dual_lshlrev_b32 v0, 2, v0
	v_cndmask_b32_e32 v2, 3, v2, vcc_lo
	v_and_b32_e32 v0, 0xfc, v0
	s_delay_alu instid0(VALU_DEP_2) | instskip(NEXT) | instid1(VALU_DEP_2)
	v_cmp_eq_u64_e32 vcc_lo, 0, v[2:3]
	v_and_or_b32 v0, v2, 3, v0
	s_and_b32 s10, s10, vcc_lo
	s_delay_alu instid0(VALU_DEP_1) | instid1(SALU_CYCLE_1)
	v_cndmask_b32_e64 v0, v0, 0, s10
	s_delay_alu instid0(VALU_DEP_1)
	v_or_b32_e32 v117, v0, v8
.LBB6_1058:                             ;   in Loop: Header=BB6_130 Depth=2
	s_or_b32 exec_lo, exec_lo, s42
                                        ; implicit-def: $vgpr8
.LBB6_1059:                             ;   in Loop: Header=BB6_130 Depth=2
	s_and_not1_saveexec_b32 s10, s41
; %bb.1060:                             ;   in Loop: Header=BB6_130 Depth=2
	v_or_b32_e32 v117, 0x7b, v8
; %bb.1061:                             ;   in Loop: Header=BB6_130 Depth=2
	s_or_b32 exec_lo, exec_lo, s10
                                        ; implicit-def: $vgpr2
                                        ; implicit-def: $vgpr3
.LBB6_1062:                             ;   in Loop: Header=BB6_130 Depth=2
	s_and_not1_saveexec_b32 s10, s40
	s_cbranch_execz .LBB6_1068
; %bb.1063:                             ;   in Loop: Header=BB6_130 Depth=2
	s_mov_b32 s40, exec_lo
                                        ; implicit-def: $vgpr117
	v_cmpx_ne_u64_e32 0, v[0:1]
	s_xor_b32 s40, exec_lo, s40
; %bb.1064:                             ;   in Loop: Header=BB6_130 Depth=2
	v_or_b32_e32 v117, 0x7f, v3
                                        ; implicit-def: $vgpr2
; %bb.1065:                             ;   in Loop: Header=BB6_130 Depth=2
	s_and_not1_saveexec_b32 s40, s40
; %bb.1066:                             ;   in Loop: Header=BB6_130 Depth=2
	v_cmp_lt_i32_e32 vcc_lo, -1, v2
	v_mov_b32_e32 v0, 0x7c
	s_delay_alu instid0(VALU_DEP_1)
	v_cndmask_b32_e32 v117, 0xfc, v0, vcc_lo
; %bb.1067:                             ;   in Loop: Header=BB6_130 Depth=2
	s_or_b32 exec_lo, exec_lo, s40
.LBB6_1068:                             ;   in Loop: Header=BB6_130 Depth=2
	s_delay_alu instid0(SALU_CYCLE_1)
	s_or_b32 exec_lo, exec_lo, s10
	v_mov_b32_e32 v2, 0
	s_mov_b32 s10, exec_lo
	v_cmpx_lt_u64_e64 s[12:13], v[12:13]
	s_cbranch_execz .LBB6_1078
; %bb.1069:                             ;   in Loop: Header=BB6_130 Depth=2
	v_lshrrev_b32_e32 v0, 24, v13
	v_bfrev_b32_e32 v2, 1
	s_mov_b32 s40, exec_lo
	s_delay_alu instid0(VALU_DEP_2)
	v_cmpx_ne_u32_e32 0x80, v0
	s_cbranch_execz .LBB6_1077
; %bb.1070:                             ;   in Loop: Header=BB6_130 Depth=2
	v_and_b32_e32 v2, 0x7c000000, v13
	v_bfe_u32 v3, v13, 24, 2
	s_delay_alu instid0(VALU_DEP_2) | instskip(SKIP_1) | instid1(SALU_CYCLE_1)
	v_cmp_ne_u32_e32 vcc_lo, 0x7c000000, v2
                                        ; implicit-def: $vgpr2
	s_and_saveexec_b32 s41, vcc_lo
	s_xor_b32 s41, exec_lo, s41
	s_cbranch_execz .LBB6_1074
; %bb.1071:                             ;   in Loop: Header=BB6_130 Depth=2
	v_bfe_u32 v2, v13, 26, 5
	s_mov_b32 s42, exec_lo
	s_delay_alu instid0(VALU_DEP_1)
	v_cmpx_eq_u32_e32 0, v2
; %bb.1072:                             ;   in Loop: Header=BB6_130 Depth=2
	v_clz_i32_u32_e32 v2, v3
	s_delay_alu instid0(VALU_DEP_1) | instskip(NEXT) | instid1(VALU_DEP_1)
	v_min_u32_e32 v2, 32, v2
	v_subrev_nc_u32_e32 v3, 29, v2
	s_delay_alu instid0(VALU_DEP_1) | instskip(NEXT) | instid1(VALU_DEP_1)
	v_lshlrev_b64_e32 v[4:5], v3, v[0:1]
	v_dual_sub_nc_u32 v2, 30, v2 :: v_dual_bitop2_b32 v3, 3, v4 bitop3:0x40
; %bb.1073:                             ;   in Loop: Header=BB6_130 Depth=2
	s_or_b32 exec_lo, exec_lo, s42
	v_and_b32_e32 v0, 0x80000000, v13
                                        ; implicit-def: $vgpr12_vgpr13
	s_delay_alu instid0(VALU_DEP_1) | instskip(NEXT) | instid1(VALU_DEP_1)
	v_lshl_add_u32 v0, v2, 23, v0
	v_lshl_or_b32 v0, v3, 21, v0
                                        ; implicit-def: $vgpr3
	s_delay_alu instid0(VALU_DEP_1)
	v_add_nc_u32_e32 v2, 0x38000000, v0
.LBB6_1074:                             ;   in Loop: Header=BB6_130 Depth=2
	s_and_not1_saveexec_b32 s41, s41
; %bb.1075:                             ;   in Loop: Header=BB6_130 Depth=2
	v_cmp_lt_i64_e32 vcc_lo, -1, v[12:13]
	v_mov_b32_e32 v0, 0x7f800000
	s_delay_alu instid0(VALU_DEP_1) | instskip(SKIP_1) | instid1(VALU_DEP_2)
	v_cndmask_b32_e32 v0, 0xff800000, v0, vcc_lo
	v_cmp_eq_u32_e32 vcc_lo, 0, v3
	v_cndmask_b32_e32 v2, 0x7f800001, v0, vcc_lo
; %bb.1076:                             ;   in Loop: Header=BB6_130 Depth=2
	s_or_b32 exec_lo, exec_lo, s41
.LBB6_1077:                             ;   in Loop: Header=BB6_130 Depth=2
	s_delay_alu instid0(SALU_CYCLE_1)
	s_or_b32 exec_lo, exec_lo, s40
.LBB6_1078:                             ;   in Loop: Header=BB6_130 Depth=2
	s_delay_alu instid0(SALU_CYCLE_1) | instskip(NEXT) | instid1(VALU_DEP_1)
	s_or_b32 exec_lo, exec_lo, s10
	v_dual_mul_f32 v2, s29, v2 :: v_dual_mov_b32 v5, v1
                                        ; implicit-def: $vgpr40
	s_mov_b32 s10, exec_lo
	s_delay_alu instid0(VALU_DEP_1) | instskip(SKIP_2) | instid1(VALU_DEP_3)
	v_and_b32_e32 v4, 0x7f800000, v2
	v_and_b32_e32 v0, 0x7fffff, v2
	v_lshrrev_b32_e32 v3, 24, v2
	v_cmpx_ne_u64_e32 0x7f800000, v[4:5]
	s_xor_b32 s40, exec_lo, s10
	s_cbranch_execz .LBB6_1092
; %bb.1079:                             ;   in Loop: Header=BB6_130 Depth=2
	v_and_b32_e32 v4, 0x7fffffff, v2
	v_mov_b32_e32 v5, v1
	v_and_b32_e32 v8, 0x80, v3
                                        ; implicit-def: $vgpr40
	s_mov_b32 s10, exec_lo
	s_delay_alu instid0(VALU_DEP_2)
	v_cmpx_gt_u64_e32 0x47600001, v[4:5]
	s_xor_b32 s41, exec_lo, s10
	s_cbranch_execz .LBB6_1089
; %bb.1080:                             ;   in Loop: Header=BB6_130 Depth=2
	v_mov_b32_e32 v40, 0
	s_mov_b32 s42, exec_lo
	v_cmpx_ne_u32_e32 0, v2
	s_cbranch_execz .LBB6_1088
; %bb.1081:                             ;   in Loop: Header=BB6_130 Depth=2
	v_bfe_u32 v10, v2, 23, 8
	v_or_b32_e32 v4, 0x800000, v0
	s_mov_b32 s43, exec_lo
	s_delay_alu instid0(VALU_DEP_2) | instskip(SKIP_1) | instid1(VALU_DEP_2)
	v_dual_mov_b32 v5, v1 :: v_dual_sub_nc_u32 v2, 0x71, v10
	v_cmp_gt_u32_e32 vcc_lo, 0x72, v10
	v_cndmask_b32_e32 v2, 0, v2, vcc_lo
	v_cmp_eq_u32_e32 vcc_lo, 0, v10
	s_delay_alu instid0(VALU_DEP_2) | instskip(NEXT) | instid1(VALU_DEP_1)
	v_cndmask_b32_e64 v11, v2, 0x70, vcc_lo
	v_dual_cndmask_b32 v4, v4, v0, vcc_lo :: v_dual_add_nc_u32 v2, 21, v11
	v_add_nc_u32_e32 v12, 20, v11
	s_delay_alu instid0(VALU_DEP_2) | instskip(NEXT) | instid1(VALU_DEP_2)
	v_lshlrev_b64_e64 v[2:3], v2, -1
	v_lshlrev_b64_e64 v[12:13], v12, 1
	s_delay_alu instid0(VALU_DEP_2) | instskip(NEXT) | instid1(VALU_DEP_3)
	v_bfi_b32 v15, v3, 0, 0
	v_bfi_b32 v14, v2, 0, v4
	v_lshrrev_b64 v[2:3], v11, v[4:5]
	s_delay_alu instid0(VALU_DEP_1) | instskip(NEXT) | instid1(VALU_DEP_3)
	v_mov_b64_e32 v[4:5], v[2:3]
	v_cmpx_eq_u64_e64 v[14:15], v[12:13]
; %bb.1082:                             ;   in Loop: Header=BB6_130 Depth=2
	v_bfe_u32 v4, v2, 21, 1
	v_mov_b32_e32 v5, v1
	s_delay_alu instid0(VALU_DEP_1) | instskip(NEXT) | instid1(VALU_DEP_1)
	v_add_nc_u64_e32 v[4:5], v[2:3], v[4:5]
	v_add_nc_u64_e32 v[4:5], -1, v[4:5]
; %bb.1083:                             ;   in Loop: Header=BB6_130 Depth=2
	s_or_b32 exec_lo, exec_lo, s43
	v_add_nc_u32_e32 v0, 0xffffff81, v10
	v_lshrrev_b32_e32 v3, 23, v2
	s_mov_b32 s10, exec_lo
	s_delay_alu instid0(VALU_DEP_2) | instskip(NEXT) | instid1(VALU_DEP_1)
	v_cndmask_b32_e64 v0, v0, 0xffffff82, vcc_lo
	v_add3_u32 v5, v11, v0, v3
	v_and_b32_e32 v0, 0x1fffff, v4
                                        ; implicit-def: $vgpr4
	s_delay_alu instid0(VALU_DEP_1) | instskip(NEXT) | instid1(VALU_DEP_1)
	v_dual_add_nc_u32 v10, 14, v5 :: v_dual_add_nc_u32 v0, v0, v2
                                        ; implicit-def: $vgpr2_vgpr3
	v_cmpx_ne_u32_e32 0, v10
	s_xor_b32 s10, exec_lo, s10
; %bb.1084:                             ;   in Loop: Header=BB6_130 Depth=2
	s_delay_alu instid0(VALU_DEP_2) | instskip(SKIP_1) | instid1(VALU_DEP_1)
	v_cmp_lt_u64_e32 vcc_lo, 0xffffff, v[0:1]
	v_add_nc_u32_e32 v2, 15, v5
	v_cndmask_b32_e32 v4, v10, v2, vcc_lo
	v_cndmask_b32_e64 v2, 0, 1, vcc_lo
	s_delay_alu instid0(VALU_DEP_1)
	v_lshrrev_b64 v[2:3], v2, v[0:1]
; %bb.1085:                             ;   in Loop: Header=BB6_130 Depth=2
	s_and_not1_saveexec_b32 s10, s10
; %bb.1086:                             ;   in Loop: Header=BB6_130 Depth=2
	v_mov_b64_e32 v[2:3], v[0:1]
	v_bfe_u32 v4, v0, 23, 1
; %bb.1087:                             ;   in Loop: Header=BB6_130 Depth=2
	s_or_b32 exec_lo, exec_lo, s10
	s_delay_alu instid0(VALU_DEP_2) | instskip(NEXT) | instid1(VALU_DEP_2)
	v_lshrrev_b64 v[2:3], 21, v[2:3]
	v_cmp_gt_i32_e32 vcc_lo, 32, v4
	v_min_i32_e32 v0, 31, v4
	v_cmp_eq_u32_e64 s10, 0, v4
	s_delay_alu instid0(VALU_DEP_2) | instskip(SKIP_1) | instid1(VALU_DEP_2)
	v_dual_cndmask_b32 v3, 0, v3 :: v_dual_lshlrev_b32 v0, 2, v0
	v_cndmask_b32_e32 v2, 3, v2, vcc_lo
	v_and_b32_e32 v0, 0xfc, v0
	s_delay_alu instid0(VALU_DEP_2) | instskip(NEXT) | instid1(VALU_DEP_2)
	v_cmp_eq_u64_e32 vcc_lo, 0, v[2:3]
	v_and_or_b32 v0, v2, 3, v0
	s_and_b32 s10, s10, vcc_lo
	s_delay_alu instid0(VALU_DEP_1) | instid1(SALU_CYCLE_1)
	v_cndmask_b32_e64 v0, v0, 0, s10
	s_delay_alu instid0(VALU_DEP_1)
	v_or_b32_e32 v40, v0, v8
.LBB6_1088:                             ;   in Loop: Header=BB6_130 Depth=2
	s_or_b32 exec_lo, exec_lo, s42
                                        ; implicit-def: $vgpr8
.LBB6_1089:                             ;   in Loop: Header=BB6_130 Depth=2
	s_and_not1_saveexec_b32 s10, s41
; %bb.1090:                             ;   in Loop: Header=BB6_130 Depth=2
	v_or_b32_e32 v40, 0x7b, v8
; %bb.1091:                             ;   in Loop: Header=BB6_130 Depth=2
	s_or_b32 exec_lo, exec_lo, s10
                                        ; implicit-def: $vgpr2
                                        ; implicit-def: $vgpr3
.LBB6_1092:                             ;   in Loop: Header=BB6_130 Depth=2
	s_and_not1_saveexec_b32 s10, s40
	s_cbranch_execz .LBB6_1098
; %bb.1093:                             ;   in Loop: Header=BB6_130 Depth=2
	s_mov_b32 s40, exec_lo
                                        ; implicit-def: $vgpr40
	v_cmpx_ne_u64_e32 0, v[0:1]
	s_xor_b32 s40, exec_lo, s40
; %bb.1094:                             ;   in Loop: Header=BB6_130 Depth=2
	v_or_b32_e32 v40, 0x7f, v3
                                        ; implicit-def: $vgpr2
; %bb.1095:                             ;   in Loop: Header=BB6_130 Depth=2
	s_and_not1_saveexec_b32 s40, s40
; %bb.1096:                             ;   in Loop: Header=BB6_130 Depth=2
	v_cmp_lt_i32_e32 vcc_lo, -1, v2
	v_mov_b32_e32 v0, 0x7c
	s_delay_alu instid0(VALU_DEP_1)
	v_cndmask_b32_e32 v40, 0xfc, v0, vcc_lo
; %bb.1097:                             ;   in Loop: Header=BB6_130 Depth=2
	s_or_b32 exec_lo, exec_lo, s40
.LBB6_1098:                             ;   in Loop: Header=BB6_130 Depth=2
	s_delay_alu instid0(SALU_CYCLE_1) | instskip(SKIP_3) | instid1(VALU_DEP_1)
	s_or_b32 exec_lo, exec_lo, s10
	global_load_b128 v[10:13], v[102:103], off offset:1024 th:TH_LOAD_NT
	s_wait_loadcnt 0x0
	v_and_b32_e32 v0, 0xff, v10
	v_cmp_ne_u16_e32 vcc_lo, 0, v0
	v_mov_b32_e32 v0, 0
	s_wait_xcnt 0x0
	s_and_saveexec_b32 s10, vcc_lo
	s_cbranch_execz .LBB6_1108
; %bb.1099:                             ;   in Loop: Header=BB6_130 Depth=2
	v_bfe_i32 v3, v10, 0, 8
	v_bfrev_b32_e32 v0, 1
	s_mov_b32 s40, exec_lo
	s_delay_alu instid0(VALU_DEP_2)
	v_cmpx_ne_u16_e32 0xff80, v3
	s_cbranch_execz .LBB6_1107
; %bb.1100:                             ;   in Loop: Header=BB6_130 Depth=2
	v_and_b32_e32 v0, 0x7c, v10
	v_and_b32_e32 v2, 3, v10
	s_delay_alu instid0(VALU_DEP_2) | instskip(SKIP_1) | instid1(SALU_CYCLE_1)
	v_cmp_ne_u32_e32 vcc_lo, 0x7c, v0
                                        ; implicit-def: $vgpr0
	s_and_saveexec_b32 s41, vcc_lo
	s_xor_b32 s41, exec_lo, s41
	s_cbranch_execz .LBB6_1104
; %bb.1101:                             ;   in Loop: Header=BB6_130 Depth=2
	v_bfe_u32 v0, v10, 2, 5
	s_mov_b32 s42, exec_lo
	s_delay_alu instid0(VALU_DEP_1)
	v_cmpx_eq_u32_e32 0, v0
; %bb.1102:                             ;   in Loop: Header=BB6_130 Depth=2
	v_clz_i32_u32_e32 v0, v2
	s_delay_alu instid0(VALU_DEP_1) | instskip(NEXT) | instid1(VALU_DEP_1)
	v_min_u32_e32 v0, 32, v0
	v_subrev_nc_u32_e32 v2, 29, v0
	s_delay_alu instid0(VALU_DEP_1) | instskip(NEXT) | instid1(VALU_DEP_1)
	v_lshlrev_b64_e32 v[2:3], v2, v[10:11]
	v_dual_sub_nc_u32 v0, 30, v0 :: v_dual_bitop2_b32 v2, 3, v2 bitop3:0x40
; %bb.1103:                             ;   in Loop: Header=BB6_130 Depth=2
	s_or_b32 exec_lo, exec_lo, s42
	v_lshlrev_b32_e32 v3, 24, v10
	s_delay_alu instid0(VALU_DEP_1) | instskip(NEXT) | instid1(VALU_DEP_1)
	v_and_b32_e32 v3, 0x80000000, v3
	v_lshl_add_u32 v0, v0, 23, v3
                                        ; implicit-def: $vgpr3
	s_delay_alu instid0(VALU_DEP_1) | instskip(NEXT) | instid1(VALU_DEP_1)
	v_lshl_or_b32 v0, v2, 21, v0
                                        ; implicit-def: $vgpr2
	v_add_nc_u32_e32 v0, 0x38000000, v0
.LBB6_1104:                             ;   in Loop: Header=BB6_130 Depth=2
	s_and_not1_saveexec_b32 s41, s41
; %bb.1105:                             ;   in Loop: Header=BB6_130 Depth=2
	v_cmp_lt_i16_e32 vcc_lo, -1, v3
	v_mov_b32_e32 v0, 0x7f800000
	s_delay_alu instid0(VALU_DEP_1) | instskip(SKIP_1) | instid1(VALU_DEP_2)
	v_cndmask_b32_e32 v0, 0xff800000, v0, vcc_lo
	v_cmp_eq_u32_e32 vcc_lo, 0, v2
	v_cndmask_b32_e32 v0, 0x7f800001, v0, vcc_lo
; %bb.1106:                             ;   in Loop: Header=BB6_130 Depth=2
	s_or_b32 exec_lo, exec_lo, s41
.LBB6_1107:                             ;   in Loop: Header=BB6_130 Depth=2
	s_delay_alu instid0(SALU_CYCLE_1)
	s_or_b32 exec_lo, exec_lo, s40
.LBB6_1108:                             ;   in Loop: Header=BB6_130 Depth=2
	s_delay_alu instid0(SALU_CYCLE_1) | instskip(NEXT) | instid1(VALU_DEP_1)
	s_or_b32 exec_lo, exec_lo, s10
	v_dual_mul_f32 v2, s29, v0 :: v_dual_mov_b32 v5, v1
                                        ; implicit-def: $vgpr80
	s_mov_b32 s10, exec_lo
	s_delay_alu instid0(VALU_DEP_1) | instskip(SKIP_2) | instid1(VALU_DEP_3)
	v_and_b32_e32 v4, 0x7f800000, v2
	v_and_b32_e32 v0, 0x7fffff, v2
	v_lshrrev_b32_e32 v3, 24, v2
	v_cmpx_ne_u64_e32 0x7f800000, v[4:5]
	s_xor_b32 s40, exec_lo, s10
	s_cbranch_execz .LBB6_1122
; %bb.1109:                             ;   in Loop: Header=BB6_130 Depth=2
	v_and_b32_e32 v4, 0x7fffffff, v2
	v_mov_b32_e32 v5, v1
	v_and_b32_e32 v8, 0x80, v3
                                        ; implicit-def: $vgpr80
	s_mov_b32 s10, exec_lo
	s_delay_alu instid0(VALU_DEP_2)
	v_cmpx_gt_u64_e32 0x47600001, v[4:5]
	s_xor_b32 s41, exec_lo, s10
	s_cbranch_execz .LBB6_1119
; %bb.1110:                             ;   in Loop: Header=BB6_130 Depth=2
	v_mov_b32_e32 v80, 0
	s_mov_b32 s42, exec_lo
	v_cmpx_ne_u32_e32 0, v2
	s_cbranch_execz .LBB6_1118
; %bb.1111:                             ;   in Loop: Header=BB6_130 Depth=2
	v_bfe_u32 v14, v2, 23, 8
	v_or_b32_e32 v4, 0x800000, v0
	s_mov_b32 s43, exec_lo
	s_delay_alu instid0(VALU_DEP_2) | instskip(SKIP_1) | instid1(VALU_DEP_2)
	v_dual_mov_b32 v5, v1 :: v_dual_sub_nc_u32 v2, 0x71, v14
	v_cmp_gt_u32_e32 vcc_lo, 0x72, v14
	v_cndmask_b32_e32 v2, 0, v2, vcc_lo
	v_cmp_eq_u32_e32 vcc_lo, 0, v14
	s_delay_alu instid0(VALU_DEP_2) | instskip(NEXT) | instid1(VALU_DEP_1)
	v_cndmask_b32_e64 v15, v2, 0x70, vcc_lo
	v_dual_cndmask_b32 v4, v4, v0, vcc_lo :: v_dual_add_nc_u32 v2, 21, v15
	v_add_nc_u32_e32 v16, 20, v15
	s_delay_alu instid0(VALU_DEP_2) | instskip(NEXT) | instid1(VALU_DEP_2)
	v_lshlrev_b64_e64 v[2:3], v2, -1
	v_lshlrev_b64_e64 v[16:17], v16, 1
	s_delay_alu instid0(VALU_DEP_2) | instskip(NEXT) | instid1(VALU_DEP_3)
	v_bfi_b32 v19, v3, 0, 0
	v_bfi_b32 v18, v2, 0, v4
	v_lshrrev_b64 v[2:3], v15, v[4:5]
	s_delay_alu instid0(VALU_DEP_1) | instskip(NEXT) | instid1(VALU_DEP_3)
	v_mov_b64_e32 v[4:5], v[2:3]
	v_cmpx_eq_u64_e64 v[18:19], v[16:17]
; %bb.1112:                             ;   in Loop: Header=BB6_130 Depth=2
	v_bfe_u32 v4, v2, 21, 1
	v_mov_b32_e32 v5, v1
	s_delay_alu instid0(VALU_DEP_1) | instskip(NEXT) | instid1(VALU_DEP_1)
	v_add_nc_u64_e32 v[4:5], v[2:3], v[4:5]
	v_add_nc_u64_e32 v[4:5], -1, v[4:5]
; %bb.1113:                             ;   in Loop: Header=BB6_130 Depth=2
	s_or_b32 exec_lo, exec_lo, s43
	v_add_nc_u32_e32 v0, 0xffffff81, v14
	v_lshrrev_b32_e32 v3, 23, v2
	s_mov_b32 s10, exec_lo
	s_delay_alu instid0(VALU_DEP_2) | instskip(NEXT) | instid1(VALU_DEP_1)
	v_cndmask_b32_e64 v0, v0, 0xffffff82, vcc_lo
	v_add3_u32 v5, v15, v0, v3
	v_and_b32_e32 v0, 0x1fffff, v4
                                        ; implicit-def: $vgpr4
	s_delay_alu instid0(VALU_DEP_1) | instskip(NEXT) | instid1(VALU_DEP_1)
	v_dual_add_nc_u32 v14, 14, v5 :: v_dual_add_nc_u32 v0, v0, v2
                                        ; implicit-def: $vgpr2_vgpr3
	v_cmpx_ne_u32_e32 0, v14
	s_xor_b32 s10, exec_lo, s10
; %bb.1114:                             ;   in Loop: Header=BB6_130 Depth=2
	s_delay_alu instid0(VALU_DEP_2) | instskip(SKIP_1) | instid1(VALU_DEP_1)
	v_cmp_lt_u64_e32 vcc_lo, 0xffffff, v[0:1]
	v_add_nc_u32_e32 v2, 15, v5
	v_cndmask_b32_e32 v4, v14, v2, vcc_lo
	v_cndmask_b32_e64 v2, 0, 1, vcc_lo
	s_delay_alu instid0(VALU_DEP_1)
	v_lshrrev_b64 v[2:3], v2, v[0:1]
; %bb.1115:                             ;   in Loop: Header=BB6_130 Depth=2
	s_and_not1_saveexec_b32 s10, s10
; %bb.1116:                             ;   in Loop: Header=BB6_130 Depth=2
	v_mov_b64_e32 v[2:3], v[0:1]
	v_bfe_u32 v4, v0, 23, 1
; %bb.1117:                             ;   in Loop: Header=BB6_130 Depth=2
	s_or_b32 exec_lo, exec_lo, s10
	s_delay_alu instid0(VALU_DEP_2) | instskip(NEXT) | instid1(VALU_DEP_2)
	v_lshrrev_b64 v[2:3], 21, v[2:3]
	v_cmp_gt_i32_e32 vcc_lo, 32, v4
	v_min_i32_e32 v0, 31, v4
	v_cmp_eq_u32_e64 s10, 0, v4
	s_delay_alu instid0(VALU_DEP_2) | instskip(SKIP_1) | instid1(VALU_DEP_2)
	v_dual_cndmask_b32 v3, 0, v3 :: v_dual_lshlrev_b32 v0, 2, v0
	v_cndmask_b32_e32 v2, 3, v2, vcc_lo
	v_and_b32_e32 v0, 0xfc, v0
	s_delay_alu instid0(VALU_DEP_2) | instskip(NEXT) | instid1(VALU_DEP_2)
	v_cmp_eq_u64_e32 vcc_lo, 0, v[2:3]
	v_and_or_b32 v0, v2, 3, v0
	s_and_b32 s10, s10, vcc_lo
	s_delay_alu instid0(VALU_DEP_1) | instid1(SALU_CYCLE_1)
	v_cndmask_b32_e64 v0, v0, 0, s10
	s_delay_alu instid0(VALU_DEP_1)
	v_or_b32_e32 v80, v0, v8
.LBB6_1118:                             ;   in Loop: Header=BB6_130 Depth=2
	s_or_b32 exec_lo, exec_lo, s42
                                        ; implicit-def: $vgpr8
.LBB6_1119:                             ;   in Loop: Header=BB6_130 Depth=2
	s_and_not1_saveexec_b32 s10, s41
; %bb.1120:                             ;   in Loop: Header=BB6_130 Depth=2
	v_or_b32_e32 v80, 0x7b, v8
; %bb.1121:                             ;   in Loop: Header=BB6_130 Depth=2
	s_or_b32 exec_lo, exec_lo, s10
                                        ; implicit-def: $vgpr2
                                        ; implicit-def: $vgpr3
.LBB6_1122:                             ;   in Loop: Header=BB6_130 Depth=2
	s_and_not1_saveexec_b32 s10, s40
	s_cbranch_execz .LBB6_1128
; %bb.1123:                             ;   in Loop: Header=BB6_130 Depth=2
	s_mov_b32 s40, exec_lo
                                        ; implicit-def: $vgpr80
	v_cmpx_ne_u64_e32 0, v[0:1]
	s_xor_b32 s40, exec_lo, s40
; %bb.1124:                             ;   in Loop: Header=BB6_130 Depth=2
	v_or_b32_e32 v80, 0x7f, v3
                                        ; implicit-def: $vgpr2
; %bb.1125:                             ;   in Loop: Header=BB6_130 Depth=2
	s_and_not1_saveexec_b32 s40, s40
; %bb.1126:                             ;   in Loop: Header=BB6_130 Depth=2
	v_cmp_lt_i32_e32 vcc_lo, -1, v2
	v_mov_b32_e32 v0, 0x7c
	s_delay_alu instid0(VALU_DEP_1)
	v_cndmask_b32_e32 v80, 0xfc, v0, vcc_lo
; %bb.1127:                             ;   in Loop: Header=BB6_130 Depth=2
	s_or_b32 exec_lo, exec_lo, s40
.LBB6_1128:                             ;   in Loop: Header=BB6_130 Depth=2
	s_delay_alu instid0(SALU_CYCLE_1) | instskip(SKIP_3) | instid1(VALU_DEP_2)
	s_or_b32 exec_lo, exec_lo, s10
	v_lshrrev_b16 v2, 8, v10
	v_mov_b32_e32 v3, 0
	s_mov_b32 s10, exec_lo
	v_cmpx_ne_u16_e32 0, v2
	s_cbranch_execz .LBB6_1138
; %bb.1129:                             ;   in Loop: Header=BB6_130 Depth=2
	v_bfrev_b32_e32 v3, 1
	s_mov_b32 s40, exec_lo
	v_cmpx_ne_u16_e32 0x80, v2
	s_cbranch_execz .LBB6_1137
; %bb.1130:                             ;   in Loop: Header=BB6_130 Depth=2
	v_and_b32_e32 v4, 0xffff, v2
	s_delay_alu instid0(VALU_DEP_1) | instskip(SKIP_1) | instid1(VALU_DEP_2)
	v_and_b32_e32 v3, 0x7c, v4
	v_and_b32_e32 v0, 3, v4
	v_cmp_ne_u32_e32 vcc_lo, 0x7c, v3
                                        ; implicit-def: $vgpr3
	s_and_saveexec_b32 s41, vcc_lo
	s_delay_alu instid0(SALU_CYCLE_1)
	s_xor_b32 s41, exec_lo, s41
	s_cbranch_execz .LBB6_1134
; %bb.1131:                             ;   in Loop: Header=BB6_130 Depth=2
	v_bfe_u32 v3, v4, 2, 5
	s_mov_b32 s42, exec_lo
	s_delay_alu instid0(VALU_DEP_1)
	v_cmpx_eq_u32_e32 0, v3
; %bb.1132:                             ;   in Loop: Header=BB6_130 Depth=2
	v_clz_i32_u32_e32 v0, v0
	v_mov_b32_e32 v3, v1
	s_delay_alu instid0(VALU_DEP_2) | instskip(NEXT) | instid1(VALU_DEP_1)
	v_min_u32_e32 v0, 32, v0
	v_subrev_nc_u32_e32 v4, 29, v0
	s_delay_alu instid0(VALU_DEP_1) | instskip(NEXT) | instid1(VALU_DEP_1)
	v_lshlrev_b64_e32 v[2:3], v4, v[2:3]
	v_dual_sub_nc_u32 v3, 30, v0 :: v_dual_bitop2_b32 v0, 3, v2 bitop3:0x40
; %bb.1133:                             ;   in Loop: Header=BB6_130 Depth=2
	s_or_b32 exec_lo, exec_lo, s42
	v_lshlrev_b32_e32 v2, 16, v10
	s_delay_alu instid0(VALU_DEP_1) | instskip(NEXT) | instid1(VALU_DEP_1)
	v_and_b32_e32 v2, 0x80000000, v2
	v_lshl_add_u32 v2, v3, 23, v2
	s_delay_alu instid0(VALU_DEP_1) | instskip(NEXT) | instid1(VALU_DEP_1)
	v_lshl_or_b32 v0, v0, 21, v2
	v_add_nc_u32_e32 v3, 0x38000000, v0
                                        ; implicit-def: $vgpr0
.LBB6_1134:                             ;   in Loop: Header=BB6_130 Depth=2
	s_and_not1_saveexec_b32 s41, s41
; %bb.1135:                             ;   in Loop: Header=BB6_130 Depth=2
	v_cmp_lt_i16_e32 vcc_lo, -1, v10
	v_mov_b32_e32 v2, 0x7f800000
	s_delay_alu instid0(VALU_DEP_1) | instskip(SKIP_1) | instid1(VALU_DEP_2)
	v_cndmask_b32_e32 v2, 0xff800000, v2, vcc_lo
	v_cmp_eq_u32_e32 vcc_lo, 0, v0
	v_cndmask_b32_e32 v3, 0x7f800001, v2, vcc_lo
; %bb.1136:                             ;   in Loop: Header=BB6_130 Depth=2
	s_or_b32 exec_lo, exec_lo, s41
.LBB6_1137:                             ;   in Loop: Header=BB6_130 Depth=2
	s_delay_alu instid0(SALU_CYCLE_1)
	s_or_b32 exec_lo, exec_lo, s40
.LBB6_1138:                             ;   in Loop: Header=BB6_130 Depth=2
	s_delay_alu instid0(SALU_CYCLE_1) | instskip(NEXT) | instid1(VALU_DEP_1)
	s_or_b32 exec_lo, exec_lo, s10
	v_dual_mul_f32 v2, s29, v3 :: v_dual_mov_b32 v5, v1
                                        ; implicit-def: $vgpr82
	s_mov_b32 s10, exec_lo
	s_delay_alu instid0(VALU_DEP_1) | instskip(SKIP_2) | instid1(VALU_DEP_3)
	v_and_b32_e32 v4, 0x7f800000, v2
	v_and_b32_e32 v0, 0x7fffff, v2
	v_lshrrev_b32_e32 v3, 24, v2
	v_cmpx_ne_u64_e32 0x7f800000, v[4:5]
	s_xor_b32 s40, exec_lo, s10
	s_cbranch_execz .LBB6_1152
; %bb.1139:                             ;   in Loop: Header=BB6_130 Depth=2
	v_and_b32_e32 v4, 0x7fffffff, v2
	v_mov_b32_e32 v5, v1
	v_and_b32_e32 v8, 0x80, v3
                                        ; implicit-def: $vgpr82
	s_mov_b32 s10, exec_lo
	s_delay_alu instid0(VALU_DEP_2)
	v_cmpx_gt_u64_e32 0x47600001, v[4:5]
	s_xor_b32 s41, exec_lo, s10
	s_cbranch_execz .LBB6_1149
; %bb.1140:                             ;   in Loop: Header=BB6_130 Depth=2
	v_mov_b32_e32 v82, 0
	s_mov_b32 s42, exec_lo
	v_cmpx_ne_u32_e32 0, v2
	s_cbranch_execz .LBB6_1148
; %bb.1141:                             ;   in Loop: Header=BB6_130 Depth=2
	v_bfe_u32 v14, v2, 23, 8
	v_or_b32_e32 v4, 0x800000, v0
	s_mov_b32 s43, exec_lo
	s_delay_alu instid0(VALU_DEP_2) | instskip(SKIP_1) | instid1(VALU_DEP_2)
	v_dual_mov_b32 v5, v1 :: v_dual_sub_nc_u32 v2, 0x71, v14
	v_cmp_gt_u32_e32 vcc_lo, 0x72, v14
	v_cndmask_b32_e32 v2, 0, v2, vcc_lo
	v_cmp_eq_u32_e32 vcc_lo, 0, v14
	s_delay_alu instid0(VALU_DEP_2) | instskip(NEXT) | instid1(VALU_DEP_1)
	v_cndmask_b32_e64 v15, v2, 0x70, vcc_lo
	v_dual_cndmask_b32 v4, v4, v0, vcc_lo :: v_dual_add_nc_u32 v2, 21, v15
	v_add_nc_u32_e32 v16, 20, v15
	s_delay_alu instid0(VALU_DEP_2) | instskip(NEXT) | instid1(VALU_DEP_2)
	v_lshlrev_b64_e64 v[2:3], v2, -1
	v_lshlrev_b64_e64 v[16:17], v16, 1
	s_delay_alu instid0(VALU_DEP_2) | instskip(NEXT) | instid1(VALU_DEP_3)
	v_bfi_b32 v19, v3, 0, 0
	v_bfi_b32 v18, v2, 0, v4
	v_lshrrev_b64 v[2:3], v15, v[4:5]
	s_delay_alu instid0(VALU_DEP_1) | instskip(NEXT) | instid1(VALU_DEP_3)
	v_mov_b64_e32 v[4:5], v[2:3]
	v_cmpx_eq_u64_e64 v[18:19], v[16:17]
; %bb.1142:                             ;   in Loop: Header=BB6_130 Depth=2
	v_bfe_u32 v4, v2, 21, 1
	v_mov_b32_e32 v5, v1
	s_delay_alu instid0(VALU_DEP_1) | instskip(NEXT) | instid1(VALU_DEP_1)
	v_add_nc_u64_e32 v[4:5], v[2:3], v[4:5]
	v_add_nc_u64_e32 v[4:5], -1, v[4:5]
; %bb.1143:                             ;   in Loop: Header=BB6_130 Depth=2
	s_or_b32 exec_lo, exec_lo, s43
	v_add_nc_u32_e32 v0, 0xffffff81, v14
	v_lshrrev_b32_e32 v3, 23, v2
	s_mov_b32 s10, exec_lo
	s_delay_alu instid0(VALU_DEP_2) | instskip(NEXT) | instid1(VALU_DEP_1)
	v_cndmask_b32_e64 v0, v0, 0xffffff82, vcc_lo
	v_add3_u32 v5, v15, v0, v3
	v_and_b32_e32 v0, 0x1fffff, v4
                                        ; implicit-def: $vgpr4
	s_delay_alu instid0(VALU_DEP_1) | instskip(NEXT) | instid1(VALU_DEP_1)
	v_dual_add_nc_u32 v14, 14, v5 :: v_dual_add_nc_u32 v0, v0, v2
                                        ; implicit-def: $vgpr2_vgpr3
	v_cmpx_ne_u32_e32 0, v14
	s_xor_b32 s10, exec_lo, s10
; %bb.1144:                             ;   in Loop: Header=BB6_130 Depth=2
	s_delay_alu instid0(VALU_DEP_2) | instskip(SKIP_1) | instid1(VALU_DEP_1)
	v_cmp_lt_u64_e32 vcc_lo, 0xffffff, v[0:1]
	v_add_nc_u32_e32 v2, 15, v5
	v_cndmask_b32_e32 v4, v14, v2, vcc_lo
	v_cndmask_b32_e64 v2, 0, 1, vcc_lo
	s_delay_alu instid0(VALU_DEP_1)
	v_lshrrev_b64 v[2:3], v2, v[0:1]
; %bb.1145:                             ;   in Loop: Header=BB6_130 Depth=2
	s_and_not1_saveexec_b32 s10, s10
; %bb.1146:                             ;   in Loop: Header=BB6_130 Depth=2
	v_mov_b64_e32 v[2:3], v[0:1]
	v_bfe_u32 v4, v0, 23, 1
; %bb.1147:                             ;   in Loop: Header=BB6_130 Depth=2
	s_or_b32 exec_lo, exec_lo, s10
	s_delay_alu instid0(VALU_DEP_2) | instskip(NEXT) | instid1(VALU_DEP_2)
	v_lshrrev_b64 v[2:3], 21, v[2:3]
	v_cmp_gt_i32_e32 vcc_lo, 32, v4
	v_min_i32_e32 v0, 31, v4
	v_cmp_eq_u32_e64 s10, 0, v4
	s_delay_alu instid0(VALU_DEP_2) | instskip(SKIP_1) | instid1(VALU_DEP_2)
	v_dual_cndmask_b32 v3, 0, v3 :: v_dual_lshlrev_b32 v0, 2, v0
	v_cndmask_b32_e32 v2, 3, v2, vcc_lo
	v_and_b32_e32 v0, 0xfc, v0
	s_delay_alu instid0(VALU_DEP_2) | instskip(NEXT) | instid1(VALU_DEP_2)
	v_cmp_eq_u64_e32 vcc_lo, 0, v[2:3]
	v_and_or_b32 v0, v2, 3, v0
	s_and_b32 s10, s10, vcc_lo
	s_delay_alu instid0(VALU_DEP_1) | instid1(SALU_CYCLE_1)
	v_cndmask_b32_e64 v0, v0, 0, s10
	s_delay_alu instid0(VALU_DEP_1)
	v_or_b32_e32 v82, v0, v8
.LBB6_1148:                             ;   in Loop: Header=BB6_130 Depth=2
	s_or_b32 exec_lo, exec_lo, s42
                                        ; implicit-def: $vgpr8
.LBB6_1149:                             ;   in Loop: Header=BB6_130 Depth=2
	s_and_not1_saveexec_b32 s10, s41
; %bb.1150:                             ;   in Loop: Header=BB6_130 Depth=2
	v_or_b32_e32 v82, 0x7b, v8
; %bb.1151:                             ;   in Loop: Header=BB6_130 Depth=2
	s_or_b32 exec_lo, exec_lo, s10
                                        ; implicit-def: $vgpr2
                                        ; implicit-def: $vgpr3
.LBB6_1152:                             ;   in Loop: Header=BB6_130 Depth=2
	s_and_not1_saveexec_b32 s10, s40
	s_cbranch_execz .LBB6_1158
; %bb.1153:                             ;   in Loop: Header=BB6_130 Depth=2
	s_mov_b32 s40, exec_lo
                                        ; implicit-def: $vgpr82
	v_cmpx_ne_u64_e32 0, v[0:1]
	s_xor_b32 s40, exec_lo, s40
; %bb.1154:                             ;   in Loop: Header=BB6_130 Depth=2
	v_or_b32_e32 v82, 0x7f, v3
                                        ; implicit-def: $vgpr2
; %bb.1155:                             ;   in Loop: Header=BB6_130 Depth=2
	s_and_not1_saveexec_b32 s40, s40
; %bb.1156:                             ;   in Loop: Header=BB6_130 Depth=2
	v_cmp_lt_i32_e32 vcc_lo, -1, v2
	v_mov_b32_e32 v0, 0x7c
	s_delay_alu instid0(VALU_DEP_1)
	v_cndmask_b32_e32 v82, 0xfc, v0, vcc_lo
; %bb.1157:                             ;   in Loop: Header=BB6_130 Depth=2
	s_or_b32 exec_lo, exec_lo, s40
.LBB6_1158:                             ;   in Loop: Header=BB6_130 Depth=2
	s_delay_alu instid0(SALU_CYCLE_1) | instskip(SKIP_2) | instid1(VALU_DEP_1)
	s_or_b32 exec_lo, exec_lo, s10
	v_dual_mov_b32 v3, 0 :: v_dual_lshrrev_b32 v0, 16, v10
	s_mov_b32 s10, exec_lo
	v_and_b32_e32 v2, 0xff, v0
	s_delay_alu instid0(VALU_DEP_1)
	v_cmpx_ne_u16_e32 0, v2
	s_cbranch_execz .LBB6_1168
; %bb.1159:                             ;   in Loop: Header=BB6_130 Depth=2
	v_bfrev_b32_e32 v3, 1
	s_mov_b32 s40, exec_lo
	v_cmpx_ne_u16_e32 0x80, v2
	s_cbranch_execz .LBB6_1167
; %bb.1160:                             ;   in Loop: Header=BB6_130 Depth=2
	v_and_b32_e32 v3, 0x7c0000, v10
	v_bfe_u32 v2, v10, 16, 2
	s_delay_alu instid0(VALU_DEP_2) | instskip(SKIP_1) | instid1(SALU_CYCLE_1)
	v_cmp_ne_u32_e32 vcc_lo, 0x7c0000, v3
                                        ; implicit-def: $vgpr3
	s_and_saveexec_b32 s41, vcc_lo
	s_xor_b32 s41, exec_lo, s41
	s_cbranch_execz .LBB6_1164
; %bb.1161:                             ;   in Loop: Header=BB6_130 Depth=2
	v_bfe_u32 v3, v10, 18, 5
	s_mov_b32 s42, exec_lo
	s_delay_alu instid0(VALU_DEP_1)
	v_cmpx_eq_u32_e32 0, v3
; %bb.1162:                             ;   in Loop: Header=BB6_130 Depth=2
	v_clz_i32_u32_e32 v2, v2
	s_delay_alu instid0(VALU_DEP_1) | instskip(NEXT) | instid1(VALU_DEP_1)
	v_min_u32_e32 v4, 32, v2
	v_subrev_nc_u32_e32 v2, 29, v4
	s_delay_alu instid0(VALU_DEP_1) | instskip(NEXT) | instid1(VALU_DEP_1)
	v_lshlrev_b64_e32 v[2:3], v2, v[0:1]
	v_dual_sub_nc_u32 v3, 30, v4 :: v_dual_bitop2_b32 v2, 3, v2 bitop3:0x40
; %bb.1163:                             ;   in Loop: Header=BB6_130 Depth=2
	s_or_b32 exec_lo, exec_lo, s42
	v_lshlrev_b32_e32 v0, 24, v0
	s_delay_alu instid0(VALU_DEP_1) | instskip(NEXT) | instid1(VALU_DEP_1)
	v_and_b32_e32 v0, 0x80000000, v0
	v_lshl_add_u32 v0, v3, 23, v0
	s_delay_alu instid0(VALU_DEP_1) | instskip(NEXT) | instid1(VALU_DEP_1)
	v_lshl_or_b32 v0, v2, 21, v0
                                        ; implicit-def: $vgpr2
	v_add_nc_u32_e32 v3, 0x38000000, v0
                                        ; implicit-def: $vgpr0
.LBB6_1164:                             ;   in Loop: Header=BB6_130 Depth=2
	s_and_not1_saveexec_b32 s41, s41
; %bb.1165:                             ;   in Loop: Header=BB6_130 Depth=2
	v_bfe_i32 v0, v0, 0, 8
	s_delay_alu instid0(VALU_DEP_1) | instskip(SKIP_1) | instid1(VALU_DEP_1)
	v_cmp_lt_i16_e32 vcc_lo, -1, v0
	v_mov_b32_e32 v0, 0x7f800000
	v_cndmask_b32_e32 v0, 0xff800000, v0, vcc_lo
	v_cmp_eq_u32_e32 vcc_lo, 0, v2
	s_delay_alu instid0(VALU_DEP_2)
	v_cndmask_b32_e32 v3, 0x7f800001, v0, vcc_lo
; %bb.1166:                             ;   in Loop: Header=BB6_130 Depth=2
	s_or_b32 exec_lo, exec_lo, s41
.LBB6_1167:                             ;   in Loop: Header=BB6_130 Depth=2
	s_delay_alu instid0(SALU_CYCLE_1)
	s_or_b32 exec_lo, exec_lo, s40
.LBB6_1168:                             ;   in Loop: Header=BB6_130 Depth=2
	s_delay_alu instid0(SALU_CYCLE_1) | instskip(NEXT) | instid1(VALU_DEP_1)
	s_or_b32 exec_lo, exec_lo, s10
	v_dual_mul_f32 v2, s29, v3 :: v_dual_mov_b32 v5, v1
                                        ; implicit-def: $vgpr86
	s_mov_b32 s10, exec_lo
	s_delay_alu instid0(VALU_DEP_1) | instskip(SKIP_2) | instid1(VALU_DEP_3)
	v_and_b32_e32 v4, 0x7f800000, v2
	v_and_b32_e32 v0, 0x7fffff, v2
	v_lshrrev_b32_e32 v3, 24, v2
	v_cmpx_ne_u64_e32 0x7f800000, v[4:5]
	s_xor_b32 s40, exec_lo, s10
	s_cbranch_execz .LBB6_1182
; %bb.1169:                             ;   in Loop: Header=BB6_130 Depth=2
	v_and_b32_e32 v4, 0x7fffffff, v2
	v_mov_b32_e32 v5, v1
	v_and_b32_e32 v8, 0x80, v3
                                        ; implicit-def: $vgpr86
	s_mov_b32 s10, exec_lo
	s_delay_alu instid0(VALU_DEP_2)
	v_cmpx_gt_u64_e32 0x47600001, v[4:5]
	s_xor_b32 s41, exec_lo, s10
	s_cbranch_execz .LBB6_1179
; %bb.1170:                             ;   in Loop: Header=BB6_130 Depth=2
	v_mov_b32_e32 v86, 0
	s_mov_b32 s42, exec_lo
	v_cmpx_ne_u32_e32 0, v2
	s_cbranch_execz .LBB6_1178
; %bb.1171:                             ;   in Loop: Header=BB6_130 Depth=2
	v_bfe_u32 v14, v2, 23, 8
	v_or_b32_e32 v4, 0x800000, v0
	s_mov_b32 s43, exec_lo
	s_delay_alu instid0(VALU_DEP_2) | instskip(SKIP_1) | instid1(VALU_DEP_2)
	v_dual_mov_b32 v5, v1 :: v_dual_sub_nc_u32 v2, 0x71, v14
	v_cmp_gt_u32_e32 vcc_lo, 0x72, v14
	v_cndmask_b32_e32 v2, 0, v2, vcc_lo
	v_cmp_eq_u32_e32 vcc_lo, 0, v14
	s_delay_alu instid0(VALU_DEP_2) | instskip(NEXT) | instid1(VALU_DEP_1)
	v_cndmask_b32_e64 v15, v2, 0x70, vcc_lo
	v_dual_cndmask_b32 v4, v4, v0, vcc_lo :: v_dual_add_nc_u32 v2, 21, v15
	v_add_nc_u32_e32 v16, 20, v15
	s_delay_alu instid0(VALU_DEP_2) | instskip(NEXT) | instid1(VALU_DEP_2)
	v_lshlrev_b64_e64 v[2:3], v2, -1
	v_lshlrev_b64_e64 v[16:17], v16, 1
	s_delay_alu instid0(VALU_DEP_2) | instskip(NEXT) | instid1(VALU_DEP_3)
	v_bfi_b32 v19, v3, 0, 0
	v_bfi_b32 v18, v2, 0, v4
	v_lshrrev_b64 v[2:3], v15, v[4:5]
	s_delay_alu instid0(VALU_DEP_1) | instskip(NEXT) | instid1(VALU_DEP_3)
	v_mov_b64_e32 v[4:5], v[2:3]
	v_cmpx_eq_u64_e64 v[18:19], v[16:17]
; %bb.1172:                             ;   in Loop: Header=BB6_130 Depth=2
	v_bfe_u32 v4, v2, 21, 1
	v_mov_b32_e32 v5, v1
	s_delay_alu instid0(VALU_DEP_1) | instskip(NEXT) | instid1(VALU_DEP_1)
	v_add_nc_u64_e32 v[4:5], v[2:3], v[4:5]
	v_add_nc_u64_e32 v[4:5], -1, v[4:5]
; %bb.1173:                             ;   in Loop: Header=BB6_130 Depth=2
	s_or_b32 exec_lo, exec_lo, s43
	v_add_nc_u32_e32 v0, 0xffffff81, v14
	v_lshrrev_b32_e32 v3, 23, v2
	s_mov_b32 s10, exec_lo
	s_delay_alu instid0(VALU_DEP_2) | instskip(NEXT) | instid1(VALU_DEP_1)
	v_cndmask_b32_e64 v0, v0, 0xffffff82, vcc_lo
	v_add3_u32 v5, v15, v0, v3
	v_and_b32_e32 v0, 0x1fffff, v4
                                        ; implicit-def: $vgpr4
	s_delay_alu instid0(VALU_DEP_1) | instskip(NEXT) | instid1(VALU_DEP_1)
	v_dual_add_nc_u32 v14, 14, v5 :: v_dual_add_nc_u32 v0, v0, v2
                                        ; implicit-def: $vgpr2_vgpr3
	v_cmpx_ne_u32_e32 0, v14
	s_xor_b32 s10, exec_lo, s10
; %bb.1174:                             ;   in Loop: Header=BB6_130 Depth=2
	s_delay_alu instid0(VALU_DEP_2) | instskip(SKIP_1) | instid1(VALU_DEP_1)
	v_cmp_lt_u64_e32 vcc_lo, 0xffffff, v[0:1]
	v_add_nc_u32_e32 v2, 15, v5
	v_cndmask_b32_e32 v4, v14, v2, vcc_lo
	v_cndmask_b32_e64 v2, 0, 1, vcc_lo
	s_delay_alu instid0(VALU_DEP_1)
	v_lshrrev_b64 v[2:3], v2, v[0:1]
; %bb.1175:                             ;   in Loop: Header=BB6_130 Depth=2
	s_and_not1_saveexec_b32 s10, s10
; %bb.1176:                             ;   in Loop: Header=BB6_130 Depth=2
	v_mov_b64_e32 v[2:3], v[0:1]
	v_bfe_u32 v4, v0, 23, 1
; %bb.1177:                             ;   in Loop: Header=BB6_130 Depth=2
	s_or_b32 exec_lo, exec_lo, s10
	s_delay_alu instid0(VALU_DEP_2) | instskip(NEXT) | instid1(VALU_DEP_2)
	v_lshrrev_b64 v[2:3], 21, v[2:3]
	v_cmp_gt_i32_e32 vcc_lo, 32, v4
	v_min_i32_e32 v0, 31, v4
	v_cmp_eq_u32_e64 s10, 0, v4
	s_delay_alu instid0(VALU_DEP_2) | instskip(SKIP_1) | instid1(VALU_DEP_2)
	v_dual_cndmask_b32 v3, 0, v3 :: v_dual_lshlrev_b32 v0, 2, v0
	v_cndmask_b32_e32 v2, 3, v2, vcc_lo
	v_and_b32_e32 v0, 0xfc, v0
	s_delay_alu instid0(VALU_DEP_2) | instskip(NEXT) | instid1(VALU_DEP_2)
	v_cmp_eq_u64_e32 vcc_lo, 0, v[2:3]
	v_and_or_b32 v0, v2, 3, v0
	s_and_b32 s10, s10, vcc_lo
	s_delay_alu instid0(VALU_DEP_1) | instid1(SALU_CYCLE_1)
	v_cndmask_b32_e64 v0, v0, 0, s10
	s_delay_alu instid0(VALU_DEP_1)
	v_or_b32_e32 v86, v0, v8
.LBB6_1178:                             ;   in Loop: Header=BB6_130 Depth=2
	s_or_b32 exec_lo, exec_lo, s42
                                        ; implicit-def: $vgpr8
.LBB6_1179:                             ;   in Loop: Header=BB6_130 Depth=2
	s_and_not1_saveexec_b32 s10, s41
; %bb.1180:                             ;   in Loop: Header=BB6_130 Depth=2
	v_or_b32_e32 v86, 0x7b, v8
; %bb.1181:                             ;   in Loop: Header=BB6_130 Depth=2
	s_or_b32 exec_lo, exec_lo, s10
                                        ; implicit-def: $vgpr2
                                        ; implicit-def: $vgpr3
.LBB6_1182:                             ;   in Loop: Header=BB6_130 Depth=2
	s_and_not1_saveexec_b32 s10, s40
	s_cbranch_execz .LBB6_1188
; %bb.1183:                             ;   in Loop: Header=BB6_130 Depth=2
	s_mov_b32 s40, exec_lo
                                        ; implicit-def: $vgpr86
	v_cmpx_ne_u64_e32 0, v[0:1]
	s_xor_b32 s40, exec_lo, s40
; %bb.1184:                             ;   in Loop: Header=BB6_130 Depth=2
	v_or_b32_e32 v86, 0x7f, v3
                                        ; implicit-def: $vgpr2
; %bb.1185:                             ;   in Loop: Header=BB6_130 Depth=2
	s_and_not1_saveexec_b32 s40, s40
; %bb.1186:                             ;   in Loop: Header=BB6_130 Depth=2
	v_cmp_lt_i32_e32 vcc_lo, -1, v2
	v_mov_b32_e32 v0, 0x7c
	s_delay_alu instid0(VALU_DEP_1)
	v_cndmask_b32_e32 v86, 0xfc, v0, vcc_lo
; %bb.1187:                             ;   in Loop: Header=BB6_130 Depth=2
	s_or_b32 exec_lo, exec_lo, s40
.LBB6_1188:                             ;   in Loop: Header=BB6_130 Depth=2
	s_delay_alu instid0(SALU_CYCLE_1)
	s_or_b32 exec_lo, exec_lo, s10
	v_mov_b32_e32 v2, 0
	s_mov_b32 s10, exec_lo
	v_cmpx_lt_u32_e32 0xffffff, v10
	s_cbranch_execz .LBB6_1198
; %bb.1189:                             ;   in Loop: Header=BB6_130 Depth=2
	v_lshrrev_b32_e32 v0, 24, v10
	v_bfrev_b32_e32 v2, 1
	s_mov_b32 s40, exec_lo
	s_delay_alu instid0(VALU_DEP_2)
	v_cmpx_ne_u32_e32 0x80, v0
	s_cbranch_execz .LBB6_1197
; %bb.1190:                             ;   in Loop: Header=BB6_130 Depth=2
	v_and_b32_e32 v2, 0x7c000000, v10
	v_bfe_u32 v3, v10, 24, 2
	s_delay_alu instid0(VALU_DEP_2) | instskip(SKIP_1) | instid1(SALU_CYCLE_1)
	v_cmp_ne_u32_e32 vcc_lo, 0x7c000000, v2
                                        ; implicit-def: $vgpr2
	s_and_saveexec_b32 s41, vcc_lo
	s_xor_b32 s41, exec_lo, s41
	s_cbranch_execz .LBB6_1194
; %bb.1191:                             ;   in Loop: Header=BB6_130 Depth=2
	v_bfe_u32 v2, v10, 26, 5
	s_mov_b32 s42, exec_lo
	s_delay_alu instid0(VALU_DEP_1)
	v_cmpx_eq_u32_e32 0, v2
; %bb.1192:                             ;   in Loop: Header=BB6_130 Depth=2
	v_clz_i32_u32_e32 v2, v3
	s_delay_alu instid0(VALU_DEP_1) | instskip(NEXT) | instid1(VALU_DEP_1)
	v_min_u32_e32 v2, 32, v2
	v_subrev_nc_u32_e32 v3, 29, v2
	s_delay_alu instid0(VALU_DEP_1) | instskip(NEXT) | instid1(VALU_DEP_1)
	v_lshlrev_b64_e32 v[4:5], v3, v[0:1]
	v_dual_sub_nc_u32 v2, 30, v2 :: v_dual_bitop2_b32 v3, 3, v4 bitop3:0x40
; %bb.1193:                             ;   in Loop: Header=BB6_130 Depth=2
	s_or_b32 exec_lo, exec_lo, s42
	v_and_b32_e32 v0, 0x80000000, v10
	s_delay_alu instid0(VALU_DEP_1) | instskip(NEXT) | instid1(VALU_DEP_1)
	v_lshl_add_u32 v0, v2, 23, v0
	v_lshl_or_b32 v0, v3, 21, v0
                                        ; implicit-def: $vgpr3
	s_delay_alu instid0(VALU_DEP_1)
	v_add_nc_u32_e32 v2, 0x38000000, v0
.LBB6_1194:                             ;   in Loop: Header=BB6_130 Depth=2
	s_and_not1_saveexec_b32 s41, s41
; %bb.1195:                             ;   in Loop: Header=BB6_130 Depth=2
	v_cmp_lt_i32_e32 vcc_lo, -1, v10
	v_mov_b32_e32 v0, 0x7f800000
	s_delay_alu instid0(VALU_DEP_1) | instskip(SKIP_1) | instid1(VALU_DEP_2)
	v_cndmask_b32_e32 v0, 0xff800000, v0, vcc_lo
	v_cmp_eq_u32_e32 vcc_lo, 0, v3
	v_cndmask_b32_e32 v2, 0x7f800001, v0, vcc_lo
; %bb.1196:                             ;   in Loop: Header=BB6_130 Depth=2
	s_or_b32 exec_lo, exec_lo, s41
.LBB6_1197:                             ;   in Loop: Header=BB6_130 Depth=2
	s_delay_alu instid0(SALU_CYCLE_1)
	s_or_b32 exec_lo, exec_lo, s40
.LBB6_1198:                             ;   in Loop: Header=BB6_130 Depth=2
	s_delay_alu instid0(SALU_CYCLE_1) | instskip(NEXT) | instid1(VALU_DEP_1)
	s_or_b32 exec_lo, exec_lo, s10
	v_dual_mul_f32 v2, s29, v2 :: v_dual_mov_b32 v5, v1
                                        ; implicit-def: $vgpr97
	s_mov_b32 s10, exec_lo
	s_delay_alu instid0(VALU_DEP_1) | instskip(SKIP_2) | instid1(VALU_DEP_3)
	v_and_b32_e32 v4, 0x7f800000, v2
	v_and_b32_e32 v0, 0x7fffff, v2
	v_lshrrev_b32_e32 v3, 24, v2
	v_cmpx_ne_u64_e32 0x7f800000, v[4:5]
	s_xor_b32 s40, exec_lo, s10
	s_cbranch_execz .LBB6_1212
; %bb.1199:                             ;   in Loop: Header=BB6_130 Depth=2
	v_and_b32_e32 v4, 0x7fffffff, v2
	v_mov_b32_e32 v5, v1
	v_and_b32_e32 v8, 0x80, v3
                                        ; implicit-def: $vgpr97
	s_mov_b32 s10, exec_lo
	s_delay_alu instid0(VALU_DEP_2)
	v_cmpx_gt_u64_e32 0x47600001, v[4:5]
	s_xor_b32 s41, exec_lo, s10
	s_cbranch_execz .LBB6_1209
; %bb.1200:                             ;   in Loop: Header=BB6_130 Depth=2
	v_mov_b32_e32 v97, 0
	s_mov_b32 s42, exec_lo
	v_cmpx_ne_u32_e32 0, v2
	s_cbranch_execz .LBB6_1208
; %bb.1201:                             ;   in Loop: Header=BB6_130 Depth=2
	v_bfe_u32 v14, v2, 23, 8
	v_or_b32_e32 v4, 0x800000, v0
	s_mov_b32 s43, exec_lo
	s_delay_alu instid0(VALU_DEP_2) | instskip(SKIP_1) | instid1(VALU_DEP_2)
	v_dual_mov_b32 v5, v1 :: v_dual_sub_nc_u32 v2, 0x71, v14
	v_cmp_gt_u32_e32 vcc_lo, 0x72, v14
	v_cndmask_b32_e32 v2, 0, v2, vcc_lo
	v_cmp_eq_u32_e32 vcc_lo, 0, v14
	s_delay_alu instid0(VALU_DEP_2) | instskip(NEXT) | instid1(VALU_DEP_1)
	v_cndmask_b32_e64 v15, v2, 0x70, vcc_lo
	v_dual_cndmask_b32 v4, v4, v0, vcc_lo :: v_dual_add_nc_u32 v2, 21, v15
	v_add_nc_u32_e32 v16, 20, v15
	s_delay_alu instid0(VALU_DEP_2) | instskip(NEXT) | instid1(VALU_DEP_2)
	v_lshlrev_b64_e64 v[2:3], v2, -1
	v_lshlrev_b64_e64 v[16:17], v16, 1
	s_delay_alu instid0(VALU_DEP_2) | instskip(NEXT) | instid1(VALU_DEP_3)
	v_bfi_b32 v19, v3, 0, 0
	v_bfi_b32 v18, v2, 0, v4
	v_lshrrev_b64 v[2:3], v15, v[4:5]
	s_delay_alu instid0(VALU_DEP_1) | instskip(NEXT) | instid1(VALU_DEP_3)
	v_mov_b64_e32 v[4:5], v[2:3]
	v_cmpx_eq_u64_e64 v[18:19], v[16:17]
; %bb.1202:                             ;   in Loop: Header=BB6_130 Depth=2
	v_bfe_u32 v4, v2, 21, 1
	v_mov_b32_e32 v5, v1
	s_delay_alu instid0(VALU_DEP_1) | instskip(NEXT) | instid1(VALU_DEP_1)
	v_add_nc_u64_e32 v[4:5], v[2:3], v[4:5]
	v_add_nc_u64_e32 v[4:5], -1, v[4:5]
; %bb.1203:                             ;   in Loop: Header=BB6_130 Depth=2
	s_or_b32 exec_lo, exec_lo, s43
	v_add_nc_u32_e32 v0, 0xffffff81, v14
	v_lshrrev_b32_e32 v3, 23, v2
	s_mov_b32 s10, exec_lo
	s_delay_alu instid0(VALU_DEP_2) | instskip(NEXT) | instid1(VALU_DEP_1)
	v_cndmask_b32_e64 v0, v0, 0xffffff82, vcc_lo
	v_add3_u32 v5, v15, v0, v3
	v_and_b32_e32 v0, 0x1fffff, v4
                                        ; implicit-def: $vgpr4
	s_delay_alu instid0(VALU_DEP_1) | instskip(NEXT) | instid1(VALU_DEP_1)
	v_dual_add_nc_u32 v14, 14, v5 :: v_dual_add_nc_u32 v0, v0, v2
                                        ; implicit-def: $vgpr2_vgpr3
	v_cmpx_ne_u32_e32 0, v14
	s_xor_b32 s10, exec_lo, s10
; %bb.1204:                             ;   in Loop: Header=BB6_130 Depth=2
	s_delay_alu instid0(VALU_DEP_2) | instskip(SKIP_1) | instid1(VALU_DEP_1)
	v_cmp_lt_u64_e32 vcc_lo, 0xffffff, v[0:1]
	v_add_nc_u32_e32 v2, 15, v5
	v_cndmask_b32_e32 v4, v14, v2, vcc_lo
	v_cndmask_b32_e64 v2, 0, 1, vcc_lo
	s_delay_alu instid0(VALU_DEP_1)
	v_lshrrev_b64 v[2:3], v2, v[0:1]
; %bb.1205:                             ;   in Loop: Header=BB6_130 Depth=2
	s_and_not1_saveexec_b32 s10, s10
; %bb.1206:                             ;   in Loop: Header=BB6_130 Depth=2
	v_mov_b64_e32 v[2:3], v[0:1]
	v_bfe_u32 v4, v0, 23, 1
; %bb.1207:                             ;   in Loop: Header=BB6_130 Depth=2
	s_or_b32 exec_lo, exec_lo, s10
	s_delay_alu instid0(VALU_DEP_2) | instskip(NEXT) | instid1(VALU_DEP_2)
	v_lshrrev_b64 v[2:3], 21, v[2:3]
	v_cmp_gt_i32_e32 vcc_lo, 32, v4
	v_min_i32_e32 v0, 31, v4
	v_cmp_eq_u32_e64 s10, 0, v4
	s_delay_alu instid0(VALU_DEP_2) | instskip(SKIP_1) | instid1(VALU_DEP_2)
	v_dual_cndmask_b32 v3, 0, v3 :: v_dual_lshlrev_b32 v0, 2, v0
	v_cndmask_b32_e32 v2, 3, v2, vcc_lo
	v_and_b32_e32 v0, 0xfc, v0
	s_delay_alu instid0(VALU_DEP_2) | instskip(NEXT) | instid1(VALU_DEP_2)
	v_cmp_eq_u64_e32 vcc_lo, 0, v[2:3]
	v_and_or_b32 v0, v2, 3, v0
	s_and_b32 s10, s10, vcc_lo
	s_delay_alu instid0(VALU_DEP_1) | instid1(SALU_CYCLE_1)
	v_cndmask_b32_e64 v0, v0, 0, s10
	s_delay_alu instid0(VALU_DEP_1)
	v_or_b32_e32 v97, v0, v8
.LBB6_1208:                             ;   in Loop: Header=BB6_130 Depth=2
	s_or_b32 exec_lo, exec_lo, s42
                                        ; implicit-def: $vgpr8
.LBB6_1209:                             ;   in Loop: Header=BB6_130 Depth=2
	s_and_not1_saveexec_b32 s10, s41
; %bb.1210:                             ;   in Loop: Header=BB6_130 Depth=2
	v_or_b32_e32 v97, 0x7b, v8
; %bb.1211:                             ;   in Loop: Header=BB6_130 Depth=2
	s_or_b32 exec_lo, exec_lo, s10
                                        ; implicit-def: $vgpr2
                                        ; implicit-def: $vgpr3
.LBB6_1212:                             ;   in Loop: Header=BB6_130 Depth=2
	s_and_not1_saveexec_b32 s10, s40
	s_cbranch_execz .LBB6_1218
; %bb.1213:                             ;   in Loop: Header=BB6_130 Depth=2
	s_mov_b32 s40, exec_lo
                                        ; implicit-def: $vgpr97
	v_cmpx_ne_u64_e32 0, v[0:1]
	s_xor_b32 s40, exec_lo, s40
; %bb.1214:                             ;   in Loop: Header=BB6_130 Depth=2
	v_or_b32_e32 v97, 0x7f, v3
                                        ; implicit-def: $vgpr2
; %bb.1215:                             ;   in Loop: Header=BB6_130 Depth=2
	s_and_not1_saveexec_b32 s40, s40
; %bb.1216:                             ;   in Loop: Header=BB6_130 Depth=2
	v_cmp_lt_i32_e32 vcc_lo, -1, v2
	v_mov_b32_e32 v0, 0x7c
	s_delay_alu instid0(VALU_DEP_1)
	v_cndmask_b32_e32 v97, 0xfc, v0, vcc_lo
; %bb.1217:                             ;   in Loop: Header=BB6_130 Depth=2
	s_or_b32 exec_lo, exec_lo, s40
.LBB6_1218:                             ;   in Loop: Header=BB6_130 Depth=2
	s_delay_alu instid0(SALU_CYCLE_1) | instskip(SKIP_3) | instid1(VALU_DEP_2)
	s_or_b32 exec_lo, exec_lo, s10
	v_and_b32_e32 v2, 0xff, v11
	v_dual_mov_b32 v0, v11 :: v_dual_mov_b32 v3, 0
	s_mov_b32 s10, exec_lo
	v_cmpx_ne_u16_e32 0, v2
	s_cbranch_execz .LBB6_1228
; %bb.1219:                             ;   in Loop: Header=BB6_130 Depth=2
	v_bfrev_b32_e32 v3, 1
	s_mov_b32 s40, exec_lo
	v_cmpx_ne_u16_e32 0x80, v2
	s_cbranch_execz .LBB6_1227
; %bb.1220:                             ;   in Loop: Header=BB6_130 Depth=2
	v_and_b32_e32 v3, 0x7c, v11
	v_and_b32_e32 v2, 3, v11
	s_delay_alu instid0(VALU_DEP_2) | instskip(SKIP_1) | instid1(SALU_CYCLE_1)
	v_cmp_ne_u32_e32 vcc_lo, 0x7c, v3
                                        ; implicit-def: $vgpr3
	s_and_saveexec_b32 s41, vcc_lo
	s_xor_b32 s41, exec_lo, s41
	s_cbranch_execz .LBB6_1224
; %bb.1221:                             ;   in Loop: Header=BB6_130 Depth=2
	v_bfe_u32 v3, v11, 2, 5
	s_mov_b32 s42, exec_lo
	s_delay_alu instid0(VALU_DEP_1)
	v_cmpx_eq_u32_e32 0, v3
; %bb.1222:                             ;   in Loop: Header=BB6_130 Depth=2
	v_clz_i32_u32_e32 v2, v2
	s_delay_alu instid0(VALU_DEP_1) | instskip(NEXT) | instid1(VALU_DEP_1)
	v_min_u32_e32 v4, 32, v2
	v_subrev_nc_u32_e32 v2, 29, v4
	s_delay_alu instid0(VALU_DEP_1) | instskip(NEXT) | instid1(VALU_DEP_1)
	v_lshlrev_b64_e32 v[2:3], v2, v[0:1]
	v_dual_sub_nc_u32 v3, 30, v4 :: v_dual_bitop2_b32 v2, 3, v2 bitop3:0x40
; %bb.1223:                             ;   in Loop: Header=BB6_130 Depth=2
	s_or_b32 exec_lo, exec_lo, s42
	v_lshlrev_b32_e32 v4, 24, v11
	s_delay_alu instid0(VALU_DEP_1) | instskip(NEXT) | instid1(VALU_DEP_1)
	v_and_b32_e32 v4, 0x80000000, v4
	v_lshl_add_u32 v3, v3, 23, v4
	s_delay_alu instid0(VALU_DEP_1) | instskip(NEXT) | instid1(VALU_DEP_1)
	v_lshl_or_b32 v2, v2, 21, v3
	v_add_nc_u32_e32 v3, 0x38000000, v2
                                        ; implicit-def: $vgpr2
.LBB6_1224:                             ;   in Loop: Header=BB6_130 Depth=2
	s_and_not1_saveexec_b32 s41, s41
; %bb.1225:                             ;   in Loop: Header=BB6_130 Depth=2
	v_bfe_i32 v3, v11, 0, 8
	s_delay_alu instid0(VALU_DEP_1) | instskip(SKIP_1) | instid1(VALU_DEP_1)
	v_cmp_lt_i16_e32 vcc_lo, -1, v3
	v_mov_b32_e32 v3, 0x7f800000
	v_cndmask_b32_e32 v3, 0xff800000, v3, vcc_lo
	v_cmp_eq_u32_e32 vcc_lo, 0, v2
	s_delay_alu instid0(VALU_DEP_2)
	v_cndmask_b32_e32 v3, 0x7f800001, v3, vcc_lo
; %bb.1226:                             ;   in Loop: Header=BB6_130 Depth=2
	s_or_b32 exec_lo, exec_lo, s41
.LBB6_1227:                             ;   in Loop: Header=BB6_130 Depth=2
	s_delay_alu instid0(SALU_CYCLE_1)
	s_or_b32 exec_lo, exec_lo, s40
.LBB6_1228:                             ;   in Loop: Header=BB6_130 Depth=2
	s_delay_alu instid0(SALU_CYCLE_1) | instskip(NEXT) | instid1(VALU_DEP_1)
	s_or_b32 exec_lo, exec_lo, s10
	v_dual_mul_f32 v4, s29, v3 :: v_dual_mov_b32 v15, v1
	v_mov_b32_e32 v3, v1
                                        ; implicit-def: $vgpr68
	s_mov_b32 s10, exec_lo
	s_delay_alu instid0(VALU_DEP_2) | instskip(SKIP_2) | instid1(VALU_DEP_3)
	v_and_b32_e32 v14, 0x7f800000, v4
	v_and_b32_e32 v2, 0x7fffff, v4
	v_lshrrev_b32_e32 v5, 24, v4
	v_cmpx_ne_u64_e32 0x7f800000, v[14:15]
	s_xor_b32 s40, exec_lo, s10
	s_cbranch_execz .LBB6_1242
; %bb.1229:                             ;   in Loop: Header=BB6_130 Depth=2
	v_and_b32_e32 v14, 0x7fffffff, v4
	v_mov_b32_e32 v15, v1
	v_and_b32_e32 v8, 0x80, v5
                                        ; implicit-def: $vgpr68
	s_mov_b32 s10, exec_lo
	s_delay_alu instid0(VALU_DEP_2)
	v_cmpx_gt_u64_e32 0x47600001, v[14:15]
	s_xor_b32 s41, exec_lo, s10
	s_cbranch_execz .LBB6_1239
; %bb.1230:                             ;   in Loop: Header=BB6_130 Depth=2
	v_mov_b32_e32 v68, 0
	s_mov_b32 s42, exec_lo
	v_cmpx_ne_u32_e32 0, v4
	s_cbranch_execz .LBB6_1238
; %bb.1231:                             ;   in Loop: Header=BB6_130 Depth=2
	v_bfe_u32 v14, v4, 23, 8
	v_or_b32_e32 v16, 0x800000, v2
	s_delay_alu instid0(VALU_DEP_2) | instskip(SKIP_1) | instid1(VALU_DEP_2)
	v_sub_nc_u32_e32 v4, 0x71, v14
	v_cmp_gt_u32_e32 vcc_lo, 0x72, v14
	v_cndmask_b32_e32 v4, 0, v4, vcc_lo
	v_cmp_eq_u32_e32 vcc_lo, 0, v14
	s_delay_alu instid0(VALU_DEP_2) | instskip(NEXT) | instid1(VALU_DEP_1)
	v_cndmask_b32_e64 v15, v4, 0x70, vcc_lo
	v_dual_cndmask_b32 v2, v16, v2, vcc_lo :: v_dual_add_nc_u32 v4, 21, v15
	v_add_nc_u32_e32 v17, 20, v15
	s_delay_alu instid0(VALU_DEP_2) | instskip(NEXT) | instid1(VALU_DEP_2)
	v_lshlrev_b64_e64 v[4:5], v4, -1
	v_lshlrev_b64_e64 v[16:17], v17, 1
	s_delay_alu instid0(VALU_DEP_2) | instskip(SKIP_1) | instid1(VALU_DEP_4)
	v_bfi_b32 v4, v4, 0, v2
	v_lshrrev_b64 v[2:3], v15, v[2:3]
	v_bfi_b32 v5, v5, 0, 0
	s_delay_alu instid0(VALU_DEP_1) | instskip(NEXT) | instid1(VALU_DEP_3)
	v_cmp_eq_u64_e64 s10, v[4:5], v[16:17]
	v_mov_b64_e32 v[4:5], v[2:3]
	s_and_saveexec_b32 s43, s10
; %bb.1232:                             ;   in Loop: Header=BB6_130 Depth=2
	v_bfe_u32 v4, v2, 21, 1
	v_mov_b32_e32 v5, v1
	s_delay_alu instid0(VALU_DEP_1) | instskip(NEXT) | instid1(VALU_DEP_1)
	v_add_nc_u64_e32 v[4:5], v[2:3], v[4:5]
	v_add_nc_u64_e32 v[4:5], -1, v[4:5]
; %bb.1233:                             ;   in Loop: Header=BB6_130 Depth=2
	s_or_b32 exec_lo, exec_lo, s43
	v_add_nc_u32_e32 v3, 0xffffff81, v14
	v_lshrrev_b32_e32 v5, 23, v2
	s_mov_b32 s10, exec_lo
	s_delay_alu instid0(VALU_DEP_2) | instskip(NEXT) | instid1(VALU_DEP_1)
	v_cndmask_b32_e64 v3, v3, 0xffffff82, vcc_lo
	v_add3_u32 v5, v15, v3, v5
	v_and_b32_e32 v3, 0x1fffff, v4
                                        ; implicit-def: $vgpr4
	s_delay_alu instid0(VALU_DEP_1) | instskip(SKIP_1) | instid1(VALU_DEP_2)
	v_dual_add_nc_u32 v14, 14, v5 :: v_dual_add_nc_u32 v2, v3, v2
	v_mov_b32_e32 v3, v1
	v_cmpx_ne_u32_e32 0, v14
	s_xor_b32 s10, exec_lo, s10
; %bb.1234:                             ;   in Loop: Header=BB6_130 Depth=2
	s_delay_alu instid0(VALU_DEP_2) | instskip(SKIP_2) | instid1(VALU_DEP_2)
	v_cmp_lt_u64_e32 vcc_lo, 0xffffff, v[2:3]
	v_add_nc_u32_e32 v4, 15, v5
	v_cndmask_b32_e64 v5, 0, 1, vcc_lo
	v_cndmask_b32_e32 v4, v14, v4, vcc_lo
	s_delay_alu instid0(VALU_DEP_2)
	v_lshrrev_b64 v[2:3], v5, v[2:3]
; %bb.1235:                             ;   in Loop: Header=BB6_130 Depth=2
	s_and_not1_saveexec_b32 s10, s10
; %bb.1236:                             ;   in Loop: Header=BB6_130 Depth=2
	s_delay_alu instid0(VALU_DEP_1)
	v_bfe_u32 v4, v2, 23, 1
; %bb.1237:                             ;   in Loop: Header=BB6_130 Depth=2
	s_or_b32 exec_lo, exec_lo, s10
	s_delay_alu instid0(VALU_DEP_2) | instskip(NEXT) | instid1(VALU_DEP_2)
	v_lshrrev_b64 v[2:3], 21, v[2:3]
	v_cmp_gt_i32_e32 vcc_lo, 32, v4
	v_min_i32_e32 v5, 31, v4
	v_cmp_eq_u32_e64 s10, 0, v4
	s_delay_alu instid0(VALU_DEP_2) | instskip(SKIP_1) | instid1(VALU_DEP_2)
	v_dual_cndmask_b32 v3, 0, v3, vcc_lo :: v_dual_lshlrev_b32 v5, 2, v5
	v_cndmask_b32_e32 v2, 3, v2, vcc_lo
	v_and_b32_e32 v5, 0xfc, v5
	s_delay_alu instid0(VALU_DEP_2) | instskip(NEXT) | instid1(VALU_DEP_2)
	v_cmp_eq_u64_e32 vcc_lo, 0, v[2:3]
	v_and_or_b32 v2, v2, 3, v5
	s_and_b32 s10, s10, vcc_lo
	s_delay_alu instid0(VALU_DEP_1) | instid1(SALU_CYCLE_1)
	v_cndmask_b32_e64 v2, v2, 0, s10
	s_delay_alu instid0(VALU_DEP_1)
	v_or_b32_e32 v68, v2, v8
.LBB6_1238:                             ;   in Loop: Header=BB6_130 Depth=2
	s_or_b32 exec_lo, exec_lo, s42
                                        ; implicit-def: $vgpr8
.LBB6_1239:                             ;   in Loop: Header=BB6_130 Depth=2
	s_and_not1_saveexec_b32 s10, s41
; %bb.1240:                             ;   in Loop: Header=BB6_130 Depth=2
	v_or_b32_e32 v68, 0x7b, v8
; %bb.1241:                             ;   in Loop: Header=BB6_130 Depth=2
	s_or_b32 exec_lo, exec_lo, s10
                                        ; implicit-def: $vgpr4
                                        ; implicit-def: $vgpr2_vgpr3
                                        ; implicit-def: $vgpr5
.LBB6_1242:                             ;   in Loop: Header=BB6_130 Depth=2
	s_and_not1_saveexec_b32 s10, s40
	s_cbranch_execz .LBB6_1248
; %bb.1243:                             ;   in Loop: Header=BB6_130 Depth=2
	s_mov_b32 s40, exec_lo
                                        ; implicit-def: $vgpr68
	v_cmpx_ne_u64_e32 0, v[2:3]
	s_xor_b32 s40, exec_lo, s40
; %bb.1244:                             ;   in Loop: Header=BB6_130 Depth=2
	v_or_b32_e32 v68, 0x7f, v5
                                        ; implicit-def: $vgpr4
; %bb.1245:                             ;   in Loop: Header=BB6_130 Depth=2
	s_and_not1_saveexec_b32 s40, s40
; %bb.1246:                             ;   in Loop: Header=BB6_130 Depth=2
	v_cmp_lt_i32_e32 vcc_lo, -1, v4
	v_mov_b32_e32 v2, 0x7c
	s_delay_alu instid0(VALU_DEP_1)
	v_cndmask_b32_e32 v68, 0xfc, v2, vcc_lo
; %bb.1247:                             ;   in Loop: Header=BB6_130 Depth=2
	s_or_b32 exec_lo, exec_lo, s40
.LBB6_1248:                             ;   in Loop: Header=BB6_130 Depth=2
	s_delay_alu instid0(SALU_CYCLE_1) | instskip(SKIP_3) | instid1(VALU_DEP_2)
	s_or_b32 exec_lo, exec_lo, s10
	v_lshrrev_b16 v2, 8, v0
	v_mov_b32_e32 v4, 0
	s_mov_b32 s10, exec_lo
	v_cmpx_ne_u16_e32 0, v2
	s_cbranch_execz .LBB6_1258
; %bb.1249:                             ;   in Loop: Header=BB6_130 Depth=2
	v_bfrev_b32_e32 v4, 1
	s_mov_b32 s40, exec_lo
	v_cmpx_ne_u16_e32 0x80, v2
	s_cbranch_execz .LBB6_1257
; %bb.1250:                             ;   in Loop: Header=BB6_130 Depth=2
	v_and_b32_e32 v5, 0xffff, v2
	s_delay_alu instid0(VALU_DEP_1) | instskip(SKIP_1) | instid1(VALU_DEP_2)
	v_and_b32_e32 v4, 0x7c, v5
	v_and_b32_e32 v3, 3, v5
	v_cmp_ne_u32_e32 vcc_lo, 0x7c, v4
                                        ; implicit-def: $vgpr4
	s_and_saveexec_b32 s41, vcc_lo
	s_delay_alu instid0(SALU_CYCLE_1)
	s_xor_b32 s41, exec_lo, s41
	s_cbranch_execz .LBB6_1254
; %bb.1251:                             ;   in Loop: Header=BB6_130 Depth=2
	v_bfe_u32 v4, v5, 2, 5
	s_mov_b32 s42, exec_lo
	s_delay_alu instid0(VALU_DEP_1)
	v_cmpx_eq_u32_e32 0, v4
	s_cbranch_execz .LBB6_1253
; %bb.1252:                             ;   in Loop: Header=BB6_130 Depth=2
	v_clz_i32_u32_e32 v3, v3
	s_delay_alu instid0(VALU_DEP_1) | instskip(SKIP_1) | instid1(VALU_DEP_2)
	v_min_u32_e32 v4, 32, v3
	v_mov_b32_e32 v3, v1
	v_subrev_nc_u32_e32 v5, 29, v4
	v_sub_nc_u32_e32 v4, 30, v4
	s_delay_alu instid0(VALU_DEP_2) | instskip(NEXT) | instid1(VALU_DEP_1)
	v_lshlrev_b64_e32 v[2:3], v5, v[2:3]
	v_and_b32_e32 v3, 3, v2
.LBB6_1253:                             ;   in Loop: Header=BB6_130 Depth=2
	s_or_b32 exec_lo, exec_lo, s42
	v_lshlrev_b32_e32 v0, 16, v0
	s_delay_alu instid0(VALU_DEP_1) | instskip(NEXT) | instid1(VALU_DEP_1)
	v_and_b32_e32 v0, 0x80000000, v0
	v_lshl_add_u32 v0, v4, 23, v0
	s_delay_alu instid0(VALU_DEP_1) | instskip(NEXT) | instid1(VALU_DEP_1)
	v_lshl_or_b32 v0, v3, 21, v0
                                        ; implicit-def: $vgpr3
	v_add_nc_u32_e32 v4, 0x38000000, v0
.LBB6_1254:                             ;   in Loop: Header=BB6_130 Depth=2
	s_and_not1_saveexec_b32 s41, s41
; %bb.1255:                             ;   in Loop: Header=BB6_130 Depth=2
	v_cmp_lt_i16_e32 vcc_lo, -1, v0
	v_mov_b32_e32 v0, 0x7f800000
	s_delay_alu instid0(VALU_DEP_1) | instskip(SKIP_1) | instid1(VALU_DEP_2)
	v_cndmask_b32_e32 v0, 0xff800000, v0, vcc_lo
	v_cmp_eq_u32_e32 vcc_lo, 0, v3
	v_cndmask_b32_e32 v4, 0x7f800001, v0, vcc_lo
; %bb.1256:                             ;   in Loop: Header=BB6_130 Depth=2
	s_or_b32 exec_lo, exec_lo, s41
.LBB6_1257:                             ;   in Loop: Header=BB6_130 Depth=2
	s_delay_alu instid0(SALU_CYCLE_1)
	s_or_b32 exec_lo, exec_lo, s40
.LBB6_1258:                             ;   in Loop: Header=BB6_130 Depth=2
	s_delay_alu instid0(SALU_CYCLE_1) | instskip(NEXT) | instid1(VALU_DEP_1)
	s_or_b32 exec_lo, exec_lo, s10
	v_dual_mul_f32 v2, s29, v4 :: v_dual_mov_b32 v5, v1
                                        ; implicit-def: $vgpr70
	s_mov_b32 s10, exec_lo
	s_delay_alu instid0(VALU_DEP_1) | instskip(SKIP_2) | instid1(VALU_DEP_3)
	v_and_b32_e32 v4, 0x7f800000, v2
	v_and_b32_e32 v0, 0x7fffff, v2
	v_lshrrev_b32_e32 v3, 24, v2
	v_cmpx_ne_u64_e32 0x7f800000, v[4:5]
	s_xor_b32 s40, exec_lo, s10
	s_cbranch_execz .LBB6_1272
; %bb.1259:                             ;   in Loop: Header=BB6_130 Depth=2
	v_and_b32_e32 v4, 0x7fffffff, v2
	v_mov_b32_e32 v5, v1
	v_and_b32_e32 v8, 0x80, v3
                                        ; implicit-def: $vgpr70
	s_mov_b32 s10, exec_lo
	s_delay_alu instid0(VALU_DEP_2)
	v_cmpx_gt_u64_e32 0x47600001, v[4:5]
	s_xor_b32 s41, exec_lo, s10
	s_cbranch_execz .LBB6_1269
; %bb.1260:                             ;   in Loop: Header=BB6_130 Depth=2
	v_mov_b32_e32 v70, 0
	s_mov_b32 s42, exec_lo
	v_cmpx_ne_u32_e32 0, v2
	s_cbranch_execz .LBB6_1268
; %bb.1261:                             ;   in Loop: Header=BB6_130 Depth=2
	v_bfe_u32 v14, v2, 23, 8
	v_or_b32_e32 v4, 0x800000, v0
	s_mov_b32 s43, exec_lo
	s_delay_alu instid0(VALU_DEP_2) | instskip(SKIP_1) | instid1(VALU_DEP_2)
	v_dual_mov_b32 v5, v1 :: v_dual_sub_nc_u32 v2, 0x71, v14
	v_cmp_gt_u32_e32 vcc_lo, 0x72, v14
	v_cndmask_b32_e32 v2, 0, v2, vcc_lo
	v_cmp_eq_u32_e32 vcc_lo, 0, v14
	s_delay_alu instid0(VALU_DEP_2) | instskip(NEXT) | instid1(VALU_DEP_1)
	v_cndmask_b32_e64 v15, v2, 0x70, vcc_lo
	v_dual_cndmask_b32 v4, v4, v0, vcc_lo :: v_dual_add_nc_u32 v2, 21, v15
	v_add_nc_u32_e32 v16, 20, v15
	s_delay_alu instid0(VALU_DEP_2) | instskip(NEXT) | instid1(VALU_DEP_2)
	v_lshlrev_b64_e64 v[2:3], v2, -1
	v_lshlrev_b64_e64 v[16:17], v16, 1
	s_delay_alu instid0(VALU_DEP_2) | instskip(NEXT) | instid1(VALU_DEP_3)
	v_bfi_b32 v19, v3, 0, 0
	v_bfi_b32 v18, v2, 0, v4
	v_lshrrev_b64 v[2:3], v15, v[4:5]
	s_delay_alu instid0(VALU_DEP_1) | instskip(NEXT) | instid1(VALU_DEP_3)
	v_mov_b64_e32 v[4:5], v[2:3]
	v_cmpx_eq_u64_e64 v[18:19], v[16:17]
; %bb.1262:                             ;   in Loop: Header=BB6_130 Depth=2
	v_bfe_u32 v4, v2, 21, 1
	v_mov_b32_e32 v5, v1
	s_delay_alu instid0(VALU_DEP_1) | instskip(NEXT) | instid1(VALU_DEP_1)
	v_add_nc_u64_e32 v[4:5], v[2:3], v[4:5]
	v_add_nc_u64_e32 v[4:5], -1, v[4:5]
; %bb.1263:                             ;   in Loop: Header=BB6_130 Depth=2
	s_or_b32 exec_lo, exec_lo, s43
	v_add_nc_u32_e32 v0, 0xffffff81, v14
	v_lshrrev_b32_e32 v3, 23, v2
	s_mov_b32 s10, exec_lo
	s_delay_alu instid0(VALU_DEP_2) | instskip(NEXT) | instid1(VALU_DEP_1)
	v_cndmask_b32_e64 v0, v0, 0xffffff82, vcc_lo
	v_add3_u32 v5, v15, v0, v3
	v_and_b32_e32 v0, 0x1fffff, v4
                                        ; implicit-def: $vgpr4
	s_delay_alu instid0(VALU_DEP_1) | instskip(NEXT) | instid1(VALU_DEP_1)
	v_dual_add_nc_u32 v14, 14, v5 :: v_dual_add_nc_u32 v0, v0, v2
                                        ; implicit-def: $vgpr2_vgpr3
	v_cmpx_ne_u32_e32 0, v14
	s_xor_b32 s10, exec_lo, s10
; %bb.1264:                             ;   in Loop: Header=BB6_130 Depth=2
	s_delay_alu instid0(VALU_DEP_2) | instskip(SKIP_1) | instid1(VALU_DEP_1)
	v_cmp_lt_u64_e32 vcc_lo, 0xffffff, v[0:1]
	v_add_nc_u32_e32 v2, 15, v5
	v_cndmask_b32_e32 v4, v14, v2, vcc_lo
	v_cndmask_b32_e64 v2, 0, 1, vcc_lo
	s_delay_alu instid0(VALU_DEP_1)
	v_lshrrev_b64 v[2:3], v2, v[0:1]
; %bb.1265:                             ;   in Loop: Header=BB6_130 Depth=2
	s_and_not1_saveexec_b32 s10, s10
; %bb.1266:                             ;   in Loop: Header=BB6_130 Depth=2
	v_mov_b64_e32 v[2:3], v[0:1]
	v_bfe_u32 v4, v0, 23, 1
; %bb.1267:                             ;   in Loop: Header=BB6_130 Depth=2
	s_or_b32 exec_lo, exec_lo, s10
	s_delay_alu instid0(VALU_DEP_2) | instskip(NEXT) | instid1(VALU_DEP_2)
	v_lshrrev_b64 v[2:3], 21, v[2:3]
	v_cmp_gt_i32_e32 vcc_lo, 32, v4
	v_min_i32_e32 v0, 31, v4
	v_cmp_eq_u32_e64 s10, 0, v4
	s_delay_alu instid0(VALU_DEP_2) | instskip(SKIP_1) | instid1(VALU_DEP_2)
	v_dual_cndmask_b32 v3, 0, v3 :: v_dual_lshlrev_b32 v0, 2, v0
	v_cndmask_b32_e32 v2, 3, v2, vcc_lo
	v_and_b32_e32 v0, 0xfc, v0
	s_delay_alu instid0(VALU_DEP_2) | instskip(NEXT) | instid1(VALU_DEP_2)
	v_cmp_eq_u64_e32 vcc_lo, 0, v[2:3]
	v_and_or_b32 v0, v2, 3, v0
	s_and_b32 s10, s10, vcc_lo
	s_delay_alu instid0(VALU_DEP_1) | instid1(SALU_CYCLE_1)
	v_cndmask_b32_e64 v0, v0, 0, s10
	s_delay_alu instid0(VALU_DEP_1)
	v_or_b32_e32 v70, v0, v8
.LBB6_1268:                             ;   in Loop: Header=BB6_130 Depth=2
	s_or_b32 exec_lo, exec_lo, s42
                                        ; implicit-def: $vgpr8
.LBB6_1269:                             ;   in Loop: Header=BB6_130 Depth=2
	s_and_not1_saveexec_b32 s10, s41
; %bb.1270:                             ;   in Loop: Header=BB6_130 Depth=2
	v_or_b32_e32 v70, 0x7b, v8
; %bb.1271:                             ;   in Loop: Header=BB6_130 Depth=2
	s_or_b32 exec_lo, exec_lo, s10
                                        ; implicit-def: $vgpr2
                                        ; implicit-def: $vgpr3
.LBB6_1272:                             ;   in Loop: Header=BB6_130 Depth=2
	s_and_not1_saveexec_b32 s10, s40
	s_cbranch_execz .LBB6_1278
; %bb.1273:                             ;   in Loop: Header=BB6_130 Depth=2
	s_mov_b32 s40, exec_lo
                                        ; implicit-def: $vgpr70
	v_cmpx_ne_u64_e32 0, v[0:1]
	s_xor_b32 s40, exec_lo, s40
; %bb.1274:                             ;   in Loop: Header=BB6_130 Depth=2
	v_or_b32_e32 v70, 0x7f, v3
                                        ; implicit-def: $vgpr2
; %bb.1275:                             ;   in Loop: Header=BB6_130 Depth=2
	s_and_not1_saveexec_b32 s40, s40
; %bb.1276:                             ;   in Loop: Header=BB6_130 Depth=2
	v_cmp_lt_i32_e32 vcc_lo, -1, v2
	v_mov_b32_e32 v0, 0x7c
	s_delay_alu instid0(VALU_DEP_1)
	v_cndmask_b32_e32 v70, 0xfc, v0, vcc_lo
; %bb.1277:                             ;   in Loop: Header=BB6_130 Depth=2
	s_or_b32 exec_lo, exec_lo, s40
.LBB6_1278:                             ;   in Loop: Header=BB6_130 Depth=2
	s_delay_alu instid0(SALU_CYCLE_1) | instskip(SKIP_2) | instid1(VALU_DEP_1)
	s_or_b32 exec_lo, exec_lo, s10
	v_dual_mov_b32 v3, 0 :: v_dual_lshrrev_b32 v0, 16, v11
	s_mov_b32 s10, exec_lo
	v_and_b32_e32 v2, 0xff, v0
	s_delay_alu instid0(VALU_DEP_1)
	v_cmpx_ne_u16_e32 0, v2
	s_cbranch_execz .LBB6_1288
; %bb.1279:                             ;   in Loop: Header=BB6_130 Depth=2
	v_bfrev_b32_e32 v3, 1
	s_mov_b32 s40, exec_lo
	v_cmpx_ne_u16_e32 0x80, v2
	s_cbranch_execz .LBB6_1287
; %bb.1280:                             ;   in Loop: Header=BB6_130 Depth=2
	v_and_b32_e32 v3, 0x7c0000, v11
	v_bfe_u32 v2, v11, 16, 2
	s_delay_alu instid0(VALU_DEP_2) | instskip(SKIP_1) | instid1(SALU_CYCLE_1)
	v_cmp_ne_u32_e32 vcc_lo, 0x7c0000, v3
                                        ; implicit-def: $vgpr3
	s_and_saveexec_b32 s41, vcc_lo
	s_xor_b32 s41, exec_lo, s41
	s_cbranch_execz .LBB6_1284
; %bb.1281:                             ;   in Loop: Header=BB6_130 Depth=2
	v_bfe_u32 v3, v11, 18, 5
	s_mov_b32 s42, exec_lo
	s_delay_alu instid0(VALU_DEP_1)
	v_cmpx_eq_u32_e32 0, v3
; %bb.1282:                             ;   in Loop: Header=BB6_130 Depth=2
	v_clz_i32_u32_e32 v2, v2
	s_delay_alu instid0(VALU_DEP_1) | instskip(NEXT) | instid1(VALU_DEP_1)
	v_min_u32_e32 v4, 32, v2
	v_subrev_nc_u32_e32 v2, 29, v4
	s_delay_alu instid0(VALU_DEP_1) | instskip(NEXT) | instid1(VALU_DEP_1)
	v_lshlrev_b64_e32 v[2:3], v2, v[0:1]
	v_dual_sub_nc_u32 v3, 30, v4 :: v_dual_bitop2_b32 v2, 3, v2 bitop3:0x40
; %bb.1283:                             ;   in Loop: Header=BB6_130 Depth=2
	s_or_b32 exec_lo, exec_lo, s42
	v_lshlrev_b32_e32 v0, 24, v0
	s_delay_alu instid0(VALU_DEP_1) | instskip(NEXT) | instid1(VALU_DEP_1)
	v_and_b32_e32 v0, 0x80000000, v0
	v_lshl_add_u32 v0, v3, 23, v0
	s_delay_alu instid0(VALU_DEP_1) | instskip(NEXT) | instid1(VALU_DEP_1)
	v_lshl_or_b32 v0, v2, 21, v0
                                        ; implicit-def: $vgpr2
	v_add_nc_u32_e32 v3, 0x38000000, v0
                                        ; implicit-def: $vgpr0
.LBB6_1284:                             ;   in Loop: Header=BB6_130 Depth=2
	s_and_not1_saveexec_b32 s41, s41
; %bb.1285:                             ;   in Loop: Header=BB6_130 Depth=2
	v_bfe_i32 v0, v0, 0, 8
	s_delay_alu instid0(VALU_DEP_1) | instskip(SKIP_1) | instid1(VALU_DEP_1)
	v_cmp_lt_i16_e32 vcc_lo, -1, v0
	v_mov_b32_e32 v0, 0x7f800000
	v_cndmask_b32_e32 v0, 0xff800000, v0, vcc_lo
	v_cmp_eq_u32_e32 vcc_lo, 0, v2
	s_delay_alu instid0(VALU_DEP_2)
	v_cndmask_b32_e32 v3, 0x7f800001, v0, vcc_lo
; %bb.1286:                             ;   in Loop: Header=BB6_130 Depth=2
	s_or_b32 exec_lo, exec_lo, s41
.LBB6_1287:                             ;   in Loop: Header=BB6_130 Depth=2
	s_delay_alu instid0(SALU_CYCLE_1)
	s_or_b32 exec_lo, exec_lo, s40
.LBB6_1288:                             ;   in Loop: Header=BB6_130 Depth=2
	s_delay_alu instid0(SALU_CYCLE_1) | instskip(NEXT) | instid1(VALU_DEP_1)
	s_or_b32 exec_lo, exec_lo, s10
	v_dual_mul_f32 v2, s29, v3 :: v_dual_mov_b32 v5, v1
                                        ; implicit-def: $vgpr81
	s_mov_b32 s10, exec_lo
	s_delay_alu instid0(VALU_DEP_1) | instskip(SKIP_2) | instid1(VALU_DEP_3)
	v_and_b32_e32 v4, 0x7f800000, v2
	v_and_b32_e32 v0, 0x7fffff, v2
	v_lshrrev_b32_e32 v3, 24, v2
	v_cmpx_ne_u64_e32 0x7f800000, v[4:5]
	s_xor_b32 s40, exec_lo, s10
	s_cbranch_execz .LBB6_1302
; %bb.1289:                             ;   in Loop: Header=BB6_130 Depth=2
	v_and_b32_e32 v4, 0x7fffffff, v2
	v_mov_b32_e32 v5, v1
	v_and_b32_e32 v8, 0x80, v3
                                        ; implicit-def: $vgpr81
	s_mov_b32 s10, exec_lo
	s_delay_alu instid0(VALU_DEP_2)
	v_cmpx_gt_u64_e32 0x47600001, v[4:5]
	s_xor_b32 s41, exec_lo, s10
	s_cbranch_execz .LBB6_1299
; %bb.1290:                             ;   in Loop: Header=BB6_130 Depth=2
	v_mov_b32_e32 v81, 0
	s_mov_b32 s42, exec_lo
	v_cmpx_ne_u32_e32 0, v2
	s_cbranch_execz .LBB6_1298
; %bb.1291:                             ;   in Loop: Header=BB6_130 Depth=2
	v_bfe_u32 v14, v2, 23, 8
	v_or_b32_e32 v4, 0x800000, v0
	s_mov_b32 s43, exec_lo
	s_delay_alu instid0(VALU_DEP_2) | instskip(SKIP_1) | instid1(VALU_DEP_2)
	v_dual_mov_b32 v5, v1 :: v_dual_sub_nc_u32 v2, 0x71, v14
	v_cmp_gt_u32_e32 vcc_lo, 0x72, v14
	v_cndmask_b32_e32 v2, 0, v2, vcc_lo
	v_cmp_eq_u32_e32 vcc_lo, 0, v14
	s_delay_alu instid0(VALU_DEP_2) | instskip(NEXT) | instid1(VALU_DEP_1)
	v_cndmask_b32_e64 v15, v2, 0x70, vcc_lo
	v_dual_cndmask_b32 v4, v4, v0, vcc_lo :: v_dual_add_nc_u32 v2, 21, v15
	v_add_nc_u32_e32 v16, 20, v15
	s_delay_alu instid0(VALU_DEP_2) | instskip(NEXT) | instid1(VALU_DEP_2)
	v_lshlrev_b64_e64 v[2:3], v2, -1
	v_lshlrev_b64_e64 v[16:17], v16, 1
	s_delay_alu instid0(VALU_DEP_2) | instskip(NEXT) | instid1(VALU_DEP_3)
	v_bfi_b32 v19, v3, 0, 0
	v_bfi_b32 v18, v2, 0, v4
	v_lshrrev_b64 v[2:3], v15, v[4:5]
	s_delay_alu instid0(VALU_DEP_1) | instskip(NEXT) | instid1(VALU_DEP_3)
	v_mov_b64_e32 v[4:5], v[2:3]
	v_cmpx_eq_u64_e64 v[18:19], v[16:17]
; %bb.1292:                             ;   in Loop: Header=BB6_130 Depth=2
	v_bfe_u32 v4, v2, 21, 1
	v_mov_b32_e32 v5, v1
	s_delay_alu instid0(VALU_DEP_1) | instskip(NEXT) | instid1(VALU_DEP_1)
	v_add_nc_u64_e32 v[4:5], v[2:3], v[4:5]
	v_add_nc_u64_e32 v[4:5], -1, v[4:5]
; %bb.1293:                             ;   in Loop: Header=BB6_130 Depth=2
	s_or_b32 exec_lo, exec_lo, s43
	v_add_nc_u32_e32 v0, 0xffffff81, v14
	v_lshrrev_b32_e32 v3, 23, v2
	s_mov_b32 s10, exec_lo
	s_delay_alu instid0(VALU_DEP_2) | instskip(NEXT) | instid1(VALU_DEP_1)
	v_cndmask_b32_e64 v0, v0, 0xffffff82, vcc_lo
	v_add3_u32 v5, v15, v0, v3
	v_and_b32_e32 v0, 0x1fffff, v4
                                        ; implicit-def: $vgpr4
	s_delay_alu instid0(VALU_DEP_1) | instskip(NEXT) | instid1(VALU_DEP_1)
	v_dual_add_nc_u32 v14, 14, v5 :: v_dual_add_nc_u32 v0, v0, v2
                                        ; implicit-def: $vgpr2_vgpr3
	v_cmpx_ne_u32_e32 0, v14
	s_xor_b32 s10, exec_lo, s10
; %bb.1294:                             ;   in Loop: Header=BB6_130 Depth=2
	s_delay_alu instid0(VALU_DEP_2) | instskip(SKIP_1) | instid1(VALU_DEP_1)
	v_cmp_lt_u64_e32 vcc_lo, 0xffffff, v[0:1]
	v_add_nc_u32_e32 v2, 15, v5
	v_cndmask_b32_e32 v4, v14, v2, vcc_lo
	v_cndmask_b32_e64 v2, 0, 1, vcc_lo
	s_delay_alu instid0(VALU_DEP_1)
	v_lshrrev_b64 v[2:3], v2, v[0:1]
; %bb.1295:                             ;   in Loop: Header=BB6_130 Depth=2
	s_and_not1_saveexec_b32 s10, s10
; %bb.1296:                             ;   in Loop: Header=BB6_130 Depth=2
	v_mov_b64_e32 v[2:3], v[0:1]
	v_bfe_u32 v4, v0, 23, 1
; %bb.1297:                             ;   in Loop: Header=BB6_130 Depth=2
	s_or_b32 exec_lo, exec_lo, s10
	s_delay_alu instid0(VALU_DEP_2) | instskip(NEXT) | instid1(VALU_DEP_2)
	v_lshrrev_b64 v[2:3], 21, v[2:3]
	v_cmp_gt_i32_e32 vcc_lo, 32, v4
	v_min_i32_e32 v0, 31, v4
	v_cmp_eq_u32_e64 s10, 0, v4
	s_delay_alu instid0(VALU_DEP_2) | instskip(SKIP_1) | instid1(VALU_DEP_2)
	v_dual_cndmask_b32 v3, 0, v3 :: v_dual_lshlrev_b32 v0, 2, v0
	v_cndmask_b32_e32 v2, 3, v2, vcc_lo
	v_and_b32_e32 v0, 0xfc, v0
	s_delay_alu instid0(VALU_DEP_2) | instskip(NEXT) | instid1(VALU_DEP_2)
	v_cmp_eq_u64_e32 vcc_lo, 0, v[2:3]
	v_and_or_b32 v0, v2, 3, v0
	s_and_b32 s10, s10, vcc_lo
	s_delay_alu instid0(VALU_DEP_1) | instid1(SALU_CYCLE_1)
	v_cndmask_b32_e64 v0, v0, 0, s10
	s_delay_alu instid0(VALU_DEP_1)
	v_or_b32_e32 v81, v0, v8
.LBB6_1298:                             ;   in Loop: Header=BB6_130 Depth=2
	s_or_b32 exec_lo, exec_lo, s42
                                        ; implicit-def: $vgpr8
.LBB6_1299:                             ;   in Loop: Header=BB6_130 Depth=2
	s_and_not1_saveexec_b32 s10, s41
; %bb.1300:                             ;   in Loop: Header=BB6_130 Depth=2
	v_or_b32_e32 v81, 0x7b, v8
; %bb.1301:                             ;   in Loop: Header=BB6_130 Depth=2
	s_or_b32 exec_lo, exec_lo, s10
                                        ; implicit-def: $vgpr2
                                        ; implicit-def: $vgpr3
.LBB6_1302:                             ;   in Loop: Header=BB6_130 Depth=2
	s_and_not1_saveexec_b32 s10, s40
	s_cbranch_execz .LBB6_1308
; %bb.1303:                             ;   in Loop: Header=BB6_130 Depth=2
	s_mov_b32 s40, exec_lo
                                        ; implicit-def: $vgpr81
	v_cmpx_ne_u64_e32 0, v[0:1]
	s_xor_b32 s40, exec_lo, s40
; %bb.1304:                             ;   in Loop: Header=BB6_130 Depth=2
	v_or_b32_e32 v81, 0x7f, v3
                                        ; implicit-def: $vgpr2
; %bb.1305:                             ;   in Loop: Header=BB6_130 Depth=2
	s_and_not1_saveexec_b32 s40, s40
; %bb.1306:                             ;   in Loop: Header=BB6_130 Depth=2
	v_cmp_lt_i32_e32 vcc_lo, -1, v2
	v_mov_b32_e32 v0, 0x7c
	s_delay_alu instid0(VALU_DEP_1)
	v_cndmask_b32_e32 v81, 0xfc, v0, vcc_lo
; %bb.1307:                             ;   in Loop: Header=BB6_130 Depth=2
	s_or_b32 exec_lo, exec_lo, s40
.LBB6_1308:                             ;   in Loop: Header=BB6_130 Depth=2
	s_delay_alu instid0(SALU_CYCLE_1)
	s_or_b32 exec_lo, exec_lo, s10
	v_mov_b32_e32 v2, 0
	s_mov_b32 s10, exec_lo
	v_cmpx_lt_u64_e64 s[12:13], v[10:11]
	s_cbranch_execz .LBB6_1318
; %bb.1309:                             ;   in Loop: Header=BB6_130 Depth=2
	v_lshrrev_b32_e32 v0, 24, v11
	v_bfrev_b32_e32 v2, 1
	s_mov_b32 s40, exec_lo
	s_delay_alu instid0(VALU_DEP_2)
	v_cmpx_ne_u32_e32 0x80, v0
	s_cbranch_execz .LBB6_1317
; %bb.1310:                             ;   in Loop: Header=BB6_130 Depth=2
	v_and_b32_e32 v2, 0x7c000000, v11
	v_bfe_u32 v3, v11, 24, 2
	s_delay_alu instid0(VALU_DEP_2) | instskip(SKIP_1) | instid1(SALU_CYCLE_1)
	v_cmp_ne_u32_e32 vcc_lo, 0x7c000000, v2
                                        ; implicit-def: $vgpr2
	s_and_saveexec_b32 s41, vcc_lo
	s_xor_b32 s41, exec_lo, s41
	s_cbranch_execz .LBB6_1314
; %bb.1311:                             ;   in Loop: Header=BB6_130 Depth=2
	v_bfe_u32 v2, v11, 26, 5
	s_mov_b32 s42, exec_lo
	s_delay_alu instid0(VALU_DEP_1)
	v_cmpx_eq_u32_e32 0, v2
; %bb.1312:                             ;   in Loop: Header=BB6_130 Depth=2
	v_clz_i32_u32_e32 v2, v3
	s_delay_alu instid0(VALU_DEP_1) | instskip(NEXT) | instid1(VALU_DEP_1)
	v_min_u32_e32 v2, 32, v2
	v_subrev_nc_u32_e32 v3, 29, v2
	s_delay_alu instid0(VALU_DEP_1) | instskip(NEXT) | instid1(VALU_DEP_1)
	v_lshlrev_b64_e32 v[4:5], v3, v[0:1]
	v_dual_sub_nc_u32 v2, 30, v2 :: v_dual_bitop2_b32 v3, 3, v4 bitop3:0x40
; %bb.1313:                             ;   in Loop: Header=BB6_130 Depth=2
	s_or_b32 exec_lo, exec_lo, s42
	v_and_b32_e32 v0, 0x80000000, v11
	s_delay_alu instid0(VALU_DEP_1) | instskip(NEXT) | instid1(VALU_DEP_1)
	v_lshl_add_u32 v0, v2, 23, v0
	v_lshl_or_b32 v0, v3, 21, v0
                                        ; implicit-def: $vgpr3
	s_delay_alu instid0(VALU_DEP_1)
	v_add_nc_u32_e32 v2, 0x38000000, v0
.LBB6_1314:                             ;   in Loop: Header=BB6_130 Depth=2
	s_and_not1_saveexec_b32 s41, s41
; %bb.1315:                             ;   in Loop: Header=BB6_130 Depth=2
	v_cmp_lt_i64_e32 vcc_lo, -1, v[10:11]
	v_mov_b32_e32 v0, 0x7f800000
	s_delay_alu instid0(VALU_DEP_1) | instskip(SKIP_1) | instid1(VALU_DEP_2)
	v_cndmask_b32_e32 v0, 0xff800000, v0, vcc_lo
	v_cmp_eq_u32_e32 vcc_lo, 0, v3
	v_cndmask_b32_e32 v2, 0x7f800001, v0, vcc_lo
; %bb.1316:                             ;   in Loop: Header=BB6_130 Depth=2
	s_or_b32 exec_lo, exec_lo, s41
.LBB6_1317:                             ;   in Loop: Header=BB6_130 Depth=2
	s_delay_alu instid0(SALU_CYCLE_1)
	s_or_b32 exec_lo, exec_lo, s40
.LBB6_1318:                             ;   in Loop: Header=BB6_130 Depth=2
	s_delay_alu instid0(SALU_CYCLE_1) | instskip(NEXT) | instid1(VALU_DEP_1)
	s_or_b32 exec_lo, exec_lo, s10
	v_dual_mul_f32 v2, s29, v2 :: v_dual_mov_b32 v5, v1
                                        ; implicit-def: $vgpr83
	s_mov_b32 s10, exec_lo
	s_delay_alu instid0(VALU_DEP_1) | instskip(SKIP_2) | instid1(VALU_DEP_3)
	v_and_b32_e32 v4, 0x7f800000, v2
	v_and_b32_e32 v0, 0x7fffff, v2
	v_lshrrev_b32_e32 v3, 24, v2
	v_cmpx_ne_u64_e32 0x7f800000, v[4:5]
	s_xor_b32 s40, exec_lo, s10
	s_cbranch_execz .LBB6_1332
; %bb.1319:                             ;   in Loop: Header=BB6_130 Depth=2
	v_and_b32_e32 v4, 0x7fffffff, v2
	v_mov_b32_e32 v5, v1
	v_and_b32_e32 v8, 0x80, v3
                                        ; implicit-def: $vgpr83
	s_mov_b32 s10, exec_lo
	s_delay_alu instid0(VALU_DEP_2)
	v_cmpx_gt_u64_e32 0x47600001, v[4:5]
	s_xor_b32 s41, exec_lo, s10
	s_cbranch_execz .LBB6_1329
; %bb.1320:                             ;   in Loop: Header=BB6_130 Depth=2
	v_mov_b32_e32 v83, 0
	s_mov_b32 s42, exec_lo
	v_cmpx_ne_u32_e32 0, v2
	s_cbranch_execz .LBB6_1328
; %bb.1321:                             ;   in Loop: Header=BB6_130 Depth=2
	v_bfe_u32 v10, v2, 23, 8
	v_or_b32_e32 v4, 0x800000, v0
	s_mov_b32 s43, exec_lo
	s_delay_alu instid0(VALU_DEP_2) | instskip(SKIP_1) | instid1(VALU_DEP_2)
	v_dual_mov_b32 v5, v1 :: v_dual_sub_nc_u32 v2, 0x71, v10
	v_cmp_gt_u32_e32 vcc_lo, 0x72, v10
	v_cndmask_b32_e32 v2, 0, v2, vcc_lo
	v_cmp_eq_u32_e32 vcc_lo, 0, v10
	s_delay_alu instid0(VALU_DEP_2) | instskip(NEXT) | instid1(VALU_DEP_1)
	v_cndmask_b32_e64 v11, v2, 0x70, vcc_lo
	v_dual_cndmask_b32 v4, v4, v0, vcc_lo :: v_dual_add_nc_u32 v2, 21, v11
	v_add_nc_u32_e32 v14, 20, v11
	s_delay_alu instid0(VALU_DEP_2) | instskip(NEXT) | instid1(VALU_DEP_2)
	v_lshlrev_b64_e64 v[2:3], v2, -1
	v_lshlrev_b64_e64 v[14:15], v14, 1
	s_delay_alu instid0(VALU_DEP_2) | instskip(NEXT) | instid1(VALU_DEP_3)
	v_bfi_b32 v17, v3, 0, 0
	v_bfi_b32 v16, v2, 0, v4
	v_lshrrev_b64 v[2:3], v11, v[4:5]
	s_delay_alu instid0(VALU_DEP_1) | instskip(NEXT) | instid1(VALU_DEP_3)
	v_mov_b64_e32 v[4:5], v[2:3]
	v_cmpx_eq_u64_e64 v[16:17], v[14:15]
; %bb.1322:                             ;   in Loop: Header=BB6_130 Depth=2
	v_bfe_u32 v4, v2, 21, 1
	v_mov_b32_e32 v5, v1
	s_delay_alu instid0(VALU_DEP_1) | instskip(NEXT) | instid1(VALU_DEP_1)
	v_add_nc_u64_e32 v[4:5], v[2:3], v[4:5]
	v_add_nc_u64_e32 v[4:5], -1, v[4:5]
; %bb.1323:                             ;   in Loop: Header=BB6_130 Depth=2
	s_or_b32 exec_lo, exec_lo, s43
	v_add_nc_u32_e32 v0, 0xffffff81, v10
	v_lshrrev_b32_e32 v3, 23, v2
	s_mov_b32 s10, exec_lo
	s_delay_alu instid0(VALU_DEP_2) | instskip(NEXT) | instid1(VALU_DEP_1)
	v_cndmask_b32_e64 v0, v0, 0xffffff82, vcc_lo
	v_add3_u32 v5, v11, v0, v3
	v_and_b32_e32 v0, 0x1fffff, v4
                                        ; implicit-def: $vgpr4
	s_delay_alu instid0(VALU_DEP_1) | instskip(NEXT) | instid1(VALU_DEP_1)
	v_dual_add_nc_u32 v10, 14, v5 :: v_dual_add_nc_u32 v0, v0, v2
                                        ; implicit-def: $vgpr2_vgpr3
	v_cmpx_ne_u32_e32 0, v10
	s_xor_b32 s10, exec_lo, s10
; %bb.1324:                             ;   in Loop: Header=BB6_130 Depth=2
	s_delay_alu instid0(VALU_DEP_2) | instskip(SKIP_1) | instid1(VALU_DEP_1)
	v_cmp_lt_u64_e32 vcc_lo, 0xffffff, v[0:1]
	v_add_nc_u32_e32 v2, 15, v5
	v_cndmask_b32_e32 v4, v10, v2, vcc_lo
	v_cndmask_b32_e64 v2, 0, 1, vcc_lo
	s_delay_alu instid0(VALU_DEP_1)
	v_lshrrev_b64 v[2:3], v2, v[0:1]
; %bb.1325:                             ;   in Loop: Header=BB6_130 Depth=2
	s_and_not1_saveexec_b32 s10, s10
; %bb.1326:                             ;   in Loop: Header=BB6_130 Depth=2
	v_mov_b64_e32 v[2:3], v[0:1]
	v_bfe_u32 v4, v0, 23, 1
; %bb.1327:                             ;   in Loop: Header=BB6_130 Depth=2
	s_or_b32 exec_lo, exec_lo, s10
	s_delay_alu instid0(VALU_DEP_2) | instskip(NEXT) | instid1(VALU_DEP_2)
	v_lshrrev_b64 v[2:3], 21, v[2:3]
	v_cmp_gt_i32_e32 vcc_lo, 32, v4
	v_min_i32_e32 v0, 31, v4
	v_cmp_eq_u32_e64 s10, 0, v4
	s_delay_alu instid0(VALU_DEP_2) | instskip(SKIP_1) | instid1(VALU_DEP_2)
	v_dual_cndmask_b32 v3, 0, v3 :: v_dual_lshlrev_b32 v0, 2, v0
	v_cndmask_b32_e32 v2, 3, v2, vcc_lo
	v_and_b32_e32 v0, 0xfc, v0
	s_delay_alu instid0(VALU_DEP_2) | instskip(NEXT) | instid1(VALU_DEP_2)
	v_cmp_eq_u64_e32 vcc_lo, 0, v[2:3]
	v_and_or_b32 v0, v2, 3, v0
	s_and_b32 s10, s10, vcc_lo
	s_delay_alu instid0(VALU_DEP_1) | instid1(SALU_CYCLE_1)
	v_cndmask_b32_e64 v0, v0, 0, s10
	s_delay_alu instid0(VALU_DEP_1)
	v_or_b32_e32 v83, v0, v8
.LBB6_1328:                             ;   in Loop: Header=BB6_130 Depth=2
	s_or_b32 exec_lo, exec_lo, s42
                                        ; implicit-def: $vgpr8
.LBB6_1329:                             ;   in Loop: Header=BB6_130 Depth=2
	s_and_not1_saveexec_b32 s10, s41
; %bb.1330:                             ;   in Loop: Header=BB6_130 Depth=2
	v_or_b32_e32 v83, 0x7b, v8
; %bb.1331:                             ;   in Loop: Header=BB6_130 Depth=2
	s_or_b32 exec_lo, exec_lo, s10
                                        ; implicit-def: $vgpr2
                                        ; implicit-def: $vgpr3
.LBB6_1332:                             ;   in Loop: Header=BB6_130 Depth=2
	s_and_not1_saveexec_b32 s10, s40
	s_cbranch_execz .LBB6_1338
; %bb.1333:                             ;   in Loop: Header=BB6_130 Depth=2
	s_mov_b32 s40, exec_lo
                                        ; implicit-def: $vgpr83
	v_cmpx_ne_u64_e32 0, v[0:1]
	s_xor_b32 s40, exec_lo, s40
; %bb.1334:                             ;   in Loop: Header=BB6_130 Depth=2
	v_or_b32_e32 v83, 0x7f, v3
                                        ; implicit-def: $vgpr2
; %bb.1335:                             ;   in Loop: Header=BB6_130 Depth=2
	s_and_not1_saveexec_b32 s40, s40
; %bb.1336:                             ;   in Loop: Header=BB6_130 Depth=2
	v_cmp_lt_i32_e32 vcc_lo, -1, v2
	v_mov_b32_e32 v0, 0x7c
	s_delay_alu instid0(VALU_DEP_1)
	v_cndmask_b32_e32 v83, 0xfc, v0, vcc_lo
; %bb.1337:                             ;   in Loop: Header=BB6_130 Depth=2
	s_or_b32 exec_lo, exec_lo, s40
.LBB6_1338:                             ;   in Loop: Header=BB6_130 Depth=2
	s_delay_alu instid0(SALU_CYCLE_1) | instskip(SKIP_1) | instid1(VALU_DEP_1)
	s_or_b32 exec_lo, exec_lo, s10
	v_and_b32_e32 v0, 0xff, v12
	v_cmp_ne_u16_e32 vcc_lo, 0, v0
	v_mov_b32_e32 v0, 0
	s_and_saveexec_b32 s10, vcc_lo
	s_cbranch_execz .LBB6_1348
; %bb.1339:                             ;   in Loop: Header=BB6_130 Depth=2
	v_bfe_i32 v3, v12, 0, 8
	v_bfrev_b32_e32 v0, 1
	s_mov_b32 s40, exec_lo
	s_delay_alu instid0(VALU_DEP_2)
	v_cmpx_ne_u16_e32 0xff80, v3
	s_cbranch_execz .LBB6_1347
; %bb.1340:                             ;   in Loop: Header=BB6_130 Depth=2
	v_and_b32_e32 v0, 0x7c, v12
	v_and_b32_e32 v2, 3, v12
	s_delay_alu instid0(VALU_DEP_2) | instskip(SKIP_1) | instid1(SALU_CYCLE_1)
	v_cmp_ne_u32_e32 vcc_lo, 0x7c, v0
                                        ; implicit-def: $vgpr0
	s_and_saveexec_b32 s41, vcc_lo
	s_xor_b32 s41, exec_lo, s41
	s_cbranch_execz .LBB6_1344
; %bb.1341:                             ;   in Loop: Header=BB6_130 Depth=2
	v_bfe_u32 v0, v12, 2, 5
	s_mov_b32 s42, exec_lo
	s_delay_alu instid0(VALU_DEP_1)
	v_cmpx_eq_u32_e32 0, v0
; %bb.1342:                             ;   in Loop: Header=BB6_130 Depth=2
	v_clz_i32_u32_e32 v0, v2
	s_delay_alu instid0(VALU_DEP_1) | instskip(NEXT) | instid1(VALU_DEP_1)
	v_min_u32_e32 v0, 32, v0
	v_subrev_nc_u32_e32 v2, 29, v0
	s_delay_alu instid0(VALU_DEP_1) | instskip(NEXT) | instid1(VALU_DEP_1)
	v_lshlrev_b64_e32 v[2:3], v2, v[12:13]
	v_dual_sub_nc_u32 v0, 30, v0 :: v_dual_bitop2_b32 v2, 3, v2 bitop3:0x40
; %bb.1343:                             ;   in Loop: Header=BB6_130 Depth=2
	s_or_b32 exec_lo, exec_lo, s42
	v_lshlrev_b32_e32 v3, 24, v12
	s_delay_alu instid0(VALU_DEP_1) | instskip(NEXT) | instid1(VALU_DEP_1)
	v_and_b32_e32 v3, 0x80000000, v3
	v_lshl_add_u32 v0, v0, 23, v3
                                        ; implicit-def: $vgpr3
	s_delay_alu instid0(VALU_DEP_1) | instskip(NEXT) | instid1(VALU_DEP_1)
	v_lshl_or_b32 v0, v2, 21, v0
                                        ; implicit-def: $vgpr2
	v_add_nc_u32_e32 v0, 0x38000000, v0
.LBB6_1344:                             ;   in Loop: Header=BB6_130 Depth=2
	s_and_not1_saveexec_b32 s41, s41
; %bb.1345:                             ;   in Loop: Header=BB6_130 Depth=2
	v_cmp_lt_i16_e32 vcc_lo, -1, v3
	v_mov_b32_e32 v0, 0x7f800000
	s_delay_alu instid0(VALU_DEP_1) | instskip(SKIP_1) | instid1(VALU_DEP_2)
	v_cndmask_b32_e32 v0, 0xff800000, v0, vcc_lo
	v_cmp_eq_u32_e32 vcc_lo, 0, v2
	v_cndmask_b32_e32 v0, 0x7f800001, v0, vcc_lo
; %bb.1346:                             ;   in Loop: Header=BB6_130 Depth=2
	s_or_b32 exec_lo, exec_lo, s41
.LBB6_1347:                             ;   in Loop: Header=BB6_130 Depth=2
	s_delay_alu instid0(SALU_CYCLE_1)
	s_or_b32 exec_lo, exec_lo, s40
.LBB6_1348:                             ;   in Loop: Header=BB6_130 Depth=2
	s_delay_alu instid0(SALU_CYCLE_1) | instskip(NEXT) | instid1(VALU_DEP_1)
	s_or_b32 exec_lo, exec_lo, s10
	v_dual_mul_f32 v2, s29, v0 :: v_dual_mov_b32 v5, v1
                                        ; implicit-def: $vgpr55
	s_mov_b32 s10, exec_lo
	s_delay_alu instid0(VALU_DEP_1) | instskip(SKIP_2) | instid1(VALU_DEP_3)
	v_and_b32_e32 v4, 0x7f800000, v2
	v_and_b32_e32 v0, 0x7fffff, v2
	v_lshrrev_b32_e32 v3, 24, v2
	v_cmpx_ne_u64_e32 0x7f800000, v[4:5]
	s_xor_b32 s40, exec_lo, s10
	s_cbranch_execz .LBB6_1362
; %bb.1349:                             ;   in Loop: Header=BB6_130 Depth=2
	v_and_b32_e32 v4, 0x7fffffff, v2
	v_mov_b32_e32 v5, v1
	v_and_b32_e32 v8, 0x80, v3
                                        ; implicit-def: $vgpr55
	s_mov_b32 s10, exec_lo
	s_delay_alu instid0(VALU_DEP_2)
	v_cmpx_gt_u64_e32 0x47600001, v[4:5]
	s_xor_b32 s41, exec_lo, s10
	s_cbranch_execz .LBB6_1359
; %bb.1350:                             ;   in Loop: Header=BB6_130 Depth=2
	v_mov_b32_e32 v55, 0
	s_mov_b32 s42, exec_lo
	v_cmpx_ne_u32_e32 0, v2
	s_cbranch_execz .LBB6_1358
; %bb.1351:                             ;   in Loop: Header=BB6_130 Depth=2
	v_bfe_u32 v10, v2, 23, 8
	v_or_b32_e32 v4, 0x800000, v0
	s_mov_b32 s43, exec_lo
	s_delay_alu instid0(VALU_DEP_2) | instskip(SKIP_1) | instid1(VALU_DEP_2)
	v_dual_mov_b32 v5, v1 :: v_dual_sub_nc_u32 v2, 0x71, v10
	v_cmp_gt_u32_e32 vcc_lo, 0x72, v10
	v_cndmask_b32_e32 v2, 0, v2, vcc_lo
	v_cmp_eq_u32_e32 vcc_lo, 0, v10
	s_delay_alu instid0(VALU_DEP_2) | instskip(NEXT) | instid1(VALU_DEP_1)
	v_cndmask_b32_e64 v11, v2, 0x70, vcc_lo
	v_dual_cndmask_b32 v4, v4, v0, vcc_lo :: v_dual_add_nc_u32 v2, 21, v11
	v_add_nc_u32_e32 v14, 20, v11
	s_delay_alu instid0(VALU_DEP_2) | instskip(NEXT) | instid1(VALU_DEP_2)
	v_lshlrev_b64_e64 v[2:3], v2, -1
	v_lshlrev_b64_e64 v[14:15], v14, 1
	s_delay_alu instid0(VALU_DEP_2) | instskip(NEXT) | instid1(VALU_DEP_3)
	v_bfi_b32 v17, v3, 0, 0
	v_bfi_b32 v16, v2, 0, v4
	v_lshrrev_b64 v[2:3], v11, v[4:5]
	s_delay_alu instid0(VALU_DEP_1) | instskip(NEXT) | instid1(VALU_DEP_3)
	v_mov_b64_e32 v[4:5], v[2:3]
	v_cmpx_eq_u64_e64 v[16:17], v[14:15]
; %bb.1352:                             ;   in Loop: Header=BB6_130 Depth=2
	v_bfe_u32 v4, v2, 21, 1
	v_mov_b32_e32 v5, v1
	s_delay_alu instid0(VALU_DEP_1) | instskip(NEXT) | instid1(VALU_DEP_1)
	v_add_nc_u64_e32 v[4:5], v[2:3], v[4:5]
	v_add_nc_u64_e32 v[4:5], -1, v[4:5]
; %bb.1353:                             ;   in Loop: Header=BB6_130 Depth=2
	s_or_b32 exec_lo, exec_lo, s43
	v_add_nc_u32_e32 v0, 0xffffff81, v10
	v_lshrrev_b32_e32 v3, 23, v2
	s_mov_b32 s10, exec_lo
	s_delay_alu instid0(VALU_DEP_2) | instskip(NEXT) | instid1(VALU_DEP_1)
	v_cndmask_b32_e64 v0, v0, 0xffffff82, vcc_lo
	v_add3_u32 v5, v11, v0, v3
	v_and_b32_e32 v0, 0x1fffff, v4
                                        ; implicit-def: $vgpr4
	s_delay_alu instid0(VALU_DEP_1) | instskip(NEXT) | instid1(VALU_DEP_1)
	v_dual_add_nc_u32 v10, 14, v5 :: v_dual_add_nc_u32 v0, v0, v2
                                        ; implicit-def: $vgpr2_vgpr3
	v_cmpx_ne_u32_e32 0, v10
	s_xor_b32 s10, exec_lo, s10
; %bb.1354:                             ;   in Loop: Header=BB6_130 Depth=2
	s_delay_alu instid0(VALU_DEP_2) | instskip(SKIP_1) | instid1(VALU_DEP_1)
	v_cmp_lt_u64_e32 vcc_lo, 0xffffff, v[0:1]
	v_add_nc_u32_e32 v2, 15, v5
	v_cndmask_b32_e32 v4, v10, v2, vcc_lo
	v_cndmask_b32_e64 v2, 0, 1, vcc_lo
	s_delay_alu instid0(VALU_DEP_1)
	v_lshrrev_b64 v[2:3], v2, v[0:1]
; %bb.1355:                             ;   in Loop: Header=BB6_130 Depth=2
	s_and_not1_saveexec_b32 s10, s10
; %bb.1356:                             ;   in Loop: Header=BB6_130 Depth=2
	v_mov_b64_e32 v[2:3], v[0:1]
	v_bfe_u32 v4, v0, 23, 1
; %bb.1357:                             ;   in Loop: Header=BB6_130 Depth=2
	s_or_b32 exec_lo, exec_lo, s10
	s_delay_alu instid0(VALU_DEP_2) | instskip(NEXT) | instid1(VALU_DEP_2)
	v_lshrrev_b64 v[2:3], 21, v[2:3]
	v_cmp_gt_i32_e32 vcc_lo, 32, v4
	v_min_i32_e32 v0, 31, v4
	v_cmp_eq_u32_e64 s10, 0, v4
	s_delay_alu instid0(VALU_DEP_2) | instskip(SKIP_1) | instid1(VALU_DEP_2)
	v_dual_cndmask_b32 v3, 0, v3 :: v_dual_lshlrev_b32 v0, 2, v0
	v_cndmask_b32_e32 v2, 3, v2, vcc_lo
	v_and_b32_e32 v0, 0xfc, v0
	s_delay_alu instid0(VALU_DEP_2) | instskip(NEXT) | instid1(VALU_DEP_2)
	v_cmp_eq_u64_e32 vcc_lo, 0, v[2:3]
	v_and_or_b32 v0, v2, 3, v0
	s_and_b32 s10, s10, vcc_lo
	s_delay_alu instid0(VALU_DEP_1) | instid1(SALU_CYCLE_1)
	v_cndmask_b32_e64 v0, v0, 0, s10
	s_delay_alu instid0(VALU_DEP_1)
	v_or_b32_e32 v55, v0, v8
.LBB6_1358:                             ;   in Loop: Header=BB6_130 Depth=2
	s_or_b32 exec_lo, exec_lo, s42
                                        ; implicit-def: $vgpr8
.LBB6_1359:                             ;   in Loop: Header=BB6_130 Depth=2
	s_and_not1_saveexec_b32 s10, s41
; %bb.1360:                             ;   in Loop: Header=BB6_130 Depth=2
	v_or_b32_e32 v55, 0x7b, v8
; %bb.1361:                             ;   in Loop: Header=BB6_130 Depth=2
	s_or_b32 exec_lo, exec_lo, s10
                                        ; implicit-def: $vgpr2
                                        ; implicit-def: $vgpr3
.LBB6_1362:                             ;   in Loop: Header=BB6_130 Depth=2
	s_and_not1_saveexec_b32 s10, s40
	s_cbranch_execz .LBB6_1368
; %bb.1363:                             ;   in Loop: Header=BB6_130 Depth=2
	s_mov_b32 s40, exec_lo
                                        ; implicit-def: $vgpr55
	v_cmpx_ne_u64_e32 0, v[0:1]
	s_xor_b32 s40, exec_lo, s40
; %bb.1364:                             ;   in Loop: Header=BB6_130 Depth=2
	v_or_b32_e32 v55, 0x7f, v3
                                        ; implicit-def: $vgpr2
; %bb.1365:                             ;   in Loop: Header=BB6_130 Depth=2
	s_and_not1_saveexec_b32 s40, s40
; %bb.1366:                             ;   in Loop: Header=BB6_130 Depth=2
	v_cmp_lt_i32_e32 vcc_lo, -1, v2
	v_mov_b32_e32 v0, 0x7c
	s_delay_alu instid0(VALU_DEP_1)
	v_cndmask_b32_e32 v55, 0xfc, v0, vcc_lo
; %bb.1367:                             ;   in Loop: Header=BB6_130 Depth=2
	s_or_b32 exec_lo, exec_lo, s40
.LBB6_1368:                             ;   in Loop: Header=BB6_130 Depth=2
	s_delay_alu instid0(SALU_CYCLE_1) | instskip(SKIP_3) | instid1(VALU_DEP_2)
	s_or_b32 exec_lo, exec_lo, s10
	v_lshrrev_b16 v2, 8, v12
	v_mov_b32_e32 v3, 0
	s_mov_b32 s10, exec_lo
	v_cmpx_ne_u16_e32 0, v2
	s_cbranch_execz .LBB6_1378
; %bb.1369:                             ;   in Loop: Header=BB6_130 Depth=2
	v_bfrev_b32_e32 v3, 1
	s_mov_b32 s40, exec_lo
	v_cmpx_ne_u16_e32 0x80, v2
	s_cbranch_execz .LBB6_1377
; %bb.1370:                             ;   in Loop: Header=BB6_130 Depth=2
	v_and_b32_e32 v4, 0xffff, v2
	s_delay_alu instid0(VALU_DEP_1) | instskip(SKIP_1) | instid1(VALU_DEP_2)
	v_and_b32_e32 v3, 0x7c, v4
	v_and_b32_e32 v0, 3, v4
	v_cmp_ne_u32_e32 vcc_lo, 0x7c, v3
                                        ; implicit-def: $vgpr3
	s_and_saveexec_b32 s41, vcc_lo
	s_delay_alu instid0(SALU_CYCLE_1)
	s_xor_b32 s41, exec_lo, s41
	s_cbranch_execz .LBB6_1374
; %bb.1371:                             ;   in Loop: Header=BB6_130 Depth=2
	v_bfe_u32 v3, v4, 2, 5
	s_mov_b32 s42, exec_lo
	s_delay_alu instid0(VALU_DEP_1)
	v_cmpx_eq_u32_e32 0, v3
; %bb.1372:                             ;   in Loop: Header=BB6_130 Depth=2
	v_clz_i32_u32_e32 v0, v0
	v_mov_b32_e32 v3, v1
	s_delay_alu instid0(VALU_DEP_2) | instskip(NEXT) | instid1(VALU_DEP_1)
	v_min_u32_e32 v0, 32, v0
	v_subrev_nc_u32_e32 v4, 29, v0
	s_delay_alu instid0(VALU_DEP_1) | instskip(NEXT) | instid1(VALU_DEP_1)
	v_lshlrev_b64_e32 v[2:3], v4, v[2:3]
	v_dual_sub_nc_u32 v3, 30, v0 :: v_dual_bitop2_b32 v0, 3, v2 bitop3:0x40
; %bb.1373:                             ;   in Loop: Header=BB6_130 Depth=2
	s_or_b32 exec_lo, exec_lo, s42
	v_lshlrev_b32_e32 v2, 16, v12
	s_delay_alu instid0(VALU_DEP_1) | instskip(NEXT) | instid1(VALU_DEP_1)
	v_and_b32_e32 v2, 0x80000000, v2
	v_lshl_add_u32 v2, v3, 23, v2
	s_delay_alu instid0(VALU_DEP_1) | instskip(NEXT) | instid1(VALU_DEP_1)
	v_lshl_or_b32 v0, v0, 21, v2
	v_add_nc_u32_e32 v3, 0x38000000, v0
                                        ; implicit-def: $vgpr0
.LBB6_1374:                             ;   in Loop: Header=BB6_130 Depth=2
	s_and_not1_saveexec_b32 s41, s41
; %bb.1375:                             ;   in Loop: Header=BB6_130 Depth=2
	v_cmp_lt_i16_e32 vcc_lo, -1, v12
	v_mov_b32_e32 v2, 0x7f800000
	s_delay_alu instid0(VALU_DEP_1) | instskip(SKIP_1) | instid1(VALU_DEP_2)
	v_cndmask_b32_e32 v2, 0xff800000, v2, vcc_lo
	v_cmp_eq_u32_e32 vcc_lo, 0, v0
	v_cndmask_b32_e32 v3, 0x7f800001, v2, vcc_lo
; %bb.1376:                             ;   in Loop: Header=BB6_130 Depth=2
	s_or_b32 exec_lo, exec_lo, s41
.LBB6_1377:                             ;   in Loop: Header=BB6_130 Depth=2
	s_delay_alu instid0(SALU_CYCLE_1)
	s_or_b32 exec_lo, exec_lo, s40
.LBB6_1378:                             ;   in Loop: Header=BB6_130 Depth=2
	s_delay_alu instid0(SALU_CYCLE_1) | instskip(NEXT) | instid1(VALU_DEP_1)
	s_or_b32 exec_lo, exec_lo, s10
	v_dual_mul_f32 v2, s29, v3 :: v_dual_mov_b32 v5, v1
                                        ; implicit-def: $vgpr66
	s_mov_b32 s10, exec_lo
	s_delay_alu instid0(VALU_DEP_1) | instskip(SKIP_2) | instid1(VALU_DEP_3)
	v_and_b32_e32 v4, 0x7f800000, v2
	v_and_b32_e32 v0, 0x7fffff, v2
	v_lshrrev_b32_e32 v3, 24, v2
	v_cmpx_ne_u64_e32 0x7f800000, v[4:5]
	s_xor_b32 s40, exec_lo, s10
	s_cbranch_execz .LBB6_1392
; %bb.1379:                             ;   in Loop: Header=BB6_130 Depth=2
	v_and_b32_e32 v4, 0x7fffffff, v2
	v_mov_b32_e32 v5, v1
	v_and_b32_e32 v8, 0x80, v3
                                        ; implicit-def: $vgpr66
	s_mov_b32 s10, exec_lo
	s_delay_alu instid0(VALU_DEP_2)
	v_cmpx_gt_u64_e32 0x47600001, v[4:5]
	s_xor_b32 s41, exec_lo, s10
	s_cbranch_execz .LBB6_1389
; %bb.1380:                             ;   in Loop: Header=BB6_130 Depth=2
	v_mov_b32_e32 v66, 0
	s_mov_b32 s42, exec_lo
	v_cmpx_ne_u32_e32 0, v2
	s_cbranch_execz .LBB6_1388
; %bb.1381:                             ;   in Loop: Header=BB6_130 Depth=2
	v_bfe_u32 v10, v2, 23, 8
	v_or_b32_e32 v4, 0x800000, v0
	s_mov_b32 s43, exec_lo
	s_delay_alu instid0(VALU_DEP_2) | instskip(SKIP_1) | instid1(VALU_DEP_2)
	v_dual_mov_b32 v5, v1 :: v_dual_sub_nc_u32 v2, 0x71, v10
	v_cmp_gt_u32_e32 vcc_lo, 0x72, v10
	v_cndmask_b32_e32 v2, 0, v2, vcc_lo
	v_cmp_eq_u32_e32 vcc_lo, 0, v10
	s_delay_alu instid0(VALU_DEP_2) | instskip(NEXT) | instid1(VALU_DEP_1)
	v_cndmask_b32_e64 v11, v2, 0x70, vcc_lo
	v_dual_cndmask_b32 v4, v4, v0, vcc_lo :: v_dual_add_nc_u32 v2, 21, v11
	v_add_nc_u32_e32 v14, 20, v11
	s_delay_alu instid0(VALU_DEP_2) | instskip(NEXT) | instid1(VALU_DEP_2)
	v_lshlrev_b64_e64 v[2:3], v2, -1
	v_lshlrev_b64_e64 v[14:15], v14, 1
	s_delay_alu instid0(VALU_DEP_2) | instskip(NEXT) | instid1(VALU_DEP_3)
	v_bfi_b32 v17, v3, 0, 0
	v_bfi_b32 v16, v2, 0, v4
	v_lshrrev_b64 v[2:3], v11, v[4:5]
	s_delay_alu instid0(VALU_DEP_1) | instskip(NEXT) | instid1(VALU_DEP_3)
	v_mov_b64_e32 v[4:5], v[2:3]
	v_cmpx_eq_u64_e64 v[16:17], v[14:15]
; %bb.1382:                             ;   in Loop: Header=BB6_130 Depth=2
	v_bfe_u32 v4, v2, 21, 1
	v_mov_b32_e32 v5, v1
	s_delay_alu instid0(VALU_DEP_1) | instskip(NEXT) | instid1(VALU_DEP_1)
	v_add_nc_u64_e32 v[4:5], v[2:3], v[4:5]
	v_add_nc_u64_e32 v[4:5], -1, v[4:5]
; %bb.1383:                             ;   in Loop: Header=BB6_130 Depth=2
	s_or_b32 exec_lo, exec_lo, s43
	v_add_nc_u32_e32 v0, 0xffffff81, v10
	v_lshrrev_b32_e32 v3, 23, v2
	s_mov_b32 s10, exec_lo
	s_delay_alu instid0(VALU_DEP_2) | instskip(NEXT) | instid1(VALU_DEP_1)
	v_cndmask_b32_e64 v0, v0, 0xffffff82, vcc_lo
	v_add3_u32 v5, v11, v0, v3
	v_and_b32_e32 v0, 0x1fffff, v4
                                        ; implicit-def: $vgpr4
	s_delay_alu instid0(VALU_DEP_1) | instskip(NEXT) | instid1(VALU_DEP_1)
	v_dual_add_nc_u32 v10, 14, v5 :: v_dual_add_nc_u32 v0, v0, v2
                                        ; implicit-def: $vgpr2_vgpr3
	v_cmpx_ne_u32_e32 0, v10
	s_xor_b32 s10, exec_lo, s10
; %bb.1384:                             ;   in Loop: Header=BB6_130 Depth=2
	s_delay_alu instid0(VALU_DEP_2) | instskip(SKIP_1) | instid1(VALU_DEP_1)
	v_cmp_lt_u64_e32 vcc_lo, 0xffffff, v[0:1]
	v_add_nc_u32_e32 v2, 15, v5
	v_cndmask_b32_e32 v4, v10, v2, vcc_lo
	v_cndmask_b32_e64 v2, 0, 1, vcc_lo
	s_delay_alu instid0(VALU_DEP_1)
	v_lshrrev_b64 v[2:3], v2, v[0:1]
; %bb.1385:                             ;   in Loop: Header=BB6_130 Depth=2
	s_and_not1_saveexec_b32 s10, s10
; %bb.1386:                             ;   in Loop: Header=BB6_130 Depth=2
	v_mov_b64_e32 v[2:3], v[0:1]
	v_bfe_u32 v4, v0, 23, 1
; %bb.1387:                             ;   in Loop: Header=BB6_130 Depth=2
	s_or_b32 exec_lo, exec_lo, s10
	s_delay_alu instid0(VALU_DEP_2) | instskip(NEXT) | instid1(VALU_DEP_2)
	v_lshrrev_b64 v[2:3], 21, v[2:3]
	v_cmp_gt_i32_e32 vcc_lo, 32, v4
	v_min_i32_e32 v0, 31, v4
	v_cmp_eq_u32_e64 s10, 0, v4
	s_delay_alu instid0(VALU_DEP_2) | instskip(SKIP_1) | instid1(VALU_DEP_2)
	v_dual_cndmask_b32 v3, 0, v3 :: v_dual_lshlrev_b32 v0, 2, v0
	v_cndmask_b32_e32 v2, 3, v2, vcc_lo
	v_and_b32_e32 v0, 0xfc, v0
	s_delay_alu instid0(VALU_DEP_2) | instskip(NEXT) | instid1(VALU_DEP_2)
	v_cmp_eq_u64_e32 vcc_lo, 0, v[2:3]
	v_and_or_b32 v0, v2, 3, v0
	s_and_b32 s10, s10, vcc_lo
	s_delay_alu instid0(VALU_DEP_1) | instid1(SALU_CYCLE_1)
	v_cndmask_b32_e64 v0, v0, 0, s10
	s_delay_alu instid0(VALU_DEP_1)
	v_or_b32_e32 v66, v0, v8
.LBB6_1388:                             ;   in Loop: Header=BB6_130 Depth=2
	s_or_b32 exec_lo, exec_lo, s42
                                        ; implicit-def: $vgpr8
.LBB6_1389:                             ;   in Loop: Header=BB6_130 Depth=2
	s_and_not1_saveexec_b32 s10, s41
; %bb.1390:                             ;   in Loop: Header=BB6_130 Depth=2
	v_or_b32_e32 v66, 0x7b, v8
; %bb.1391:                             ;   in Loop: Header=BB6_130 Depth=2
	s_or_b32 exec_lo, exec_lo, s10
                                        ; implicit-def: $vgpr2
                                        ; implicit-def: $vgpr3
.LBB6_1392:                             ;   in Loop: Header=BB6_130 Depth=2
	s_and_not1_saveexec_b32 s10, s40
	s_cbranch_execz .LBB6_1398
; %bb.1393:                             ;   in Loop: Header=BB6_130 Depth=2
	s_mov_b32 s40, exec_lo
                                        ; implicit-def: $vgpr66
	v_cmpx_ne_u64_e32 0, v[0:1]
	s_xor_b32 s40, exec_lo, s40
; %bb.1394:                             ;   in Loop: Header=BB6_130 Depth=2
	v_or_b32_e32 v66, 0x7f, v3
                                        ; implicit-def: $vgpr2
; %bb.1395:                             ;   in Loop: Header=BB6_130 Depth=2
	s_and_not1_saveexec_b32 s40, s40
; %bb.1396:                             ;   in Loop: Header=BB6_130 Depth=2
	v_cmp_lt_i32_e32 vcc_lo, -1, v2
	v_mov_b32_e32 v0, 0x7c
	s_delay_alu instid0(VALU_DEP_1)
	v_cndmask_b32_e32 v66, 0xfc, v0, vcc_lo
; %bb.1397:                             ;   in Loop: Header=BB6_130 Depth=2
	s_or_b32 exec_lo, exec_lo, s40
.LBB6_1398:                             ;   in Loop: Header=BB6_130 Depth=2
	s_delay_alu instid0(SALU_CYCLE_1) | instskip(SKIP_2) | instid1(VALU_DEP_1)
	s_or_b32 exec_lo, exec_lo, s10
	v_dual_mov_b32 v3, 0 :: v_dual_lshrrev_b32 v0, 16, v12
	s_mov_b32 s10, exec_lo
	v_and_b32_e32 v2, 0xff, v0
	s_delay_alu instid0(VALU_DEP_1)
	v_cmpx_ne_u16_e32 0, v2
	s_cbranch_execz .LBB6_1408
; %bb.1399:                             ;   in Loop: Header=BB6_130 Depth=2
	v_bfrev_b32_e32 v3, 1
	s_mov_b32 s40, exec_lo
	v_cmpx_ne_u16_e32 0x80, v2
	s_cbranch_execz .LBB6_1407
; %bb.1400:                             ;   in Loop: Header=BB6_130 Depth=2
	v_and_b32_e32 v3, 0x7c0000, v12
	v_bfe_u32 v2, v12, 16, 2
	s_delay_alu instid0(VALU_DEP_2) | instskip(SKIP_1) | instid1(SALU_CYCLE_1)
	v_cmp_ne_u32_e32 vcc_lo, 0x7c0000, v3
                                        ; implicit-def: $vgpr3
	s_and_saveexec_b32 s41, vcc_lo
	s_xor_b32 s41, exec_lo, s41
	s_cbranch_execz .LBB6_1404
; %bb.1401:                             ;   in Loop: Header=BB6_130 Depth=2
	v_bfe_u32 v3, v12, 18, 5
	s_mov_b32 s42, exec_lo
	s_delay_alu instid0(VALU_DEP_1)
	v_cmpx_eq_u32_e32 0, v3
; %bb.1402:                             ;   in Loop: Header=BB6_130 Depth=2
	v_clz_i32_u32_e32 v2, v2
	s_delay_alu instid0(VALU_DEP_1) | instskip(NEXT) | instid1(VALU_DEP_1)
	v_min_u32_e32 v4, 32, v2
	v_subrev_nc_u32_e32 v2, 29, v4
	s_delay_alu instid0(VALU_DEP_1) | instskip(NEXT) | instid1(VALU_DEP_1)
	v_lshlrev_b64_e32 v[2:3], v2, v[0:1]
	v_dual_sub_nc_u32 v3, 30, v4 :: v_dual_bitop2_b32 v2, 3, v2 bitop3:0x40
; %bb.1403:                             ;   in Loop: Header=BB6_130 Depth=2
	s_or_b32 exec_lo, exec_lo, s42
	v_lshlrev_b32_e32 v0, 24, v0
	s_delay_alu instid0(VALU_DEP_1) | instskip(NEXT) | instid1(VALU_DEP_1)
	v_and_b32_e32 v0, 0x80000000, v0
	v_lshl_add_u32 v0, v3, 23, v0
	s_delay_alu instid0(VALU_DEP_1) | instskip(NEXT) | instid1(VALU_DEP_1)
	v_lshl_or_b32 v0, v2, 21, v0
                                        ; implicit-def: $vgpr2
	v_add_nc_u32_e32 v3, 0x38000000, v0
                                        ; implicit-def: $vgpr0
.LBB6_1404:                             ;   in Loop: Header=BB6_130 Depth=2
	s_and_not1_saveexec_b32 s41, s41
; %bb.1405:                             ;   in Loop: Header=BB6_130 Depth=2
	v_bfe_i32 v0, v0, 0, 8
	s_delay_alu instid0(VALU_DEP_1) | instskip(SKIP_1) | instid1(VALU_DEP_1)
	v_cmp_lt_i16_e32 vcc_lo, -1, v0
	v_mov_b32_e32 v0, 0x7f800000
	v_cndmask_b32_e32 v0, 0xff800000, v0, vcc_lo
	v_cmp_eq_u32_e32 vcc_lo, 0, v2
	s_delay_alu instid0(VALU_DEP_2)
	v_cndmask_b32_e32 v3, 0x7f800001, v0, vcc_lo
; %bb.1406:                             ;   in Loop: Header=BB6_130 Depth=2
	s_or_b32 exec_lo, exec_lo, s41
.LBB6_1407:                             ;   in Loop: Header=BB6_130 Depth=2
	s_delay_alu instid0(SALU_CYCLE_1)
	s_or_b32 exec_lo, exec_lo, s40
.LBB6_1408:                             ;   in Loop: Header=BB6_130 Depth=2
	s_delay_alu instid0(SALU_CYCLE_1) | instskip(NEXT) | instid1(VALU_DEP_1)
	s_or_b32 exec_lo, exec_lo, s10
	v_dual_mul_f32 v2, s29, v3 :: v_dual_mov_b32 v5, v1
                                        ; implicit-def: $vgpr69
	s_mov_b32 s10, exec_lo
	s_delay_alu instid0(VALU_DEP_1) | instskip(SKIP_2) | instid1(VALU_DEP_3)
	v_and_b32_e32 v4, 0x7f800000, v2
	v_and_b32_e32 v0, 0x7fffff, v2
	v_lshrrev_b32_e32 v3, 24, v2
	v_cmpx_ne_u64_e32 0x7f800000, v[4:5]
	s_xor_b32 s40, exec_lo, s10
	s_cbranch_execz .LBB6_1422
; %bb.1409:                             ;   in Loop: Header=BB6_130 Depth=2
	v_and_b32_e32 v4, 0x7fffffff, v2
	v_mov_b32_e32 v5, v1
	v_and_b32_e32 v8, 0x80, v3
                                        ; implicit-def: $vgpr69
	s_mov_b32 s10, exec_lo
	s_delay_alu instid0(VALU_DEP_2)
	v_cmpx_gt_u64_e32 0x47600001, v[4:5]
	s_xor_b32 s41, exec_lo, s10
	s_cbranch_execz .LBB6_1419
; %bb.1410:                             ;   in Loop: Header=BB6_130 Depth=2
	v_mov_b32_e32 v69, 0
	s_mov_b32 s42, exec_lo
	v_cmpx_ne_u32_e32 0, v2
	s_cbranch_execz .LBB6_1418
; %bb.1411:                             ;   in Loop: Header=BB6_130 Depth=2
	v_bfe_u32 v10, v2, 23, 8
	v_or_b32_e32 v4, 0x800000, v0
	s_mov_b32 s43, exec_lo
	s_delay_alu instid0(VALU_DEP_2) | instskip(SKIP_1) | instid1(VALU_DEP_2)
	v_dual_mov_b32 v5, v1 :: v_dual_sub_nc_u32 v2, 0x71, v10
	v_cmp_gt_u32_e32 vcc_lo, 0x72, v10
	v_cndmask_b32_e32 v2, 0, v2, vcc_lo
	v_cmp_eq_u32_e32 vcc_lo, 0, v10
	s_delay_alu instid0(VALU_DEP_2) | instskip(NEXT) | instid1(VALU_DEP_1)
	v_cndmask_b32_e64 v11, v2, 0x70, vcc_lo
	v_dual_cndmask_b32 v4, v4, v0, vcc_lo :: v_dual_add_nc_u32 v2, 21, v11
	v_add_nc_u32_e32 v14, 20, v11
	s_delay_alu instid0(VALU_DEP_2) | instskip(NEXT) | instid1(VALU_DEP_2)
	v_lshlrev_b64_e64 v[2:3], v2, -1
	v_lshlrev_b64_e64 v[14:15], v14, 1
	s_delay_alu instid0(VALU_DEP_2) | instskip(NEXT) | instid1(VALU_DEP_3)
	v_bfi_b32 v17, v3, 0, 0
	v_bfi_b32 v16, v2, 0, v4
	v_lshrrev_b64 v[2:3], v11, v[4:5]
	s_delay_alu instid0(VALU_DEP_1) | instskip(NEXT) | instid1(VALU_DEP_3)
	v_mov_b64_e32 v[4:5], v[2:3]
	v_cmpx_eq_u64_e64 v[16:17], v[14:15]
; %bb.1412:                             ;   in Loop: Header=BB6_130 Depth=2
	v_bfe_u32 v4, v2, 21, 1
	v_mov_b32_e32 v5, v1
	s_delay_alu instid0(VALU_DEP_1) | instskip(NEXT) | instid1(VALU_DEP_1)
	v_add_nc_u64_e32 v[4:5], v[2:3], v[4:5]
	v_add_nc_u64_e32 v[4:5], -1, v[4:5]
; %bb.1413:                             ;   in Loop: Header=BB6_130 Depth=2
	s_or_b32 exec_lo, exec_lo, s43
	v_add_nc_u32_e32 v0, 0xffffff81, v10
	v_lshrrev_b32_e32 v3, 23, v2
	s_mov_b32 s10, exec_lo
	s_delay_alu instid0(VALU_DEP_2) | instskip(NEXT) | instid1(VALU_DEP_1)
	v_cndmask_b32_e64 v0, v0, 0xffffff82, vcc_lo
	v_add3_u32 v5, v11, v0, v3
	v_and_b32_e32 v0, 0x1fffff, v4
                                        ; implicit-def: $vgpr4
	s_delay_alu instid0(VALU_DEP_1) | instskip(NEXT) | instid1(VALU_DEP_1)
	v_dual_add_nc_u32 v10, 14, v5 :: v_dual_add_nc_u32 v0, v0, v2
                                        ; implicit-def: $vgpr2_vgpr3
	v_cmpx_ne_u32_e32 0, v10
	s_xor_b32 s10, exec_lo, s10
; %bb.1414:                             ;   in Loop: Header=BB6_130 Depth=2
	s_delay_alu instid0(VALU_DEP_2) | instskip(SKIP_1) | instid1(VALU_DEP_1)
	v_cmp_lt_u64_e32 vcc_lo, 0xffffff, v[0:1]
	v_add_nc_u32_e32 v2, 15, v5
	v_cndmask_b32_e32 v4, v10, v2, vcc_lo
	v_cndmask_b32_e64 v2, 0, 1, vcc_lo
	s_delay_alu instid0(VALU_DEP_1)
	v_lshrrev_b64 v[2:3], v2, v[0:1]
; %bb.1415:                             ;   in Loop: Header=BB6_130 Depth=2
	s_and_not1_saveexec_b32 s10, s10
; %bb.1416:                             ;   in Loop: Header=BB6_130 Depth=2
	v_mov_b64_e32 v[2:3], v[0:1]
	v_bfe_u32 v4, v0, 23, 1
; %bb.1417:                             ;   in Loop: Header=BB6_130 Depth=2
	s_or_b32 exec_lo, exec_lo, s10
	s_delay_alu instid0(VALU_DEP_2) | instskip(NEXT) | instid1(VALU_DEP_2)
	v_lshrrev_b64 v[2:3], 21, v[2:3]
	v_cmp_gt_i32_e32 vcc_lo, 32, v4
	v_min_i32_e32 v0, 31, v4
	v_cmp_eq_u32_e64 s10, 0, v4
	s_delay_alu instid0(VALU_DEP_2) | instskip(SKIP_1) | instid1(VALU_DEP_2)
	v_dual_cndmask_b32 v3, 0, v3 :: v_dual_lshlrev_b32 v0, 2, v0
	v_cndmask_b32_e32 v2, 3, v2, vcc_lo
	v_and_b32_e32 v0, 0xfc, v0
	s_delay_alu instid0(VALU_DEP_2) | instskip(NEXT) | instid1(VALU_DEP_2)
	v_cmp_eq_u64_e32 vcc_lo, 0, v[2:3]
	v_and_or_b32 v0, v2, 3, v0
	s_and_b32 s10, s10, vcc_lo
	s_delay_alu instid0(VALU_DEP_1) | instid1(SALU_CYCLE_1)
	v_cndmask_b32_e64 v0, v0, 0, s10
	s_delay_alu instid0(VALU_DEP_1)
	v_or_b32_e32 v69, v0, v8
.LBB6_1418:                             ;   in Loop: Header=BB6_130 Depth=2
	s_or_b32 exec_lo, exec_lo, s42
                                        ; implicit-def: $vgpr8
.LBB6_1419:                             ;   in Loop: Header=BB6_130 Depth=2
	s_and_not1_saveexec_b32 s10, s41
; %bb.1420:                             ;   in Loop: Header=BB6_130 Depth=2
	v_or_b32_e32 v69, 0x7b, v8
; %bb.1421:                             ;   in Loop: Header=BB6_130 Depth=2
	s_or_b32 exec_lo, exec_lo, s10
                                        ; implicit-def: $vgpr2
                                        ; implicit-def: $vgpr3
.LBB6_1422:                             ;   in Loop: Header=BB6_130 Depth=2
	s_and_not1_saveexec_b32 s10, s40
	s_cbranch_execz .LBB6_1428
; %bb.1423:                             ;   in Loop: Header=BB6_130 Depth=2
	s_mov_b32 s40, exec_lo
                                        ; implicit-def: $vgpr69
	v_cmpx_ne_u64_e32 0, v[0:1]
	s_xor_b32 s40, exec_lo, s40
; %bb.1424:                             ;   in Loop: Header=BB6_130 Depth=2
	v_or_b32_e32 v69, 0x7f, v3
                                        ; implicit-def: $vgpr2
; %bb.1425:                             ;   in Loop: Header=BB6_130 Depth=2
	s_and_not1_saveexec_b32 s40, s40
; %bb.1426:                             ;   in Loop: Header=BB6_130 Depth=2
	v_cmp_lt_i32_e32 vcc_lo, -1, v2
	v_mov_b32_e32 v0, 0x7c
	s_delay_alu instid0(VALU_DEP_1)
	v_cndmask_b32_e32 v69, 0xfc, v0, vcc_lo
; %bb.1427:                             ;   in Loop: Header=BB6_130 Depth=2
	s_or_b32 exec_lo, exec_lo, s40
.LBB6_1428:                             ;   in Loop: Header=BB6_130 Depth=2
	s_delay_alu instid0(SALU_CYCLE_1)
	s_or_b32 exec_lo, exec_lo, s10
	v_mov_b32_e32 v2, 0
	s_mov_b32 s10, exec_lo
	v_cmpx_lt_u32_e32 0xffffff, v12
	s_cbranch_execz .LBB6_1438
; %bb.1429:                             ;   in Loop: Header=BB6_130 Depth=2
	v_lshrrev_b32_e32 v0, 24, v12
	v_bfrev_b32_e32 v2, 1
	s_mov_b32 s40, exec_lo
	s_delay_alu instid0(VALU_DEP_2)
	v_cmpx_ne_u32_e32 0x80, v0
	s_cbranch_execz .LBB6_1437
; %bb.1430:                             ;   in Loop: Header=BB6_130 Depth=2
	v_and_b32_e32 v2, 0x7c000000, v12
	v_bfe_u32 v3, v12, 24, 2
	s_delay_alu instid0(VALU_DEP_2) | instskip(SKIP_1) | instid1(SALU_CYCLE_1)
	v_cmp_ne_u32_e32 vcc_lo, 0x7c000000, v2
                                        ; implicit-def: $vgpr2
	s_and_saveexec_b32 s41, vcc_lo
	s_xor_b32 s41, exec_lo, s41
	s_cbranch_execz .LBB6_1434
; %bb.1431:                             ;   in Loop: Header=BB6_130 Depth=2
	v_bfe_u32 v2, v12, 26, 5
	s_mov_b32 s42, exec_lo
	s_delay_alu instid0(VALU_DEP_1)
	v_cmpx_eq_u32_e32 0, v2
; %bb.1432:                             ;   in Loop: Header=BB6_130 Depth=2
	v_clz_i32_u32_e32 v2, v3
	s_delay_alu instid0(VALU_DEP_1) | instskip(NEXT) | instid1(VALU_DEP_1)
	v_min_u32_e32 v2, 32, v2
	v_subrev_nc_u32_e32 v3, 29, v2
	s_delay_alu instid0(VALU_DEP_1) | instskip(NEXT) | instid1(VALU_DEP_1)
	v_lshlrev_b64_e32 v[4:5], v3, v[0:1]
	v_dual_sub_nc_u32 v2, 30, v2 :: v_dual_bitop2_b32 v3, 3, v4 bitop3:0x40
; %bb.1433:                             ;   in Loop: Header=BB6_130 Depth=2
	s_or_b32 exec_lo, exec_lo, s42
	v_and_b32_e32 v0, 0x80000000, v12
	s_delay_alu instid0(VALU_DEP_1) | instskip(NEXT) | instid1(VALU_DEP_1)
	v_lshl_add_u32 v0, v2, 23, v0
	v_lshl_or_b32 v0, v3, 21, v0
                                        ; implicit-def: $vgpr3
	s_delay_alu instid0(VALU_DEP_1)
	v_add_nc_u32_e32 v2, 0x38000000, v0
.LBB6_1434:                             ;   in Loop: Header=BB6_130 Depth=2
	s_and_not1_saveexec_b32 s41, s41
; %bb.1435:                             ;   in Loop: Header=BB6_130 Depth=2
	v_cmp_lt_i32_e32 vcc_lo, -1, v12
	v_mov_b32_e32 v0, 0x7f800000
	s_delay_alu instid0(VALU_DEP_1) | instskip(SKIP_1) | instid1(VALU_DEP_2)
	v_cndmask_b32_e32 v0, 0xff800000, v0, vcc_lo
	v_cmp_eq_u32_e32 vcc_lo, 0, v3
	v_cndmask_b32_e32 v2, 0x7f800001, v0, vcc_lo
; %bb.1436:                             ;   in Loop: Header=BB6_130 Depth=2
	s_or_b32 exec_lo, exec_lo, s41
.LBB6_1437:                             ;   in Loop: Header=BB6_130 Depth=2
	s_delay_alu instid0(SALU_CYCLE_1)
	s_or_b32 exec_lo, exec_lo, s40
.LBB6_1438:                             ;   in Loop: Header=BB6_130 Depth=2
	s_delay_alu instid0(SALU_CYCLE_1) | instskip(NEXT) | instid1(VALU_DEP_1)
	s_or_b32 exec_lo, exec_lo, s10
	v_dual_mul_f32 v2, s29, v2 :: v_dual_mov_b32 v5, v1
                                        ; implicit-def: $vgpr71
	s_mov_b32 s10, exec_lo
	s_delay_alu instid0(VALU_DEP_1) | instskip(SKIP_2) | instid1(VALU_DEP_3)
	v_and_b32_e32 v4, 0x7f800000, v2
	v_and_b32_e32 v0, 0x7fffff, v2
	v_lshrrev_b32_e32 v3, 24, v2
	v_cmpx_ne_u64_e32 0x7f800000, v[4:5]
	s_xor_b32 s40, exec_lo, s10
	s_cbranch_execz .LBB6_1452
; %bb.1439:                             ;   in Loop: Header=BB6_130 Depth=2
	v_and_b32_e32 v4, 0x7fffffff, v2
	v_mov_b32_e32 v5, v1
	v_and_b32_e32 v8, 0x80, v3
                                        ; implicit-def: $vgpr71
	s_mov_b32 s10, exec_lo
	s_delay_alu instid0(VALU_DEP_2)
	v_cmpx_gt_u64_e32 0x47600001, v[4:5]
	s_xor_b32 s41, exec_lo, s10
	s_cbranch_execz .LBB6_1449
; %bb.1440:                             ;   in Loop: Header=BB6_130 Depth=2
	v_mov_b32_e32 v71, 0
	s_mov_b32 s42, exec_lo
	v_cmpx_ne_u32_e32 0, v2
	s_cbranch_execz .LBB6_1448
; %bb.1441:                             ;   in Loop: Header=BB6_130 Depth=2
	v_bfe_u32 v10, v2, 23, 8
	v_or_b32_e32 v4, 0x800000, v0
	s_mov_b32 s43, exec_lo
	s_delay_alu instid0(VALU_DEP_2) | instskip(SKIP_1) | instid1(VALU_DEP_2)
	v_dual_mov_b32 v5, v1 :: v_dual_sub_nc_u32 v2, 0x71, v10
	v_cmp_gt_u32_e32 vcc_lo, 0x72, v10
	v_cndmask_b32_e32 v2, 0, v2, vcc_lo
	v_cmp_eq_u32_e32 vcc_lo, 0, v10
	s_delay_alu instid0(VALU_DEP_2) | instskip(NEXT) | instid1(VALU_DEP_1)
	v_cndmask_b32_e64 v11, v2, 0x70, vcc_lo
	v_dual_cndmask_b32 v4, v4, v0, vcc_lo :: v_dual_add_nc_u32 v2, 21, v11
	v_add_nc_u32_e32 v14, 20, v11
	s_delay_alu instid0(VALU_DEP_2) | instskip(NEXT) | instid1(VALU_DEP_2)
	v_lshlrev_b64_e64 v[2:3], v2, -1
	v_lshlrev_b64_e64 v[14:15], v14, 1
	s_delay_alu instid0(VALU_DEP_2) | instskip(NEXT) | instid1(VALU_DEP_3)
	v_bfi_b32 v17, v3, 0, 0
	v_bfi_b32 v16, v2, 0, v4
	v_lshrrev_b64 v[2:3], v11, v[4:5]
	s_delay_alu instid0(VALU_DEP_1) | instskip(NEXT) | instid1(VALU_DEP_3)
	v_mov_b64_e32 v[4:5], v[2:3]
	v_cmpx_eq_u64_e64 v[16:17], v[14:15]
; %bb.1442:                             ;   in Loop: Header=BB6_130 Depth=2
	v_bfe_u32 v4, v2, 21, 1
	v_mov_b32_e32 v5, v1
	s_delay_alu instid0(VALU_DEP_1) | instskip(NEXT) | instid1(VALU_DEP_1)
	v_add_nc_u64_e32 v[4:5], v[2:3], v[4:5]
	v_add_nc_u64_e32 v[4:5], -1, v[4:5]
; %bb.1443:                             ;   in Loop: Header=BB6_130 Depth=2
	s_or_b32 exec_lo, exec_lo, s43
	v_add_nc_u32_e32 v0, 0xffffff81, v10
	v_lshrrev_b32_e32 v3, 23, v2
	s_mov_b32 s10, exec_lo
	s_delay_alu instid0(VALU_DEP_2) | instskip(NEXT) | instid1(VALU_DEP_1)
	v_cndmask_b32_e64 v0, v0, 0xffffff82, vcc_lo
	v_add3_u32 v5, v11, v0, v3
	v_and_b32_e32 v0, 0x1fffff, v4
                                        ; implicit-def: $vgpr4
	s_delay_alu instid0(VALU_DEP_1) | instskip(NEXT) | instid1(VALU_DEP_1)
	v_dual_add_nc_u32 v10, 14, v5 :: v_dual_add_nc_u32 v0, v0, v2
                                        ; implicit-def: $vgpr2_vgpr3
	v_cmpx_ne_u32_e32 0, v10
	s_xor_b32 s10, exec_lo, s10
; %bb.1444:                             ;   in Loop: Header=BB6_130 Depth=2
	s_delay_alu instid0(VALU_DEP_2) | instskip(SKIP_1) | instid1(VALU_DEP_1)
	v_cmp_lt_u64_e32 vcc_lo, 0xffffff, v[0:1]
	v_add_nc_u32_e32 v2, 15, v5
	v_cndmask_b32_e32 v4, v10, v2, vcc_lo
	v_cndmask_b32_e64 v2, 0, 1, vcc_lo
	s_delay_alu instid0(VALU_DEP_1)
	v_lshrrev_b64 v[2:3], v2, v[0:1]
; %bb.1445:                             ;   in Loop: Header=BB6_130 Depth=2
	s_and_not1_saveexec_b32 s10, s10
; %bb.1446:                             ;   in Loop: Header=BB6_130 Depth=2
	v_mov_b64_e32 v[2:3], v[0:1]
	v_bfe_u32 v4, v0, 23, 1
; %bb.1447:                             ;   in Loop: Header=BB6_130 Depth=2
	s_or_b32 exec_lo, exec_lo, s10
	s_delay_alu instid0(VALU_DEP_2) | instskip(NEXT) | instid1(VALU_DEP_2)
	v_lshrrev_b64 v[2:3], 21, v[2:3]
	v_cmp_gt_i32_e32 vcc_lo, 32, v4
	v_min_i32_e32 v0, 31, v4
	v_cmp_eq_u32_e64 s10, 0, v4
	s_delay_alu instid0(VALU_DEP_2) | instskip(SKIP_1) | instid1(VALU_DEP_2)
	v_dual_cndmask_b32 v3, 0, v3 :: v_dual_lshlrev_b32 v0, 2, v0
	v_cndmask_b32_e32 v2, 3, v2, vcc_lo
	v_and_b32_e32 v0, 0xfc, v0
	s_delay_alu instid0(VALU_DEP_2) | instskip(NEXT) | instid1(VALU_DEP_2)
	v_cmp_eq_u64_e32 vcc_lo, 0, v[2:3]
	v_and_or_b32 v0, v2, 3, v0
	s_and_b32 s10, s10, vcc_lo
	s_delay_alu instid0(VALU_DEP_1) | instid1(SALU_CYCLE_1)
	v_cndmask_b32_e64 v0, v0, 0, s10
	s_delay_alu instid0(VALU_DEP_1)
	v_or_b32_e32 v71, v0, v8
.LBB6_1448:                             ;   in Loop: Header=BB6_130 Depth=2
	s_or_b32 exec_lo, exec_lo, s42
                                        ; implicit-def: $vgpr8
.LBB6_1449:                             ;   in Loop: Header=BB6_130 Depth=2
	s_and_not1_saveexec_b32 s10, s41
; %bb.1450:                             ;   in Loop: Header=BB6_130 Depth=2
	v_or_b32_e32 v71, 0x7b, v8
; %bb.1451:                             ;   in Loop: Header=BB6_130 Depth=2
	s_or_b32 exec_lo, exec_lo, s10
                                        ; implicit-def: $vgpr2
                                        ; implicit-def: $vgpr3
.LBB6_1452:                             ;   in Loop: Header=BB6_130 Depth=2
	s_and_not1_saveexec_b32 s10, s40
	s_cbranch_execz .LBB6_1458
; %bb.1453:                             ;   in Loop: Header=BB6_130 Depth=2
	s_mov_b32 s40, exec_lo
                                        ; implicit-def: $vgpr71
	v_cmpx_ne_u64_e32 0, v[0:1]
	s_xor_b32 s40, exec_lo, s40
; %bb.1454:                             ;   in Loop: Header=BB6_130 Depth=2
	v_or_b32_e32 v71, 0x7f, v3
                                        ; implicit-def: $vgpr2
; %bb.1455:                             ;   in Loop: Header=BB6_130 Depth=2
	s_and_not1_saveexec_b32 s40, s40
; %bb.1456:                             ;   in Loop: Header=BB6_130 Depth=2
	v_cmp_lt_i32_e32 vcc_lo, -1, v2
	v_mov_b32_e32 v0, 0x7c
	s_delay_alu instid0(VALU_DEP_1)
	v_cndmask_b32_e32 v71, 0xfc, v0, vcc_lo
; %bb.1457:                             ;   in Loop: Header=BB6_130 Depth=2
	s_or_b32 exec_lo, exec_lo, s40
.LBB6_1458:                             ;   in Loop: Header=BB6_130 Depth=2
	s_delay_alu instid0(SALU_CYCLE_1) | instskip(SKIP_3) | instid1(VALU_DEP_2)
	s_or_b32 exec_lo, exec_lo, s10
	v_and_b32_e32 v2, 0xff, v13
	v_dual_mov_b32 v0, v13 :: v_dual_mov_b32 v3, 0
	s_mov_b32 s10, exec_lo
	v_cmpx_ne_u16_e32 0, v2
	s_cbranch_execz .LBB6_1468
; %bb.1459:                             ;   in Loop: Header=BB6_130 Depth=2
	v_bfrev_b32_e32 v3, 1
	s_mov_b32 s40, exec_lo
	v_cmpx_ne_u16_e32 0x80, v2
	s_cbranch_execz .LBB6_1467
; %bb.1460:                             ;   in Loop: Header=BB6_130 Depth=2
	v_and_b32_e32 v3, 0x7c, v13
	v_and_b32_e32 v2, 3, v13
	s_delay_alu instid0(VALU_DEP_2) | instskip(SKIP_1) | instid1(SALU_CYCLE_1)
	v_cmp_ne_u32_e32 vcc_lo, 0x7c, v3
                                        ; implicit-def: $vgpr3
	s_and_saveexec_b32 s41, vcc_lo
	s_xor_b32 s41, exec_lo, s41
	s_cbranch_execz .LBB6_1464
; %bb.1461:                             ;   in Loop: Header=BB6_130 Depth=2
	v_bfe_u32 v3, v13, 2, 5
	s_mov_b32 s42, exec_lo
	s_delay_alu instid0(VALU_DEP_1)
	v_cmpx_eq_u32_e32 0, v3
; %bb.1462:                             ;   in Loop: Header=BB6_130 Depth=2
	v_clz_i32_u32_e32 v2, v2
	s_delay_alu instid0(VALU_DEP_1) | instskip(NEXT) | instid1(VALU_DEP_1)
	v_min_u32_e32 v4, 32, v2
	v_subrev_nc_u32_e32 v2, 29, v4
	s_delay_alu instid0(VALU_DEP_1) | instskip(NEXT) | instid1(VALU_DEP_1)
	v_lshlrev_b64_e32 v[2:3], v2, v[0:1]
	v_dual_sub_nc_u32 v3, 30, v4 :: v_dual_bitop2_b32 v2, 3, v2 bitop3:0x40
; %bb.1463:                             ;   in Loop: Header=BB6_130 Depth=2
	s_or_b32 exec_lo, exec_lo, s42
	v_lshlrev_b32_e32 v4, 24, v13
	s_delay_alu instid0(VALU_DEP_1) | instskip(NEXT) | instid1(VALU_DEP_1)
	v_and_b32_e32 v4, 0x80000000, v4
	v_lshl_add_u32 v3, v3, 23, v4
	s_delay_alu instid0(VALU_DEP_1) | instskip(NEXT) | instid1(VALU_DEP_1)
	v_lshl_or_b32 v2, v2, 21, v3
	v_add_nc_u32_e32 v3, 0x38000000, v2
                                        ; implicit-def: $vgpr2
.LBB6_1464:                             ;   in Loop: Header=BB6_130 Depth=2
	s_and_not1_saveexec_b32 s41, s41
; %bb.1465:                             ;   in Loop: Header=BB6_130 Depth=2
	v_bfe_i32 v3, v13, 0, 8
	s_delay_alu instid0(VALU_DEP_1) | instskip(SKIP_1) | instid1(VALU_DEP_1)
	v_cmp_lt_i16_e32 vcc_lo, -1, v3
	v_mov_b32_e32 v3, 0x7f800000
	v_cndmask_b32_e32 v3, 0xff800000, v3, vcc_lo
	v_cmp_eq_u32_e32 vcc_lo, 0, v2
	s_delay_alu instid0(VALU_DEP_2)
	v_cndmask_b32_e32 v3, 0x7f800001, v3, vcc_lo
; %bb.1466:                             ;   in Loop: Header=BB6_130 Depth=2
	s_or_b32 exec_lo, exec_lo, s41
.LBB6_1467:                             ;   in Loop: Header=BB6_130 Depth=2
	s_delay_alu instid0(SALU_CYCLE_1)
	s_or_b32 exec_lo, exec_lo, s40
.LBB6_1468:                             ;   in Loop: Header=BB6_130 Depth=2
	s_delay_alu instid0(SALU_CYCLE_1) | instskip(NEXT) | instid1(VALU_DEP_1)
	s_or_b32 exec_lo, exec_lo, s10
	v_dual_mul_f32 v4, s29, v3 :: v_dual_mov_b32 v11, v1
	v_mov_b32_e32 v3, v1
                                        ; implicit-def: $vgpr49
	s_mov_b32 s10, exec_lo
	s_delay_alu instid0(VALU_DEP_2) | instskip(SKIP_2) | instid1(VALU_DEP_3)
	v_and_b32_e32 v10, 0x7f800000, v4
	v_and_b32_e32 v2, 0x7fffff, v4
	v_lshrrev_b32_e32 v5, 24, v4
	v_cmpx_ne_u64_e32 0x7f800000, v[10:11]
	s_xor_b32 s40, exec_lo, s10
	s_cbranch_execz .LBB6_1482
; %bb.1469:                             ;   in Loop: Header=BB6_130 Depth=2
	v_and_b32_e32 v10, 0x7fffffff, v4
	v_mov_b32_e32 v11, v1
	v_and_b32_e32 v8, 0x80, v5
                                        ; implicit-def: $vgpr49
	s_mov_b32 s10, exec_lo
	s_delay_alu instid0(VALU_DEP_2)
	v_cmpx_gt_u64_e32 0x47600001, v[10:11]
	s_xor_b32 s41, exec_lo, s10
	s_cbranch_execz .LBB6_1479
; %bb.1470:                             ;   in Loop: Header=BB6_130 Depth=2
	v_mov_b32_e32 v49, 0
	s_mov_b32 s42, exec_lo
	v_cmpx_ne_u32_e32 0, v4
	s_cbranch_execz .LBB6_1478
; %bb.1471:                             ;   in Loop: Header=BB6_130 Depth=2
	v_bfe_u32 v10, v4, 23, 8
	v_or_b32_e32 v14, 0x800000, v2
	s_delay_alu instid0(VALU_DEP_2) | instskip(SKIP_1) | instid1(VALU_DEP_2)
	v_sub_nc_u32_e32 v4, 0x71, v10
	v_cmp_gt_u32_e32 vcc_lo, 0x72, v10
	v_cndmask_b32_e32 v4, 0, v4, vcc_lo
	v_cmp_eq_u32_e32 vcc_lo, 0, v10
	s_delay_alu instid0(VALU_DEP_2) | instskip(NEXT) | instid1(VALU_DEP_1)
	v_cndmask_b32_e64 v11, v4, 0x70, vcc_lo
	v_dual_cndmask_b32 v2, v14, v2, vcc_lo :: v_dual_add_nc_u32 v4, 21, v11
	v_add_nc_u32_e32 v15, 20, v11
	s_delay_alu instid0(VALU_DEP_2) | instskip(NEXT) | instid1(VALU_DEP_2)
	v_lshlrev_b64_e64 v[4:5], v4, -1
	v_lshlrev_b64_e64 v[14:15], v15, 1
	s_delay_alu instid0(VALU_DEP_2) | instskip(SKIP_1) | instid1(VALU_DEP_4)
	v_bfi_b32 v4, v4, 0, v2
	v_lshrrev_b64 v[2:3], v11, v[2:3]
	v_bfi_b32 v5, v5, 0, 0
	s_delay_alu instid0(VALU_DEP_1) | instskip(NEXT) | instid1(VALU_DEP_3)
	v_cmp_eq_u64_e64 s10, v[4:5], v[14:15]
	v_mov_b64_e32 v[4:5], v[2:3]
	s_and_saveexec_b32 s43, s10
; %bb.1472:                             ;   in Loop: Header=BB6_130 Depth=2
	v_bfe_u32 v4, v2, 21, 1
	v_mov_b32_e32 v5, v1
	s_delay_alu instid0(VALU_DEP_1) | instskip(NEXT) | instid1(VALU_DEP_1)
	v_add_nc_u64_e32 v[4:5], v[2:3], v[4:5]
	v_add_nc_u64_e32 v[4:5], -1, v[4:5]
; %bb.1473:                             ;   in Loop: Header=BB6_130 Depth=2
	s_or_b32 exec_lo, exec_lo, s43
	v_add_nc_u32_e32 v3, 0xffffff81, v10
	v_lshrrev_b32_e32 v5, 23, v2
	s_mov_b32 s10, exec_lo
	s_delay_alu instid0(VALU_DEP_2) | instskip(NEXT) | instid1(VALU_DEP_1)
	v_cndmask_b32_e64 v3, v3, 0xffffff82, vcc_lo
	v_add3_u32 v5, v11, v3, v5
	v_and_b32_e32 v3, 0x1fffff, v4
                                        ; implicit-def: $vgpr4
	s_delay_alu instid0(VALU_DEP_1) | instskip(SKIP_1) | instid1(VALU_DEP_2)
	v_dual_add_nc_u32 v10, 14, v5 :: v_dual_add_nc_u32 v2, v3, v2
	v_mov_b32_e32 v3, v1
	v_cmpx_ne_u32_e32 0, v10
	s_xor_b32 s10, exec_lo, s10
; %bb.1474:                             ;   in Loop: Header=BB6_130 Depth=2
	s_delay_alu instid0(VALU_DEP_2) | instskip(SKIP_2) | instid1(VALU_DEP_2)
	v_cmp_lt_u64_e32 vcc_lo, 0xffffff, v[2:3]
	v_add_nc_u32_e32 v4, 15, v5
	v_cndmask_b32_e64 v5, 0, 1, vcc_lo
	v_cndmask_b32_e32 v4, v10, v4, vcc_lo
	s_delay_alu instid0(VALU_DEP_2)
	v_lshrrev_b64 v[2:3], v5, v[2:3]
; %bb.1475:                             ;   in Loop: Header=BB6_130 Depth=2
	s_and_not1_saveexec_b32 s10, s10
; %bb.1476:                             ;   in Loop: Header=BB6_130 Depth=2
	s_delay_alu instid0(VALU_DEP_1)
	v_bfe_u32 v4, v2, 23, 1
; %bb.1477:                             ;   in Loop: Header=BB6_130 Depth=2
	s_or_b32 exec_lo, exec_lo, s10
	s_delay_alu instid0(VALU_DEP_2) | instskip(NEXT) | instid1(VALU_DEP_2)
	v_lshrrev_b64 v[2:3], 21, v[2:3]
	v_cmp_gt_i32_e32 vcc_lo, 32, v4
	v_min_i32_e32 v5, 31, v4
	v_cmp_eq_u32_e64 s10, 0, v4
	s_delay_alu instid0(VALU_DEP_2) | instskip(SKIP_1) | instid1(VALU_DEP_2)
	v_dual_cndmask_b32 v3, 0, v3, vcc_lo :: v_dual_lshlrev_b32 v5, 2, v5
	v_cndmask_b32_e32 v2, 3, v2, vcc_lo
	v_and_b32_e32 v5, 0xfc, v5
	s_delay_alu instid0(VALU_DEP_2) | instskip(NEXT) | instid1(VALU_DEP_2)
	v_cmp_eq_u64_e32 vcc_lo, 0, v[2:3]
	v_and_or_b32 v2, v2, 3, v5
	s_and_b32 s10, s10, vcc_lo
	s_delay_alu instid0(VALU_DEP_1) | instid1(SALU_CYCLE_1)
	v_cndmask_b32_e64 v2, v2, 0, s10
	s_delay_alu instid0(VALU_DEP_1)
	v_or_b32_e32 v49, v2, v8
.LBB6_1478:                             ;   in Loop: Header=BB6_130 Depth=2
	s_or_b32 exec_lo, exec_lo, s42
                                        ; implicit-def: $vgpr8
.LBB6_1479:                             ;   in Loop: Header=BB6_130 Depth=2
	s_and_not1_saveexec_b32 s10, s41
; %bb.1480:                             ;   in Loop: Header=BB6_130 Depth=2
	v_or_b32_e32 v49, 0x7b, v8
; %bb.1481:                             ;   in Loop: Header=BB6_130 Depth=2
	s_or_b32 exec_lo, exec_lo, s10
                                        ; implicit-def: $vgpr4
                                        ; implicit-def: $vgpr2_vgpr3
                                        ; implicit-def: $vgpr5
.LBB6_1482:                             ;   in Loop: Header=BB6_130 Depth=2
	s_and_not1_saveexec_b32 s10, s40
	s_cbranch_execz .LBB6_1488
; %bb.1483:                             ;   in Loop: Header=BB6_130 Depth=2
	s_mov_b32 s40, exec_lo
                                        ; implicit-def: $vgpr49
	v_cmpx_ne_u64_e32 0, v[2:3]
	s_xor_b32 s40, exec_lo, s40
; %bb.1484:                             ;   in Loop: Header=BB6_130 Depth=2
	v_or_b32_e32 v49, 0x7f, v5
                                        ; implicit-def: $vgpr4
; %bb.1485:                             ;   in Loop: Header=BB6_130 Depth=2
	s_and_not1_saveexec_b32 s40, s40
; %bb.1486:                             ;   in Loop: Header=BB6_130 Depth=2
	v_cmp_lt_i32_e32 vcc_lo, -1, v4
	v_mov_b32_e32 v2, 0x7c
	s_delay_alu instid0(VALU_DEP_1)
	v_cndmask_b32_e32 v49, 0xfc, v2, vcc_lo
; %bb.1487:                             ;   in Loop: Header=BB6_130 Depth=2
	s_or_b32 exec_lo, exec_lo, s40
.LBB6_1488:                             ;   in Loop: Header=BB6_130 Depth=2
	s_delay_alu instid0(SALU_CYCLE_1) | instskip(SKIP_3) | instid1(VALU_DEP_2)
	s_or_b32 exec_lo, exec_lo, s10
	v_lshrrev_b16 v2, 8, v0
	v_mov_b32_e32 v4, 0
	s_mov_b32 s10, exec_lo
	v_cmpx_ne_u16_e32 0, v2
	s_cbranch_execz .LBB6_1498
; %bb.1489:                             ;   in Loop: Header=BB6_130 Depth=2
	v_bfrev_b32_e32 v4, 1
	s_mov_b32 s40, exec_lo
	v_cmpx_ne_u16_e32 0x80, v2
	s_cbranch_execz .LBB6_1497
; %bb.1490:                             ;   in Loop: Header=BB6_130 Depth=2
	v_and_b32_e32 v5, 0xffff, v2
	s_delay_alu instid0(VALU_DEP_1) | instskip(SKIP_1) | instid1(VALU_DEP_2)
	v_and_b32_e32 v4, 0x7c, v5
	v_and_b32_e32 v3, 3, v5
	v_cmp_ne_u32_e32 vcc_lo, 0x7c, v4
                                        ; implicit-def: $vgpr4
	s_and_saveexec_b32 s41, vcc_lo
	s_delay_alu instid0(SALU_CYCLE_1)
	s_xor_b32 s41, exec_lo, s41
	s_cbranch_execz .LBB6_1494
; %bb.1491:                             ;   in Loop: Header=BB6_130 Depth=2
	v_bfe_u32 v4, v5, 2, 5
	s_mov_b32 s42, exec_lo
	s_delay_alu instid0(VALU_DEP_1)
	v_cmpx_eq_u32_e32 0, v4
	s_cbranch_execz .LBB6_1493
; %bb.1492:                             ;   in Loop: Header=BB6_130 Depth=2
	v_clz_i32_u32_e32 v3, v3
	s_delay_alu instid0(VALU_DEP_1) | instskip(SKIP_1) | instid1(VALU_DEP_2)
	v_min_u32_e32 v4, 32, v3
	v_mov_b32_e32 v3, v1
	v_subrev_nc_u32_e32 v5, 29, v4
	v_sub_nc_u32_e32 v4, 30, v4
	s_delay_alu instid0(VALU_DEP_2) | instskip(NEXT) | instid1(VALU_DEP_1)
	v_lshlrev_b64_e32 v[2:3], v5, v[2:3]
	v_and_b32_e32 v3, 3, v2
.LBB6_1493:                             ;   in Loop: Header=BB6_130 Depth=2
	s_or_b32 exec_lo, exec_lo, s42
	v_lshlrev_b32_e32 v0, 16, v0
	s_delay_alu instid0(VALU_DEP_1) | instskip(NEXT) | instid1(VALU_DEP_1)
	v_and_b32_e32 v0, 0x80000000, v0
	v_lshl_add_u32 v0, v4, 23, v0
	s_delay_alu instid0(VALU_DEP_1) | instskip(NEXT) | instid1(VALU_DEP_1)
	v_lshl_or_b32 v0, v3, 21, v0
                                        ; implicit-def: $vgpr3
	v_add_nc_u32_e32 v4, 0x38000000, v0
.LBB6_1494:                             ;   in Loop: Header=BB6_130 Depth=2
	s_and_not1_saveexec_b32 s41, s41
; %bb.1495:                             ;   in Loop: Header=BB6_130 Depth=2
	v_cmp_lt_i16_e32 vcc_lo, -1, v0
	v_mov_b32_e32 v0, 0x7f800000
	s_delay_alu instid0(VALU_DEP_1) | instskip(SKIP_1) | instid1(VALU_DEP_2)
	v_cndmask_b32_e32 v0, 0xff800000, v0, vcc_lo
	v_cmp_eq_u32_e32 vcc_lo, 0, v3
	v_cndmask_b32_e32 v4, 0x7f800001, v0, vcc_lo
; %bb.1496:                             ;   in Loop: Header=BB6_130 Depth=2
	s_or_b32 exec_lo, exec_lo, s41
.LBB6_1497:                             ;   in Loop: Header=BB6_130 Depth=2
	s_delay_alu instid0(SALU_CYCLE_1)
	s_or_b32 exec_lo, exec_lo, s40
.LBB6_1498:                             ;   in Loop: Header=BB6_130 Depth=2
	s_delay_alu instid0(SALU_CYCLE_1) | instskip(NEXT) | instid1(VALU_DEP_1)
	s_or_b32 exec_lo, exec_lo, s10
	v_dual_mul_f32 v2, s29, v4 :: v_dual_mov_b32 v5, v1
                                        ; implicit-def: $vgpr52
	s_mov_b32 s10, exec_lo
	s_delay_alu instid0(VALU_DEP_1) | instskip(SKIP_2) | instid1(VALU_DEP_3)
	v_and_b32_e32 v4, 0x7f800000, v2
	v_and_b32_e32 v0, 0x7fffff, v2
	v_lshrrev_b32_e32 v3, 24, v2
	v_cmpx_ne_u64_e32 0x7f800000, v[4:5]
	s_xor_b32 s40, exec_lo, s10
	s_cbranch_execz .LBB6_1512
; %bb.1499:                             ;   in Loop: Header=BB6_130 Depth=2
	v_and_b32_e32 v4, 0x7fffffff, v2
	v_mov_b32_e32 v5, v1
	v_and_b32_e32 v8, 0x80, v3
                                        ; implicit-def: $vgpr52
	s_mov_b32 s10, exec_lo
	s_delay_alu instid0(VALU_DEP_2)
	v_cmpx_gt_u64_e32 0x47600001, v[4:5]
	s_xor_b32 s41, exec_lo, s10
	s_cbranch_execz .LBB6_1509
; %bb.1500:                             ;   in Loop: Header=BB6_130 Depth=2
	v_mov_b32_e32 v52, 0
	s_mov_b32 s42, exec_lo
	v_cmpx_ne_u32_e32 0, v2
	s_cbranch_execz .LBB6_1508
; %bb.1501:                             ;   in Loop: Header=BB6_130 Depth=2
	v_bfe_u32 v10, v2, 23, 8
	v_or_b32_e32 v4, 0x800000, v0
	s_mov_b32 s43, exec_lo
	s_delay_alu instid0(VALU_DEP_2) | instskip(SKIP_1) | instid1(VALU_DEP_2)
	v_dual_mov_b32 v5, v1 :: v_dual_sub_nc_u32 v2, 0x71, v10
	v_cmp_gt_u32_e32 vcc_lo, 0x72, v10
	v_cndmask_b32_e32 v2, 0, v2, vcc_lo
	v_cmp_eq_u32_e32 vcc_lo, 0, v10
	s_delay_alu instid0(VALU_DEP_2) | instskip(NEXT) | instid1(VALU_DEP_1)
	v_cndmask_b32_e64 v11, v2, 0x70, vcc_lo
	v_dual_cndmask_b32 v4, v4, v0, vcc_lo :: v_dual_add_nc_u32 v2, 21, v11
	v_add_nc_u32_e32 v14, 20, v11
	s_delay_alu instid0(VALU_DEP_2) | instskip(NEXT) | instid1(VALU_DEP_2)
	v_lshlrev_b64_e64 v[2:3], v2, -1
	v_lshlrev_b64_e64 v[14:15], v14, 1
	s_delay_alu instid0(VALU_DEP_2) | instskip(NEXT) | instid1(VALU_DEP_3)
	v_bfi_b32 v17, v3, 0, 0
	v_bfi_b32 v16, v2, 0, v4
	v_lshrrev_b64 v[2:3], v11, v[4:5]
	s_delay_alu instid0(VALU_DEP_1) | instskip(NEXT) | instid1(VALU_DEP_3)
	v_mov_b64_e32 v[4:5], v[2:3]
	v_cmpx_eq_u64_e64 v[16:17], v[14:15]
; %bb.1502:                             ;   in Loop: Header=BB6_130 Depth=2
	v_bfe_u32 v4, v2, 21, 1
	v_mov_b32_e32 v5, v1
	s_delay_alu instid0(VALU_DEP_1) | instskip(NEXT) | instid1(VALU_DEP_1)
	v_add_nc_u64_e32 v[4:5], v[2:3], v[4:5]
	v_add_nc_u64_e32 v[4:5], -1, v[4:5]
; %bb.1503:                             ;   in Loop: Header=BB6_130 Depth=2
	s_or_b32 exec_lo, exec_lo, s43
	v_add_nc_u32_e32 v0, 0xffffff81, v10
	v_lshrrev_b32_e32 v3, 23, v2
	s_mov_b32 s10, exec_lo
	s_delay_alu instid0(VALU_DEP_2) | instskip(NEXT) | instid1(VALU_DEP_1)
	v_cndmask_b32_e64 v0, v0, 0xffffff82, vcc_lo
	v_add3_u32 v5, v11, v0, v3
	v_and_b32_e32 v0, 0x1fffff, v4
                                        ; implicit-def: $vgpr4
	s_delay_alu instid0(VALU_DEP_1) | instskip(NEXT) | instid1(VALU_DEP_1)
	v_dual_add_nc_u32 v10, 14, v5 :: v_dual_add_nc_u32 v0, v0, v2
                                        ; implicit-def: $vgpr2_vgpr3
	v_cmpx_ne_u32_e32 0, v10
	s_xor_b32 s10, exec_lo, s10
; %bb.1504:                             ;   in Loop: Header=BB6_130 Depth=2
	s_delay_alu instid0(VALU_DEP_2) | instskip(SKIP_1) | instid1(VALU_DEP_1)
	v_cmp_lt_u64_e32 vcc_lo, 0xffffff, v[0:1]
	v_add_nc_u32_e32 v2, 15, v5
	v_cndmask_b32_e32 v4, v10, v2, vcc_lo
	v_cndmask_b32_e64 v2, 0, 1, vcc_lo
	s_delay_alu instid0(VALU_DEP_1)
	v_lshrrev_b64 v[2:3], v2, v[0:1]
; %bb.1505:                             ;   in Loop: Header=BB6_130 Depth=2
	s_and_not1_saveexec_b32 s10, s10
; %bb.1506:                             ;   in Loop: Header=BB6_130 Depth=2
	v_mov_b64_e32 v[2:3], v[0:1]
	v_bfe_u32 v4, v0, 23, 1
; %bb.1507:                             ;   in Loop: Header=BB6_130 Depth=2
	s_or_b32 exec_lo, exec_lo, s10
	s_delay_alu instid0(VALU_DEP_2) | instskip(NEXT) | instid1(VALU_DEP_2)
	v_lshrrev_b64 v[2:3], 21, v[2:3]
	v_cmp_gt_i32_e32 vcc_lo, 32, v4
	v_min_i32_e32 v0, 31, v4
	v_cmp_eq_u32_e64 s10, 0, v4
	s_delay_alu instid0(VALU_DEP_2) | instskip(SKIP_1) | instid1(VALU_DEP_2)
	v_dual_cndmask_b32 v3, 0, v3 :: v_dual_lshlrev_b32 v0, 2, v0
	v_cndmask_b32_e32 v2, 3, v2, vcc_lo
	v_and_b32_e32 v0, 0xfc, v0
	s_delay_alu instid0(VALU_DEP_2) | instskip(NEXT) | instid1(VALU_DEP_2)
	v_cmp_eq_u64_e32 vcc_lo, 0, v[2:3]
	v_and_or_b32 v0, v2, 3, v0
	s_and_b32 s10, s10, vcc_lo
	s_delay_alu instid0(VALU_DEP_1) | instid1(SALU_CYCLE_1)
	v_cndmask_b32_e64 v0, v0, 0, s10
	s_delay_alu instid0(VALU_DEP_1)
	v_or_b32_e32 v52, v0, v8
.LBB6_1508:                             ;   in Loop: Header=BB6_130 Depth=2
	s_or_b32 exec_lo, exec_lo, s42
                                        ; implicit-def: $vgpr8
.LBB6_1509:                             ;   in Loop: Header=BB6_130 Depth=2
	s_and_not1_saveexec_b32 s10, s41
; %bb.1510:                             ;   in Loop: Header=BB6_130 Depth=2
	v_or_b32_e32 v52, 0x7b, v8
; %bb.1511:                             ;   in Loop: Header=BB6_130 Depth=2
	s_or_b32 exec_lo, exec_lo, s10
                                        ; implicit-def: $vgpr2
                                        ; implicit-def: $vgpr3
.LBB6_1512:                             ;   in Loop: Header=BB6_130 Depth=2
	s_and_not1_saveexec_b32 s10, s40
	s_cbranch_execz .LBB6_1518
; %bb.1513:                             ;   in Loop: Header=BB6_130 Depth=2
	s_mov_b32 s40, exec_lo
                                        ; implicit-def: $vgpr52
	v_cmpx_ne_u64_e32 0, v[0:1]
	s_xor_b32 s40, exec_lo, s40
; %bb.1514:                             ;   in Loop: Header=BB6_130 Depth=2
	v_or_b32_e32 v52, 0x7f, v3
                                        ; implicit-def: $vgpr2
; %bb.1515:                             ;   in Loop: Header=BB6_130 Depth=2
	s_and_not1_saveexec_b32 s40, s40
; %bb.1516:                             ;   in Loop: Header=BB6_130 Depth=2
	v_cmp_lt_i32_e32 vcc_lo, -1, v2
	v_mov_b32_e32 v0, 0x7c
	s_delay_alu instid0(VALU_DEP_1)
	v_cndmask_b32_e32 v52, 0xfc, v0, vcc_lo
; %bb.1517:                             ;   in Loop: Header=BB6_130 Depth=2
	s_or_b32 exec_lo, exec_lo, s40
.LBB6_1518:                             ;   in Loop: Header=BB6_130 Depth=2
	s_delay_alu instid0(SALU_CYCLE_1) | instskip(SKIP_2) | instid1(VALU_DEP_1)
	s_or_b32 exec_lo, exec_lo, s10
	v_dual_mov_b32 v3, 0 :: v_dual_lshrrev_b32 v0, 16, v13
	s_mov_b32 s10, exec_lo
	v_and_b32_e32 v2, 0xff, v0
	s_delay_alu instid0(VALU_DEP_1)
	v_cmpx_ne_u16_e32 0, v2
	s_cbranch_execz .LBB6_1528
; %bb.1519:                             ;   in Loop: Header=BB6_130 Depth=2
	v_bfrev_b32_e32 v3, 1
	s_mov_b32 s40, exec_lo
	v_cmpx_ne_u16_e32 0x80, v2
	s_cbranch_execz .LBB6_1527
; %bb.1520:                             ;   in Loop: Header=BB6_130 Depth=2
	v_and_b32_e32 v3, 0x7c0000, v13
	v_bfe_u32 v2, v13, 16, 2
	s_delay_alu instid0(VALU_DEP_2) | instskip(SKIP_1) | instid1(SALU_CYCLE_1)
	v_cmp_ne_u32_e32 vcc_lo, 0x7c0000, v3
                                        ; implicit-def: $vgpr3
	s_and_saveexec_b32 s41, vcc_lo
	s_xor_b32 s41, exec_lo, s41
	s_cbranch_execz .LBB6_1524
; %bb.1521:                             ;   in Loop: Header=BB6_130 Depth=2
	v_bfe_u32 v3, v13, 18, 5
	s_mov_b32 s42, exec_lo
	s_delay_alu instid0(VALU_DEP_1)
	v_cmpx_eq_u32_e32 0, v3
; %bb.1522:                             ;   in Loop: Header=BB6_130 Depth=2
	v_clz_i32_u32_e32 v2, v2
	s_delay_alu instid0(VALU_DEP_1) | instskip(NEXT) | instid1(VALU_DEP_1)
	v_min_u32_e32 v4, 32, v2
	v_subrev_nc_u32_e32 v2, 29, v4
	s_delay_alu instid0(VALU_DEP_1) | instskip(NEXT) | instid1(VALU_DEP_1)
	v_lshlrev_b64_e32 v[2:3], v2, v[0:1]
	v_dual_sub_nc_u32 v3, 30, v4 :: v_dual_bitop2_b32 v2, 3, v2 bitop3:0x40
; %bb.1523:                             ;   in Loop: Header=BB6_130 Depth=2
	s_or_b32 exec_lo, exec_lo, s42
	v_lshlrev_b32_e32 v0, 24, v0
	s_delay_alu instid0(VALU_DEP_1) | instskip(NEXT) | instid1(VALU_DEP_1)
	v_and_b32_e32 v0, 0x80000000, v0
	v_lshl_add_u32 v0, v3, 23, v0
	s_delay_alu instid0(VALU_DEP_1) | instskip(NEXT) | instid1(VALU_DEP_1)
	v_lshl_or_b32 v0, v2, 21, v0
                                        ; implicit-def: $vgpr2
	v_add_nc_u32_e32 v3, 0x38000000, v0
                                        ; implicit-def: $vgpr0
.LBB6_1524:                             ;   in Loop: Header=BB6_130 Depth=2
	s_and_not1_saveexec_b32 s41, s41
; %bb.1525:                             ;   in Loop: Header=BB6_130 Depth=2
	v_bfe_i32 v0, v0, 0, 8
	s_delay_alu instid0(VALU_DEP_1) | instskip(SKIP_1) | instid1(VALU_DEP_1)
	v_cmp_lt_i16_e32 vcc_lo, -1, v0
	v_mov_b32_e32 v0, 0x7f800000
	v_cndmask_b32_e32 v0, 0xff800000, v0, vcc_lo
	v_cmp_eq_u32_e32 vcc_lo, 0, v2
	s_delay_alu instid0(VALU_DEP_2)
	v_cndmask_b32_e32 v3, 0x7f800001, v0, vcc_lo
; %bb.1526:                             ;   in Loop: Header=BB6_130 Depth=2
	s_or_b32 exec_lo, exec_lo, s41
.LBB6_1527:                             ;   in Loop: Header=BB6_130 Depth=2
	s_delay_alu instid0(SALU_CYCLE_1)
	s_or_b32 exec_lo, exec_lo, s40
.LBB6_1528:                             ;   in Loop: Header=BB6_130 Depth=2
	s_delay_alu instid0(SALU_CYCLE_1) | instskip(NEXT) | instid1(VALU_DEP_1)
	s_or_b32 exec_lo, exec_lo, s10
	v_dual_mul_f32 v2, s29, v3 :: v_dual_mov_b32 v5, v1
                                        ; implicit-def: $vgpr64
	s_mov_b32 s10, exec_lo
	s_delay_alu instid0(VALU_DEP_1) | instskip(SKIP_2) | instid1(VALU_DEP_3)
	v_and_b32_e32 v4, 0x7f800000, v2
	v_and_b32_e32 v0, 0x7fffff, v2
	v_lshrrev_b32_e32 v3, 24, v2
	v_cmpx_ne_u64_e32 0x7f800000, v[4:5]
	s_xor_b32 s40, exec_lo, s10
	s_cbranch_execz .LBB6_1542
; %bb.1529:                             ;   in Loop: Header=BB6_130 Depth=2
	v_and_b32_e32 v4, 0x7fffffff, v2
	v_mov_b32_e32 v5, v1
	v_and_b32_e32 v8, 0x80, v3
                                        ; implicit-def: $vgpr64
	s_mov_b32 s10, exec_lo
	s_delay_alu instid0(VALU_DEP_2)
	v_cmpx_gt_u64_e32 0x47600001, v[4:5]
	s_xor_b32 s41, exec_lo, s10
	s_cbranch_execz .LBB6_1539
; %bb.1530:                             ;   in Loop: Header=BB6_130 Depth=2
	v_mov_b32_e32 v64, 0
	s_mov_b32 s42, exec_lo
	v_cmpx_ne_u32_e32 0, v2
	s_cbranch_execz .LBB6_1538
; %bb.1531:                             ;   in Loop: Header=BB6_130 Depth=2
	v_bfe_u32 v10, v2, 23, 8
	v_or_b32_e32 v4, 0x800000, v0
	s_mov_b32 s43, exec_lo
	s_delay_alu instid0(VALU_DEP_2) | instskip(SKIP_1) | instid1(VALU_DEP_2)
	v_dual_mov_b32 v5, v1 :: v_dual_sub_nc_u32 v2, 0x71, v10
	v_cmp_gt_u32_e32 vcc_lo, 0x72, v10
	v_cndmask_b32_e32 v2, 0, v2, vcc_lo
	v_cmp_eq_u32_e32 vcc_lo, 0, v10
	s_delay_alu instid0(VALU_DEP_2) | instskip(NEXT) | instid1(VALU_DEP_1)
	v_cndmask_b32_e64 v11, v2, 0x70, vcc_lo
	v_dual_cndmask_b32 v4, v4, v0, vcc_lo :: v_dual_add_nc_u32 v2, 21, v11
	v_add_nc_u32_e32 v14, 20, v11
	s_delay_alu instid0(VALU_DEP_2) | instskip(NEXT) | instid1(VALU_DEP_2)
	v_lshlrev_b64_e64 v[2:3], v2, -1
	v_lshlrev_b64_e64 v[14:15], v14, 1
	s_delay_alu instid0(VALU_DEP_2) | instskip(NEXT) | instid1(VALU_DEP_3)
	v_bfi_b32 v17, v3, 0, 0
	v_bfi_b32 v16, v2, 0, v4
	v_lshrrev_b64 v[2:3], v11, v[4:5]
	s_delay_alu instid0(VALU_DEP_1) | instskip(NEXT) | instid1(VALU_DEP_3)
	v_mov_b64_e32 v[4:5], v[2:3]
	v_cmpx_eq_u64_e64 v[16:17], v[14:15]
; %bb.1532:                             ;   in Loop: Header=BB6_130 Depth=2
	v_bfe_u32 v4, v2, 21, 1
	v_mov_b32_e32 v5, v1
	s_delay_alu instid0(VALU_DEP_1) | instskip(NEXT) | instid1(VALU_DEP_1)
	v_add_nc_u64_e32 v[4:5], v[2:3], v[4:5]
	v_add_nc_u64_e32 v[4:5], -1, v[4:5]
; %bb.1533:                             ;   in Loop: Header=BB6_130 Depth=2
	s_or_b32 exec_lo, exec_lo, s43
	v_add_nc_u32_e32 v0, 0xffffff81, v10
	v_lshrrev_b32_e32 v3, 23, v2
	s_mov_b32 s10, exec_lo
	s_delay_alu instid0(VALU_DEP_2) | instskip(NEXT) | instid1(VALU_DEP_1)
	v_cndmask_b32_e64 v0, v0, 0xffffff82, vcc_lo
	v_add3_u32 v5, v11, v0, v3
	v_and_b32_e32 v0, 0x1fffff, v4
                                        ; implicit-def: $vgpr4
	s_delay_alu instid0(VALU_DEP_1) | instskip(NEXT) | instid1(VALU_DEP_1)
	v_dual_add_nc_u32 v10, 14, v5 :: v_dual_add_nc_u32 v0, v0, v2
                                        ; implicit-def: $vgpr2_vgpr3
	v_cmpx_ne_u32_e32 0, v10
	s_xor_b32 s10, exec_lo, s10
; %bb.1534:                             ;   in Loop: Header=BB6_130 Depth=2
	s_delay_alu instid0(VALU_DEP_2) | instskip(SKIP_1) | instid1(VALU_DEP_1)
	v_cmp_lt_u64_e32 vcc_lo, 0xffffff, v[0:1]
	v_add_nc_u32_e32 v2, 15, v5
	v_cndmask_b32_e32 v4, v10, v2, vcc_lo
	v_cndmask_b32_e64 v2, 0, 1, vcc_lo
	s_delay_alu instid0(VALU_DEP_1)
	v_lshrrev_b64 v[2:3], v2, v[0:1]
; %bb.1535:                             ;   in Loop: Header=BB6_130 Depth=2
	s_and_not1_saveexec_b32 s10, s10
; %bb.1536:                             ;   in Loop: Header=BB6_130 Depth=2
	v_mov_b64_e32 v[2:3], v[0:1]
	v_bfe_u32 v4, v0, 23, 1
; %bb.1537:                             ;   in Loop: Header=BB6_130 Depth=2
	s_or_b32 exec_lo, exec_lo, s10
	s_delay_alu instid0(VALU_DEP_2) | instskip(NEXT) | instid1(VALU_DEP_2)
	v_lshrrev_b64 v[2:3], 21, v[2:3]
	v_cmp_gt_i32_e32 vcc_lo, 32, v4
	v_min_i32_e32 v0, 31, v4
	v_cmp_eq_u32_e64 s10, 0, v4
	s_delay_alu instid0(VALU_DEP_2) | instskip(SKIP_1) | instid1(VALU_DEP_2)
	v_dual_cndmask_b32 v3, 0, v3 :: v_dual_lshlrev_b32 v0, 2, v0
	v_cndmask_b32_e32 v2, 3, v2, vcc_lo
	v_and_b32_e32 v0, 0xfc, v0
	s_delay_alu instid0(VALU_DEP_2) | instskip(NEXT) | instid1(VALU_DEP_2)
	v_cmp_eq_u64_e32 vcc_lo, 0, v[2:3]
	v_and_or_b32 v0, v2, 3, v0
	s_and_b32 s10, s10, vcc_lo
	s_delay_alu instid0(VALU_DEP_1) | instid1(SALU_CYCLE_1)
	v_cndmask_b32_e64 v0, v0, 0, s10
	s_delay_alu instid0(VALU_DEP_1)
	v_or_b32_e32 v64, v0, v8
.LBB6_1538:                             ;   in Loop: Header=BB6_130 Depth=2
	s_or_b32 exec_lo, exec_lo, s42
                                        ; implicit-def: $vgpr8
.LBB6_1539:                             ;   in Loop: Header=BB6_130 Depth=2
	s_and_not1_saveexec_b32 s10, s41
; %bb.1540:                             ;   in Loop: Header=BB6_130 Depth=2
	v_or_b32_e32 v64, 0x7b, v8
; %bb.1541:                             ;   in Loop: Header=BB6_130 Depth=2
	s_or_b32 exec_lo, exec_lo, s10
                                        ; implicit-def: $vgpr2
                                        ; implicit-def: $vgpr3
.LBB6_1542:                             ;   in Loop: Header=BB6_130 Depth=2
	s_and_not1_saveexec_b32 s10, s40
	s_cbranch_execz .LBB6_1548
; %bb.1543:                             ;   in Loop: Header=BB6_130 Depth=2
	s_mov_b32 s40, exec_lo
                                        ; implicit-def: $vgpr64
	v_cmpx_ne_u64_e32 0, v[0:1]
	s_xor_b32 s40, exec_lo, s40
; %bb.1544:                             ;   in Loop: Header=BB6_130 Depth=2
	v_or_b32_e32 v64, 0x7f, v3
                                        ; implicit-def: $vgpr2
; %bb.1545:                             ;   in Loop: Header=BB6_130 Depth=2
	s_and_not1_saveexec_b32 s40, s40
; %bb.1546:                             ;   in Loop: Header=BB6_130 Depth=2
	v_cmp_lt_i32_e32 vcc_lo, -1, v2
	v_mov_b32_e32 v0, 0x7c
	s_delay_alu instid0(VALU_DEP_1)
	v_cndmask_b32_e32 v64, 0xfc, v0, vcc_lo
; %bb.1547:                             ;   in Loop: Header=BB6_130 Depth=2
	s_or_b32 exec_lo, exec_lo, s40
.LBB6_1548:                             ;   in Loop: Header=BB6_130 Depth=2
	s_delay_alu instid0(SALU_CYCLE_1)
	s_or_b32 exec_lo, exec_lo, s10
	v_mov_b32_e32 v2, 0
	s_mov_b32 s10, exec_lo
	v_cmpx_lt_u64_e64 s[12:13], v[12:13]
	s_cbranch_execz .LBB6_1558
; %bb.1549:                             ;   in Loop: Header=BB6_130 Depth=2
	v_lshrrev_b32_e32 v0, 24, v13
	v_bfrev_b32_e32 v2, 1
	s_mov_b32 s40, exec_lo
	s_delay_alu instid0(VALU_DEP_2)
	v_cmpx_ne_u32_e32 0x80, v0
	s_cbranch_execz .LBB6_1557
; %bb.1550:                             ;   in Loop: Header=BB6_130 Depth=2
	v_and_b32_e32 v2, 0x7c000000, v13
	v_bfe_u32 v3, v13, 24, 2
	s_delay_alu instid0(VALU_DEP_2) | instskip(SKIP_1) | instid1(SALU_CYCLE_1)
	v_cmp_ne_u32_e32 vcc_lo, 0x7c000000, v2
                                        ; implicit-def: $vgpr2
	s_and_saveexec_b32 s41, vcc_lo
	s_xor_b32 s41, exec_lo, s41
	s_cbranch_execz .LBB6_1554
; %bb.1551:                             ;   in Loop: Header=BB6_130 Depth=2
	v_bfe_u32 v2, v13, 26, 5
	s_mov_b32 s42, exec_lo
	s_delay_alu instid0(VALU_DEP_1)
	v_cmpx_eq_u32_e32 0, v2
; %bb.1552:                             ;   in Loop: Header=BB6_130 Depth=2
	v_clz_i32_u32_e32 v2, v3
	s_delay_alu instid0(VALU_DEP_1) | instskip(NEXT) | instid1(VALU_DEP_1)
	v_min_u32_e32 v2, 32, v2
	v_subrev_nc_u32_e32 v3, 29, v2
	s_delay_alu instid0(VALU_DEP_1) | instskip(NEXT) | instid1(VALU_DEP_1)
	v_lshlrev_b64_e32 v[4:5], v3, v[0:1]
	v_dual_sub_nc_u32 v2, 30, v2 :: v_dual_bitop2_b32 v3, 3, v4 bitop3:0x40
; %bb.1553:                             ;   in Loop: Header=BB6_130 Depth=2
	s_or_b32 exec_lo, exec_lo, s42
	v_and_b32_e32 v0, 0x80000000, v13
                                        ; implicit-def: $vgpr12_vgpr13
	s_delay_alu instid0(VALU_DEP_1) | instskip(NEXT) | instid1(VALU_DEP_1)
	v_lshl_add_u32 v0, v2, 23, v0
	v_lshl_or_b32 v0, v3, 21, v0
                                        ; implicit-def: $vgpr3
	s_delay_alu instid0(VALU_DEP_1)
	v_add_nc_u32_e32 v2, 0x38000000, v0
.LBB6_1554:                             ;   in Loop: Header=BB6_130 Depth=2
	s_and_not1_saveexec_b32 s41, s41
; %bb.1555:                             ;   in Loop: Header=BB6_130 Depth=2
	v_cmp_lt_i64_e32 vcc_lo, -1, v[12:13]
	v_mov_b32_e32 v0, 0x7f800000
	s_delay_alu instid0(VALU_DEP_1) | instskip(SKIP_1) | instid1(VALU_DEP_2)
	v_cndmask_b32_e32 v0, 0xff800000, v0, vcc_lo
	v_cmp_eq_u32_e32 vcc_lo, 0, v3
	v_cndmask_b32_e32 v2, 0x7f800001, v0, vcc_lo
; %bb.1556:                             ;   in Loop: Header=BB6_130 Depth=2
	s_or_b32 exec_lo, exec_lo, s41
.LBB6_1557:                             ;   in Loop: Header=BB6_130 Depth=2
	s_delay_alu instid0(SALU_CYCLE_1)
	s_or_b32 exec_lo, exec_lo, s40
.LBB6_1558:                             ;   in Loop: Header=BB6_130 Depth=2
	s_delay_alu instid0(SALU_CYCLE_1) | instskip(NEXT) | instid1(VALU_DEP_1)
	s_or_b32 exec_lo, exec_lo, s10
	v_dual_mul_f32 v2, s29, v2 :: v_dual_mov_b32 v5, v1
                                        ; implicit-def: $vgpr67
	s_mov_b32 s10, exec_lo
	s_delay_alu instid0(VALU_DEP_1) | instskip(SKIP_2) | instid1(VALU_DEP_3)
	v_and_b32_e32 v4, 0x7f800000, v2
	v_and_b32_e32 v0, 0x7fffff, v2
	v_lshrrev_b32_e32 v3, 24, v2
	v_cmpx_ne_u64_e32 0x7f800000, v[4:5]
	s_xor_b32 s40, exec_lo, s10
	s_cbranch_execz .LBB6_1572
; %bb.1559:                             ;   in Loop: Header=BB6_130 Depth=2
	v_and_b32_e32 v4, 0x7fffffff, v2
	v_mov_b32_e32 v5, v1
	v_and_b32_e32 v8, 0x80, v3
                                        ; implicit-def: $vgpr67
	s_mov_b32 s10, exec_lo
	s_delay_alu instid0(VALU_DEP_2)
	v_cmpx_gt_u64_e32 0x47600001, v[4:5]
	s_xor_b32 s41, exec_lo, s10
	s_cbranch_execz .LBB6_1569
; %bb.1560:                             ;   in Loop: Header=BB6_130 Depth=2
	v_mov_b32_e32 v67, 0
	s_mov_b32 s42, exec_lo
	v_cmpx_ne_u32_e32 0, v2
	s_cbranch_execz .LBB6_1568
; %bb.1561:                             ;   in Loop: Header=BB6_130 Depth=2
	v_bfe_u32 v10, v2, 23, 8
	v_or_b32_e32 v4, 0x800000, v0
	s_mov_b32 s43, exec_lo
	s_delay_alu instid0(VALU_DEP_2) | instskip(SKIP_1) | instid1(VALU_DEP_2)
	v_dual_mov_b32 v5, v1 :: v_dual_sub_nc_u32 v2, 0x71, v10
	v_cmp_gt_u32_e32 vcc_lo, 0x72, v10
	v_cndmask_b32_e32 v2, 0, v2, vcc_lo
	v_cmp_eq_u32_e32 vcc_lo, 0, v10
	s_delay_alu instid0(VALU_DEP_2) | instskip(NEXT) | instid1(VALU_DEP_1)
	v_cndmask_b32_e64 v11, v2, 0x70, vcc_lo
	v_dual_cndmask_b32 v4, v4, v0, vcc_lo :: v_dual_add_nc_u32 v2, 21, v11
	v_add_nc_u32_e32 v12, 20, v11
	s_delay_alu instid0(VALU_DEP_2) | instskip(NEXT) | instid1(VALU_DEP_2)
	v_lshlrev_b64_e64 v[2:3], v2, -1
	v_lshlrev_b64_e64 v[12:13], v12, 1
	s_delay_alu instid0(VALU_DEP_2) | instskip(NEXT) | instid1(VALU_DEP_3)
	v_bfi_b32 v15, v3, 0, 0
	v_bfi_b32 v14, v2, 0, v4
	v_lshrrev_b64 v[2:3], v11, v[4:5]
	s_delay_alu instid0(VALU_DEP_1) | instskip(NEXT) | instid1(VALU_DEP_3)
	v_mov_b64_e32 v[4:5], v[2:3]
	v_cmpx_eq_u64_e64 v[14:15], v[12:13]
; %bb.1562:                             ;   in Loop: Header=BB6_130 Depth=2
	v_bfe_u32 v4, v2, 21, 1
	v_mov_b32_e32 v5, v1
	s_delay_alu instid0(VALU_DEP_1) | instskip(NEXT) | instid1(VALU_DEP_1)
	v_add_nc_u64_e32 v[4:5], v[2:3], v[4:5]
	v_add_nc_u64_e32 v[4:5], -1, v[4:5]
; %bb.1563:                             ;   in Loop: Header=BB6_130 Depth=2
	s_or_b32 exec_lo, exec_lo, s43
	v_add_nc_u32_e32 v0, 0xffffff81, v10
	v_lshrrev_b32_e32 v3, 23, v2
	s_mov_b32 s10, exec_lo
	s_delay_alu instid0(VALU_DEP_2) | instskip(NEXT) | instid1(VALU_DEP_1)
	v_cndmask_b32_e64 v0, v0, 0xffffff82, vcc_lo
	v_add3_u32 v5, v11, v0, v3
	v_and_b32_e32 v0, 0x1fffff, v4
                                        ; implicit-def: $vgpr4
	s_delay_alu instid0(VALU_DEP_1) | instskip(NEXT) | instid1(VALU_DEP_1)
	v_dual_add_nc_u32 v10, 14, v5 :: v_dual_add_nc_u32 v0, v0, v2
                                        ; implicit-def: $vgpr2_vgpr3
	v_cmpx_ne_u32_e32 0, v10
	s_xor_b32 s10, exec_lo, s10
; %bb.1564:                             ;   in Loop: Header=BB6_130 Depth=2
	s_delay_alu instid0(VALU_DEP_2) | instskip(SKIP_1) | instid1(VALU_DEP_1)
	v_cmp_lt_u64_e32 vcc_lo, 0xffffff, v[0:1]
	v_add_nc_u32_e32 v2, 15, v5
	v_cndmask_b32_e32 v4, v10, v2, vcc_lo
	v_cndmask_b32_e64 v2, 0, 1, vcc_lo
	s_delay_alu instid0(VALU_DEP_1)
	v_lshrrev_b64 v[2:3], v2, v[0:1]
; %bb.1565:                             ;   in Loop: Header=BB6_130 Depth=2
	s_and_not1_saveexec_b32 s10, s10
; %bb.1566:                             ;   in Loop: Header=BB6_130 Depth=2
	v_mov_b64_e32 v[2:3], v[0:1]
	v_bfe_u32 v4, v0, 23, 1
; %bb.1567:                             ;   in Loop: Header=BB6_130 Depth=2
	s_or_b32 exec_lo, exec_lo, s10
	s_delay_alu instid0(VALU_DEP_2) | instskip(NEXT) | instid1(VALU_DEP_2)
	v_lshrrev_b64 v[2:3], 21, v[2:3]
	v_cmp_gt_i32_e32 vcc_lo, 32, v4
	v_min_i32_e32 v0, 31, v4
	v_cmp_eq_u32_e64 s10, 0, v4
	s_delay_alu instid0(VALU_DEP_2) | instskip(SKIP_1) | instid1(VALU_DEP_2)
	v_dual_cndmask_b32 v3, 0, v3 :: v_dual_lshlrev_b32 v0, 2, v0
	v_cndmask_b32_e32 v2, 3, v2, vcc_lo
	v_and_b32_e32 v0, 0xfc, v0
	s_delay_alu instid0(VALU_DEP_2) | instskip(NEXT) | instid1(VALU_DEP_2)
	v_cmp_eq_u64_e32 vcc_lo, 0, v[2:3]
	v_and_or_b32 v0, v2, 3, v0
	s_and_b32 s10, s10, vcc_lo
	s_delay_alu instid0(VALU_DEP_1) | instid1(SALU_CYCLE_1)
	v_cndmask_b32_e64 v0, v0, 0, s10
	s_delay_alu instid0(VALU_DEP_1)
	v_or_b32_e32 v67, v0, v8
.LBB6_1568:                             ;   in Loop: Header=BB6_130 Depth=2
	s_or_b32 exec_lo, exec_lo, s42
                                        ; implicit-def: $vgpr8
.LBB6_1569:                             ;   in Loop: Header=BB6_130 Depth=2
	s_and_not1_saveexec_b32 s10, s41
; %bb.1570:                             ;   in Loop: Header=BB6_130 Depth=2
	v_or_b32_e32 v67, 0x7b, v8
; %bb.1571:                             ;   in Loop: Header=BB6_130 Depth=2
	s_or_b32 exec_lo, exec_lo, s10
                                        ; implicit-def: $vgpr2
                                        ; implicit-def: $vgpr3
.LBB6_1572:                             ;   in Loop: Header=BB6_130 Depth=2
	s_and_not1_saveexec_b32 s10, s40
	s_cbranch_execz .LBB6_1578
; %bb.1573:                             ;   in Loop: Header=BB6_130 Depth=2
	s_mov_b32 s40, exec_lo
                                        ; implicit-def: $vgpr67
	v_cmpx_ne_u64_e32 0, v[0:1]
	s_xor_b32 s40, exec_lo, s40
; %bb.1574:                             ;   in Loop: Header=BB6_130 Depth=2
	v_or_b32_e32 v67, 0x7f, v3
                                        ; implicit-def: $vgpr2
; %bb.1575:                             ;   in Loop: Header=BB6_130 Depth=2
	s_and_not1_saveexec_b32 s40, s40
; %bb.1576:                             ;   in Loop: Header=BB6_130 Depth=2
	v_cmp_lt_i32_e32 vcc_lo, -1, v2
	v_mov_b32_e32 v0, 0x7c
	s_delay_alu instid0(VALU_DEP_1)
	v_cndmask_b32_e32 v67, 0xfc, v0, vcc_lo
; %bb.1577:                             ;   in Loop: Header=BB6_130 Depth=2
	s_or_b32 exec_lo, exec_lo, s40
.LBB6_1578:                             ;   in Loop: Header=BB6_130 Depth=2
	s_delay_alu instid0(SALU_CYCLE_1) | instskip(SKIP_3) | instid1(VALU_DEP_1)
	s_or_b32 exec_lo, exec_lo, s10
	global_load_b128 v[10:13], v[102:103], off offset:1536 th:TH_LOAD_NT
	s_wait_loadcnt 0x0
	v_and_b32_e32 v0, 0xff, v10
	v_cmp_ne_u16_e32 vcc_lo, 0, v0
	v_mov_b32_e32 v0, 0
	s_wait_xcnt 0x0
	s_and_saveexec_b32 s10, vcc_lo
	s_cbranch_execz .LBB6_1588
; %bb.1579:                             ;   in Loop: Header=BB6_130 Depth=2
	v_bfe_i32 v3, v10, 0, 8
	v_bfrev_b32_e32 v0, 1
	s_mov_b32 s40, exec_lo
	s_delay_alu instid0(VALU_DEP_2)
	v_cmpx_ne_u16_e32 0xff80, v3
	s_cbranch_execz .LBB6_1587
; %bb.1580:                             ;   in Loop: Header=BB6_130 Depth=2
	v_and_b32_e32 v0, 0x7c, v10
	v_and_b32_e32 v2, 3, v10
	s_delay_alu instid0(VALU_DEP_2) | instskip(SKIP_1) | instid1(SALU_CYCLE_1)
	v_cmp_ne_u32_e32 vcc_lo, 0x7c, v0
                                        ; implicit-def: $vgpr0
	s_and_saveexec_b32 s41, vcc_lo
	s_xor_b32 s41, exec_lo, s41
	s_cbranch_execz .LBB6_1584
; %bb.1581:                             ;   in Loop: Header=BB6_130 Depth=2
	v_bfe_u32 v0, v10, 2, 5
	s_mov_b32 s42, exec_lo
	s_delay_alu instid0(VALU_DEP_1)
	v_cmpx_eq_u32_e32 0, v0
; %bb.1582:                             ;   in Loop: Header=BB6_130 Depth=2
	v_clz_i32_u32_e32 v0, v2
	s_delay_alu instid0(VALU_DEP_1) | instskip(NEXT) | instid1(VALU_DEP_1)
	v_min_u32_e32 v0, 32, v0
	v_subrev_nc_u32_e32 v2, 29, v0
	s_delay_alu instid0(VALU_DEP_1) | instskip(NEXT) | instid1(VALU_DEP_1)
	v_lshlrev_b64_e32 v[2:3], v2, v[10:11]
	v_dual_sub_nc_u32 v0, 30, v0 :: v_dual_bitop2_b32 v2, 3, v2 bitop3:0x40
; %bb.1583:                             ;   in Loop: Header=BB6_130 Depth=2
	s_or_b32 exec_lo, exec_lo, s42
	v_lshlrev_b32_e32 v3, 24, v10
	s_delay_alu instid0(VALU_DEP_1) | instskip(NEXT) | instid1(VALU_DEP_1)
	v_and_b32_e32 v3, 0x80000000, v3
	v_lshl_add_u32 v0, v0, 23, v3
                                        ; implicit-def: $vgpr3
	s_delay_alu instid0(VALU_DEP_1) | instskip(NEXT) | instid1(VALU_DEP_1)
	v_lshl_or_b32 v0, v2, 21, v0
                                        ; implicit-def: $vgpr2
	v_add_nc_u32_e32 v0, 0x38000000, v0
.LBB6_1584:                             ;   in Loop: Header=BB6_130 Depth=2
	s_and_not1_saveexec_b32 s41, s41
; %bb.1585:                             ;   in Loop: Header=BB6_130 Depth=2
	v_cmp_lt_i16_e32 vcc_lo, -1, v3
	v_mov_b32_e32 v0, 0x7f800000
	s_delay_alu instid0(VALU_DEP_1) | instskip(SKIP_1) | instid1(VALU_DEP_2)
	v_cndmask_b32_e32 v0, 0xff800000, v0, vcc_lo
	v_cmp_eq_u32_e32 vcc_lo, 0, v2
	v_cndmask_b32_e32 v0, 0x7f800001, v0, vcc_lo
; %bb.1586:                             ;   in Loop: Header=BB6_130 Depth=2
	s_or_b32 exec_lo, exec_lo, s41
.LBB6_1587:                             ;   in Loop: Header=BB6_130 Depth=2
	s_delay_alu instid0(SALU_CYCLE_1)
	s_or_b32 exec_lo, exec_lo, s40
.LBB6_1588:                             ;   in Loop: Header=BB6_130 Depth=2
	s_delay_alu instid0(SALU_CYCLE_1) | instskip(NEXT) | instid1(VALU_DEP_1)
	s_or_b32 exec_lo, exec_lo, s10
	v_dual_mul_f32 v2, s29, v0 :: v_dual_mov_b32 v5, v1
                                        ; implicit-def: $vgpr33
	s_mov_b32 s10, exec_lo
	s_delay_alu instid0(VALU_DEP_1) | instskip(SKIP_2) | instid1(VALU_DEP_3)
	v_and_b32_e32 v4, 0x7f800000, v2
	v_and_b32_e32 v0, 0x7fffff, v2
	v_lshrrev_b32_e32 v3, 24, v2
	v_cmpx_ne_u64_e32 0x7f800000, v[4:5]
	s_xor_b32 s40, exec_lo, s10
	s_cbranch_execz .LBB6_1602
; %bb.1589:                             ;   in Loop: Header=BB6_130 Depth=2
	v_and_b32_e32 v4, 0x7fffffff, v2
	v_mov_b32_e32 v5, v1
	v_and_b32_e32 v8, 0x80, v3
                                        ; implicit-def: $vgpr33
	s_mov_b32 s10, exec_lo
	s_delay_alu instid0(VALU_DEP_2)
	v_cmpx_gt_u64_e32 0x47600001, v[4:5]
	s_xor_b32 s41, exec_lo, s10
	s_cbranch_execz .LBB6_1599
; %bb.1590:                             ;   in Loop: Header=BB6_130 Depth=2
	v_mov_b32_e32 v33, 0
	s_mov_b32 s42, exec_lo
	v_cmpx_ne_u32_e32 0, v2
	s_cbranch_execz .LBB6_1598
; %bb.1591:                             ;   in Loop: Header=BB6_130 Depth=2
	v_bfe_u32 v14, v2, 23, 8
	v_or_b32_e32 v3, 0x800000, v0
	s_delay_alu instid0(VALU_DEP_2) | instskip(SKIP_2) | instid1(VALU_DEP_2)
	v_cmp_gt_u32_e64 s10, 0x72, v14
	v_sub_nc_u32_e32 v2, 0x71, v14
	v_cmp_eq_u32_e32 vcc_lo, 0, v14
	v_cndmask_b32_e64 v2, 0, v2, s10
	s_delay_alu instid0(VALU_DEP_1) | instskip(SKIP_1) | instid1(VALU_DEP_2)
	v_cndmask_b32_e64 v15, v2, 0x70, vcc_lo
	v_dual_cndmask_b32 v2, v3, v0 :: v_dual_mov_b32 v3, v1
	v_add_nc_u32_e32 v0, 21, v15
	s_delay_alu instid0(VALU_DEP_1) | instskip(SKIP_1) | instid1(VALU_DEP_1)
	v_lshlrev_b64_e64 v[4:5], v0, -1
	v_add_nc_u32_e32 v0, 20, v15
	v_lshlrev_b64_e64 v[16:17], v0, 1
	s_delay_alu instid0(VALU_DEP_3) | instskip(SKIP_2) | instid1(VALU_DEP_1)
	v_bfi_b32 v4, v4, 0, v2
	v_lshrrev_b64 v[2:3], v15, v[2:3]
	v_bfi_b32 v5, v5, 0, 0
	v_cmp_eq_u64_e64 s10, v[4:5], v[16:17]
	s_delay_alu instid0(VALU_DEP_3)
	v_mov_b64_e32 v[4:5], v[2:3]
	s_and_saveexec_b32 s43, s10
; %bb.1592:                             ;   in Loop: Header=BB6_130 Depth=2
	v_bfe_u32 v4, v2, 21, 1
	v_mov_b32_e32 v5, v1
	s_delay_alu instid0(VALU_DEP_1) | instskip(NEXT) | instid1(VALU_DEP_1)
	v_add_nc_u64_e32 v[4:5], v[2:3], v[4:5]
	v_add_nc_u64_e32 v[4:5], -1, v[4:5]
; %bb.1593:                             ;   in Loop: Header=BB6_130 Depth=2
	s_or_b32 exec_lo, exec_lo, s43
	v_add_nc_u32_e32 v0, 0xffffff81, v14
	v_lshrrev_b32_e32 v3, 23, v2
	s_mov_b32 s10, exec_lo
	s_delay_alu instid0(VALU_DEP_2) | instskip(NEXT) | instid1(VALU_DEP_1)
	v_cndmask_b32_e64 v0, v0, 0xffffff82, vcc_lo
	v_add3_u32 v5, v15, v0, v3
	v_and_b32_e32 v0, 0x1fffff, v4
                                        ; implicit-def: $vgpr4
	s_delay_alu instid0(VALU_DEP_1) | instskip(NEXT) | instid1(VALU_DEP_1)
	v_dual_add_nc_u32 v14, 14, v5 :: v_dual_add_nc_u32 v0, v0, v2
                                        ; implicit-def: $vgpr2_vgpr3
	v_cmpx_ne_u32_e32 0, v14
	s_xor_b32 s10, exec_lo, s10
; %bb.1594:                             ;   in Loop: Header=BB6_130 Depth=2
	s_delay_alu instid0(VALU_DEP_2) | instskip(SKIP_1) | instid1(VALU_DEP_1)
	v_cmp_lt_u64_e32 vcc_lo, 0xffffff, v[0:1]
	v_add_nc_u32_e32 v2, 15, v5
	v_cndmask_b32_e32 v4, v14, v2, vcc_lo
	v_cndmask_b32_e64 v2, 0, 1, vcc_lo
	s_delay_alu instid0(VALU_DEP_1)
	v_lshrrev_b64 v[2:3], v2, v[0:1]
; %bb.1595:                             ;   in Loop: Header=BB6_130 Depth=2
	s_and_not1_saveexec_b32 s10, s10
; %bb.1596:                             ;   in Loop: Header=BB6_130 Depth=2
	v_mov_b64_e32 v[2:3], v[0:1]
	v_bfe_u32 v4, v0, 23, 1
; %bb.1597:                             ;   in Loop: Header=BB6_130 Depth=2
	s_or_b32 exec_lo, exec_lo, s10
	s_delay_alu instid0(VALU_DEP_2) | instskip(NEXT) | instid1(VALU_DEP_2)
	v_lshrrev_b64 v[2:3], 21, v[2:3]
	v_cmp_gt_i32_e32 vcc_lo, 32, v4
	v_min_i32_e32 v0, 31, v4
	v_cmp_eq_u32_e64 s10, 0, v4
	s_delay_alu instid0(VALU_DEP_2) | instskip(SKIP_1) | instid1(VALU_DEP_2)
	v_dual_cndmask_b32 v3, 0, v3 :: v_dual_lshlrev_b32 v0, 2, v0
	v_cndmask_b32_e32 v2, 3, v2, vcc_lo
	v_and_b32_e32 v0, 0xfc, v0
	s_delay_alu instid0(VALU_DEP_2) | instskip(NEXT) | instid1(VALU_DEP_2)
	v_cmp_eq_u64_e32 vcc_lo, 0, v[2:3]
	v_and_or_b32 v0, v2, 3, v0
	s_and_b32 s10, s10, vcc_lo
	s_delay_alu instid0(VALU_DEP_1) | instid1(SALU_CYCLE_1)
	v_cndmask_b32_e64 v0, v0, 0, s10
	s_delay_alu instid0(VALU_DEP_1)
	v_or_b32_e32 v33, v0, v8
.LBB6_1598:                             ;   in Loop: Header=BB6_130 Depth=2
	s_or_b32 exec_lo, exec_lo, s42
                                        ; implicit-def: $vgpr8
.LBB6_1599:                             ;   in Loop: Header=BB6_130 Depth=2
	s_and_not1_saveexec_b32 s10, s41
; %bb.1600:                             ;   in Loop: Header=BB6_130 Depth=2
	v_or_b32_e32 v33, 0x7b, v8
; %bb.1601:                             ;   in Loop: Header=BB6_130 Depth=2
	s_or_b32 exec_lo, exec_lo, s10
                                        ; implicit-def: $vgpr2
                                        ; implicit-def: $vgpr3
.LBB6_1602:                             ;   in Loop: Header=BB6_130 Depth=2
	s_and_not1_saveexec_b32 s10, s40
	s_cbranch_execz .LBB6_1608
; %bb.1603:                             ;   in Loop: Header=BB6_130 Depth=2
	s_mov_b32 s40, exec_lo
                                        ; implicit-def: $vgpr33
	v_cmpx_ne_u64_e32 0, v[0:1]
	s_xor_b32 s40, exec_lo, s40
; %bb.1604:                             ;   in Loop: Header=BB6_130 Depth=2
	v_or_b32_e32 v33, 0x7f, v3
                                        ; implicit-def: $vgpr2
; %bb.1605:                             ;   in Loop: Header=BB6_130 Depth=2
	s_and_not1_saveexec_b32 s40, s40
; %bb.1606:                             ;   in Loop: Header=BB6_130 Depth=2
	v_cmp_lt_i32_e32 vcc_lo, -1, v2
	v_mov_b32_e32 v0, 0x7c
	s_delay_alu instid0(VALU_DEP_1)
	v_cndmask_b32_e32 v33, 0xfc, v0, vcc_lo
; %bb.1607:                             ;   in Loop: Header=BB6_130 Depth=2
	s_or_b32 exec_lo, exec_lo, s40
.LBB6_1608:                             ;   in Loop: Header=BB6_130 Depth=2
	s_delay_alu instid0(SALU_CYCLE_1) | instskip(SKIP_3) | instid1(VALU_DEP_2)
	s_or_b32 exec_lo, exec_lo, s10
	v_lshrrev_b16 v2, 8, v10
	v_mov_b32_e32 v3, 0
	s_mov_b32 s10, exec_lo
	v_cmpx_ne_u16_e32 0, v2
	s_cbranch_execz .LBB6_1618
; %bb.1609:                             ;   in Loop: Header=BB6_130 Depth=2
	v_bfrev_b32_e32 v3, 1
	s_mov_b32 s40, exec_lo
	v_cmpx_ne_u16_e32 0x80, v2
	s_cbranch_execz .LBB6_1617
; %bb.1610:                             ;   in Loop: Header=BB6_130 Depth=2
	v_and_b32_e32 v4, 0xffff, v2
	s_delay_alu instid0(VALU_DEP_1) | instskip(SKIP_1) | instid1(VALU_DEP_2)
	v_and_b32_e32 v3, 0x7c, v4
	v_and_b32_e32 v0, 3, v4
	v_cmp_ne_u32_e32 vcc_lo, 0x7c, v3
                                        ; implicit-def: $vgpr3
	s_and_saveexec_b32 s41, vcc_lo
	s_delay_alu instid0(SALU_CYCLE_1)
	s_xor_b32 s41, exec_lo, s41
	s_cbranch_execz .LBB6_1614
; %bb.1611:                             ;   in Loop: Header=BB6_130 Depth=2
	v_bfe_u32 v3, v4, 2, 5
	s_mov_b32 s42, exec_lo
	s_delay_alu instid0(VALU_DEP_1)
	v_cmpx_eq_u32_e32 0, v3
; %bb.1612:                             ;   in Loop: Header=BB6_130 Depth=2
	v_clz_i32_u32_e32 v0, v0
	v_mov_b32_e32 v3, v1
	s_delay_alu instid0(VALU_DEP_2) | instskip(NEXT) | instid1(VALU_DEP_1)
	v_min_u32_e32 v0, 32, v0
	v_subrev_nc_u32_e32 v4, 29, v0
	s_delay_alu instid0(VALU_DEP_1) | instskip(NEXT) | instid1(VALU_DEP_1)
	v_lshlrev_b64_e32 v[2:3], v4, v[2:3]
	v_dual_sub_nc_u32 v3, 30, v0 :: v_dual_bitop2_b32 v0, 3, v2 bitop3:0x40
; %bb.1613:                             ;   in Loop: Header=BB6_130 Depth=2
	s_or_b32 exec_lo, exec_lo, s42
	v_lshlrev_b32_e32 v2, 16, v10
	s_delay_alu instid0(VALU_DEP_1) | instskip(NEXT) | instid1(VALU_DEP_1)
	v_and_b32_e32 v2, 0x80000000, v2
	v_lshl_add_u32 v2, v3, 23, v2
	s_delay_alu instid0(VALU_DEP_1) | instskip(NEXT) | instid1(VALU_DEP_1)
	v_lshl_or_b32 v0, v0, 21, v2
	v_add_nc_u32_e32 v3, 0x38000000, v0
                                        ; implicit-def: $vgpr0
.LBB6_1614:                             ;   in Loop: Header=BB6_130 Depth=2
	s_and_not1_saveexec_b32 s41, s41
; %bb.1615:                             ;   in Loop: Header=BB6_130 Depth=2
	v_cmp_lt_i16_e32 vcc_lo, -1, v10
	v_mov_b32_e32 v2, 0x7f800000
	s_delay_alu instid0(VALU_DEP_1) | instskip(SKIP_1) | instid1(VALU_DEP_2)
	v_cndmask_b32_e32 v2, 0xff800000, v2, vcc_lo
	v_cmp_eq_u32_e32 vcc_lo, 0, v0
	v_cndmask_b32_e32 v3, 0x7f800001, v2, vcc_lo
; %bb.1616:                             ;   in Loop: Header=BB6_130 Depth=2
	s_or_b32 exec_lo, exec_lo, s41
.LBB6_1617:                             ;   in Loop: Header=BB6_130 Depth=2
	s_delay_alu instid0(SALU_CYCLE_1)
	s_or_b32 exec_lo, exec_lo, s40
.LBB6_1618:                             ;   in Loop: Header=BB6_130 Depth=2
	s_delay_alu instid0(SALU_CYCLE_1) | instskip(NEXT) | instid1(VALU_DEP_1)
	s_or_b32 exec_lo, exec_lo, s10
	v_dual_mul_f32 v2, s29, v3 :: v_dual_mov_b32 v5, v1
                                        ; implicit-def: $vgpr39
	s_mov_b32 s10, exec_lo
	s_delay_alu instid0(VALU_DEP_1) | instskip(SKIP_2) | instid1(VALU_DEP_3)
	v_and_b32_e32 v4, 0x7f800000, v2
	v_and_b32_e32 v0, 0x7fffff, v2
	v_lshrrev_b32_e32 v3, 24, v2
	v_cmpx_ne_u64_e32 0x7f800000, v[4:5]
	s_xor_b32 s40, exec_lo, s10
	s_cbranch_execz .LBB6_1632
; %bb.1619:                             ;   in Loop: Header=BB6_130 Depth=2
	v_and_b32_e32 v4, 0x7fffffff, v2
	v_mov_b32_e32 v5, v1
	v_and_b32_e32 v8, 0x80, v3
                                        ; implicit-def: $vgpr39
	s_mov_b32 s10, exec_lo
	s_delay_alu instid0(VALU_DEP_2)
	v_cmpx_gt_u64_e32 0x47600001, v[4:5]
	s_xor_b32 s41, exec_lo, s10
	s_cbranch_execz .LBB6_1629
; %bb.1620:                             ;   in Loop: Header=BB6_130 Depth=2
	v_mov_b32_e32 v39, 0
	s_mov_b32 s42, exec_lo
	v_cmpx_ne_u32_e32 0, v2
	s_cbranch_execz .LBB6_1628
; %bb.1621:                             ;   in Loop: Header=BB6_130 Depth=2
	v_bfe_u32 v14, v2, 23, 8
	v_or_b32_e32 v3, 0x800000, v0
	s_delay_alu instid0(VALU_DEP_2) | instskip(SKIP_2) | instid1(VALU_DEP_2)
	v_cmp_gt_u32_e64 s10, 0x72, v14
	v_sub_nc_u32_e32 v2, 0x71, v14
	v_cmp_eq_u32_e32 vcc_lo, 0, v14
	v_cndmask_b32_e64 v2, 0, v2, s10
	s_delay_alu instid0(VALU_DEP_1) | instskip(SKIP_1) | instid1(VALU_DEP_2)
	v_cndmask_b32_e64 v15, v2, 0x70, vcc_lo
	v_dual_cndmask_b32 v2, v3, v0 :: v_dual_mov_b32 v3, v1
	v_add_nc_u32_e32 v0, 21, v15
	s_delay_alu instid0(VALU_DEP_1) | instskip(SKIP_1) | instid1(VALU_DEP_1)
	v_lshlrev_b64_e64 v[4:5], v0, -1
	v_add_nc_u32_e32 v0, 20, v15
	v_lshlrev_b64_e64 v[16:17], v0, 1
	s_delay_alu instid0(VALU_DEP_3) | instskip(SKIP_2) | instid1(VALU_DEP_1)
	v_bfi_b32 v4, v4, 0, v2
	v_lshrrev_b64 v[2:3], v15, v[2:3]
	v_bfi_b32 v5, v5, 0, 0
	v_cmp_eq_u64_e64 s10, v[4:5], v[16:17]
	s_delay_alu instid0(VALU_DEP_3)
	v_mov_b64_e32 v[4:5], v[2:3]
	s_and_saveexec_b32 s43, s10
; %bb.1622:                             ;   in Loop: Header=BB6_130 Depth=2
	v_bfe_u32 v4, v2, 21, 1
	v_mov_b32_e32 v5, v1
	s_delay_alu instid0(VALU_DEP_1) | instskip(NEXT) | instid1(VALU_DEP_1)
	v_add_nc_u64_e32 v[4:5], v[2:3], v[4:5]
	v_add_nc_u64_e32 v[4:5], -1, v[4:5]
; %bb.1623:                             ;   in Loop: Header=BB6_130 Depth=2
	s_or_b32 exec_lo, exec_lo, s43
	v_add_nc_u32_e32 v0, 0xffffff81, v14
	v_lshrrev_b32_e32 v3, 23, v2
	s_mov_b32 s10, exec_lo
	s_delay_alu instid0(VALU_DEP_2) | instskip(NEXT) | instid1(VALU_DEP_1)
	v_cndmask_b32_e64 v0, v0, 0xffffff82, vcc_lo
	v_add3_u32 v5, v15, v0, v3
	v_and_b32_e32 v0, 0x1fffff, v4
                                        ; implicit-def: $vgpr4
	s_delay_alu instid0(VALU_DEP_1) | instskip(NEXT) | instid1(VALU_DEP_1)
	v_dual_add_nc_u32 v14, 14, v5 :: v_dual_add_nc_u32 v0, v0, v2
                                        ; implicit-def: $vgpr2_vgpr3
	v_cmpx_ne_u32_e32 0, v14
	s_xor_b32 s10, exec_lo, s10
; %bb.1624:                             ;   in Loop: Header=BB6_130 Depth=2
	s_delay_alu instid0(VALU_DEP_2) | instskip(SKIP_1) | instid1(VALU_DEP_1)
	v_cmp_lt_u64_e32 vcc_lo, 0xffffff, v[0:1]
	v_add_nc_u32_e32 v2, 15, v5
	v_cndmask_b32_e32 v4, v14, v2, vcc_lo
	v_cndmask_b32_e64 v2, 0, 1, vcc_lo
	s_delay_alu instid0(VALU_DEP_1)
	v_lshrrev_b64 v[2:3], v2, v[0:1]
; %bb.1625:                             ;   in Loop: Header=BB6_130 Depth=2
	s_and_not1_saveexec_b32 s10, s10
; %bb.1626:                             ;   in Loop: Header=BB6_130 Depth=2
	v_mov_b64_e32 v[2:3], v[0:1]
	v_bfe_u32 v4, v0, 23, 1
; %bb.1627:                             ;   in Loop: Header=BB6_130 Depth=2
	s_or_b32 exec_lo, exec_lo, s10
	s_delay_alu instid0(VALU_DEP_2) | instskip(NEXT) | instid1(VALU_DEP_2)
	v_lshrrev_b64 v[2:3], 21, v[2:3]
	v_cmp_gt_i32_e32 vcc_lo, 32, v4
	v_min_i32_e32 v0, 31, v4
	v_cmp_eq_u32_e64 s10, 0, v4
	s_delay_alu instid0(VALU_DEP_2) | instskip(SKIP_1) | instid1(VALU_DEP_2)
	v_dual_cndmask_b32 v3, 0, v3 :: v_dual_lshlrev_b32 v0, 2, v0
	v_cndmask_b32_e32 v2, 3, v2, vcc_lo
	v_and_b32_e32 v0, 0xfc, v0
	s_delay_alu instid0(VALU_DEP_2) | instskip(NEXT) | instid1(VALU_DEP_2)
	v_cmp_eq_u64_e32 vcc_lo, 0, v[2:3]
	v_and_or_b32 v0, v2, 3, v0
	s_and_b32 s10, s10, vcc_lo
	s_delay_alu instid0(VALU_DEP_1) | instid1(SALU_CYCLE_1)
	v_cndmask_b32_e64 v0, v0, 0, s10
	s_delay_alu instid0(VALU_DEP_1)
	v_or_b32_e32 v39, v0, v8
.LBB6_1628:                             ;   in Loop: Header=BB6_130 Depth=2
	s_or_b32 exec_lo, exec_lo, s42
                                        ; implicit-def: $vgpr8
.LBB6_1629:                             ;   in Loop: Header=BB6_130 Depth=2
	s_and_not1_saveexec_b32 s10, s41
; %bb.1630:                             ;   in Loop: Header=BB6_130 Depth=2
	v_or_b32_e32 v39, 0x7b, v8
; %bb.1631:                             ;   in Loop: Header=BB6_130 Depth=2
	s_or_b32 exec_lo, exec_lo, s10
                                        ; implicit-def: $vgpr2
                                        ; implicit-def: $vgpr3
.LBB6_1632:                             ;   in Loop: Header=BB6_130 Depth=2
	s_and_not1_saveexec_b32 s10, s40
	s_cbranch_execz .LBB6_1638
; %bb.1633:                             ;   in Loop: Header=BB6_130 Depth=2
	s_mov_b32 s40, exec_lo
                                        ; implicit-def: $vgpr39
	v_cmpx_ne_u64_e32 0, v[0:1]
	s_xor_b32 s40, exec_lo, s40
; %bb.1634:                             ;   in Loop: Header=BB6_130 Depth=2
	v_or_b32_e32 v39, 0x7f, v3
                                        ; implicit-def: $vgpr2
; %bb.1635:                             ;   in Loop: Header=BB6_130 Depth=2
	s_and_not1_saveexec_b32 s40, s40
; %bb.1636:                             ;   in Loop: Header=BB6_130 Depth=2
	v_cmp_lt_i32_e32 vcc_lo, -1, v2
	v_mov_b32_e32 v0, 0x7c
	s_delay_alu instid0(VALU_DEP_1)
	v_cndmask_b32_e32 v39, 0xfc, v0, vcc_lo
; %bb.1637:                             ;   in Loop: Header=BB6_130 Depth=2
	s_or_b32 exec_lo, exec_lo, s40
.LBB6_1638:                             ;   in Loop: Header=BB6_130 Depth=2
	s_delay_alu instid0(SALU_CYCLE_1) | instskip(SKIP_2) | instid1(VALU_DEP_1)
	s_or_b32 exec_lo, exec_lo, s10
	v_dual_mov_b32 v3, 0 :: v_dual_lshrrev_b32 v0, 16, v10
	s_mov_b32 s10, exec_lo
	v_and_b32_e32 v2, 0xff, v0
	s_delay_alu instid0(VALU_DEP_1)
	v_cmpx_ne_u16_e32 0, v2
	s_cbranch_execz .LBB6_1648
; %bb.1639:                             ;   in Loop: Header=BB6_130 Depth=2
	v_bfrev_b32_e32 v3, 1
	s_mov_b32 s40, exec_lo
	v_cmpx_ne_u16_e32 0x80, v2
	s_cbranch_execz .LBB6_1647
; %bb.1640:                             ;   in Loop: Header=BB6_130 Depth=2
	v_and_b32_e32 v3, 0x7c0000, v10
	v_bfe_u32 v2, v10, 16, 2
	s_delay_alu instid0(VALU_DEP_2) | instskip(SKIP_1) | instid1(SALU_CYCLE_1)
	v_cmp_ne_u32_e32 vcc_lo, 0x7c0000, v3
                                        ; implicit-def: $vgpr3
	s_and_saveexec_b32 s41, vcc_lo
	s_xor_b32 s41, exec_lo, s41
	s_cbranch_execz .LBB6_1644
; %bb.1641:                             ;   in Loop: Header=BB6_130 Depth=2
	v_bfe_u32 v3, v10, 18, 5
	s_mov_b32 s42, exec_lo
	s_delay_alu instid0(VALU_DEP_1)
	v_cmpx_eq_u32_e32 0, v3
; %bb.1642:                             ;   in Loop: Header=BB6_130 Depth=2
	v_clz_i32_u32_e32 v2, v2
	s_delay_alu instid0(VALU_DEP_1) | instskip(NEXT) | instid1(VALU_DEP_1)
	v_min_u32_e32 v4, 32, v2
	v_subrev_nc_u32_e32 v2, 29, v4
	s_delay_alu instid0(VALU_DEP_1) | instskip(NEXT) | instid1(VALU_DEP_1)
	v_lshlrev_b64_e32 v[2:3], v2, v[0:1]
	v_dual_sub_nc_u32 v3, 30, v4 :: v_dual_bitop2_b32 v2, 3, v2 bitop3:0x40
; %bb.1643:                             ;   in Loop: Header=BB6_130 Depth=2
	s_or_b32 exec_lo, exec_lo, s42
	v_lshlrev_b32_e32 v0, 24, v0
	s_delay_alu instid0(VALU_DEP_1) | instskip(NEXT) | instid1(VALU_DEP_1)
	v_and_b32_e32 v0, 0x80000000, v0
	v_lshl_add_u32 v0, v3, 23, v0
	s_delay_alu instid0(VALU_DEP_1) | instskip(NEXT) | instid1(VALU_DEP_1)
	v_lshl_or_b32 v0, v2, 21, v0
                                        ; implicit-def: $vgpr2
	v_add_nc_u32_e32 v3, 0x38000000, v0
                                        ; implicit-def: $vgpr0
.LBB6_1644:                             ;   in Loop: Header=BB6_130 Depth=2
	s_and_not1_saveexec_b32 s41, s41
; %bb.1645:                             ;   in Loop: Header=BB6_130 Depth=2
	v_bfe_i32 v0, v0, 0, 8
	s_delay_alu instid0(VALU_DEP_1) | instskip(SKIP_1) | instid1(VALU_DEP_1)
	v_cmp_lt_i16_e32 vcc_lo, -1, v0
	v_mov_b32_e32 v0, 0x7f800000
	v_cndmask_b32_e32 v0, 0xff800000, v0, vcc_lo
	v_cmp_eq_u32_e32 vcc_lo, 0, v2
	s_delay_alu instid0(VALU_DEP_2)
	v_cndmask_b32_e32 v3, 0x7f800001, v0, vcc_lo
; %bb.1646:                             ;   in Loop: Header=BB6_130 Depth=2
	s_or_b32 exec_lo, exec_lo, s41
.LBB6_1647:                             ;   in Loop: Header=BB6_130 Depth=2
	s_delay_alu instid0(SALU_CYCLE_1)
	s_or_b32 exec_lo, exec_lo, s40
.LBB6_1648:                             ;   in Loop: Header=BB6_130 Depth=2
	s_delay_alu instid0(SALU_CYCLE_1) | instskip(NEXT) | instid1(VALU_DEP_1)
	s_or_b32 exec_lo, exec_lo, s10
	v_dual_mul_f32 v2, s29, v3 :: v_dual_mov_b32 v5, v1
                                        ; implicit-def: $vgpr51
	s_mov_b32 s10, exec_lo
	s_delay_alu instid0(VALU_DEP_1) | instskip(SKIP_2) | instid1(VALU_DEP_3)
	v_and_b32_e32 v4, 0x7f800000, v2
	v_and_b32_e32 v0, 0x7fffff, v2
	v_lshrrev_b32_e32 v3, 24, v2
	v_cmpx_ne_u64_e32 0x7f800000, v[4:5]
	s_xor_b32 s40, exec_lo, s10
	s_cbranch_execz .LBB6_1662
; %bb.1649:                             ;   in Loop: Header=BB6_130 Depth=2
	v_and_b32_e32 v4, 0x7fffffff, v2
	v_mov_b32_e32 v5, v1
	v_and_b32_e32 v8, 0x80, v3
                                        ; implicit-def: $vgpr51
	s_mov_b32 s10, exec_lo
	s_delay_alu instid0(VALU_DEP_2)
	v_cmpx_gt_u64_e32 0x47600001, v[4:5]
	s_xor_b32 s41, exec_lo, s10
	s_cbranch_execz .LBB6_1659
; %bb.1650:                             ;   in Loop: Header=BB6_130 Depth=2
	v_mov_b32_e32 v51, 0
	s_mov_b32 s42, exec_lo
	v_cmpx_ne_u32_e32 0, v2
	s_cbranch_execz .LBB6_1658
; %bb.1651:                             ;   in Loop: Header=BB6_130 Depth=2
	v_bfe_u32 v14, v2, 23, 8
	v_or_b32_e32 v3, 0x800000, v0
	s_delay_alu instid0(VALU_DEP_2) | instskip(SKIP_2) | instid1(VALU_DEP_2)
	v_cmp_gt_u32_e64 s10, 0x72, v14
	v_sub_nc_u32_e32 v2, 0x71, v14
	v_cmp_eq_u32_e32 vcc_lo, 0, v14
	v_cndmask_b32_e64 v2, 0, v2, s10
	s_delay_alu instid0(VALU_DEP_1) | instskip(SKIP_1) | instid1(VALU_DEP_2)
	v_cndmask_b32_e64 v15, v2, 0x70, vcc_lo
	v_dual_cndmask_b32 v2, v3, v0 :: v_dual_mov_b32 v3, v1
	v_add_nc_u32_e32 v0, 21, v15
	s_delay_alu instid0(VALU_DEP_1) | instskip(SKIP_1) | instid1(VALU_DEP_1)
	v_lshlrev_b64_e64 v[4:5], v0, -1
	v_add_nc_u32_e32 v0, 20, v15
	v_lshlrev_b64_e64 v[16:17], v0, 1
	s_delay_alu instid0(VALU_DEP_3) | instskip(SKIP_2) | instid1(VALU_DEP_1)
	v_bfi_b32 v4, v4, 0, v2
	v_lshrrev_b64 v[2:3], v15, v[2:3]
	v_bfi_b32 v5, v5, 0, 0
	v_cmp_eq_u64_e64 s10, v[4:5], v[16:17]
	s_delay_alu instid0(VALU_DEP_3)
	v_mov_b64_e32 v[4:5], v[2:3]
	s_and_saveexec_b32 s43, s10
; %bb.1652:                             ;   in Loop: Header=BB6_130 Depth=2
	v_bfe_u32 v4, v2, 21, 1
	v_mov_b32_e32 v5, v1
	s_delay_alu instid0(VALU_DEP_1) | instskip(NEXT) | instid1(VALU_DEP_1)
	v_add_nc_u64_e32 v[4:5], v[2:3], v[4:5]
	v_add_nc_u64_e32 v[4:5], -1, v[4:5]
; %bb.1653:                             ;   in Loop: Header=BB6_130 Depth=2
	s_or_b32 exec_lo, exec_lo, s43
	v_add_nc_u32_e32 v0, 0xffffff81, v14
	v_lshrrev_b32_e32 v3, 23, v2
	s_mov_b32 s10, exec_lo
	s_delay_alu instid0(VALU_DEP_2) | instskip(NEXT) | instid1(VALU_DEP_1)
	v_cndmask_b32_e64 v0, v0, 0xffffff82, vcc_lo
	v_add3_u32 v5, v15, v0, v3
	v_and_b32_e32 v0, 0x1fffff, v4
                                        ; implicit-def: $vgpr4
	s_delay_alu instid0(VALU_DEP_1) | instskip(NEXT) | instid1(VALU_DEP_1)
	v_dual_add_nc_u32 v14, 14, v5 :: v_dual_add_nc_u32 v0, v0, v2
                                        ; implicit-def: $vgpr2_vgpr3
	v_cmpx_ne_u32_e32 0, v14
	s_xor_b32 s10, exec_lo, s10
; %bb.1654:                             ;   in Loop: Header=BB6_130 Depth=2
	s_delay_alu instid0(VALU_DEP_2) | instskip(SKIP_1) | instid1(VALU_DEP_1)
	v_cmp_lt_u64_e32 vcc_lo, 0xffffff, v[0:1]
	v_add_nc_u32_e32 v2, 15, v5
	v_cndmask_b32_e32 v4, v14, v2, vcc_lo
	v_cndmask_b32_e64 v2, 0, 1, vcc_lo
	s_delay_alu instid0(VALU_DEP_1)
	v_lshrrev_b64 v[2:3], v2, v[0:1]
; %bb.1655:                             ;   in Loop: Header=BB6_130 Depth=2
	s_and_not1_saveexec_b32 s10, s10
; %bb.1656:                             ;   in Loop: Header=BB6_130 Depth=2
	v_mov_b64_e32 v[2:3], v[0:1]
	v_bfe_u32 v4, v0, 23, 1
; %bb.1657:                             ;   in Loop: Header=BB6_130 Depth=2
	s_or_b32 exec_lo, exec_lo, s10
	s_delay_alu instid0(VALU_DEP_2) | instskip(NEXT) | instid1(VALU_DEP_2)
	v_lshrrev_b64 v[2:3], 21, v[2:3]
	v_cmp_gt_i32_e32 vcc_lo, 32, v4
	v_min_i32_e32 v0, 31, v4
	v_cmp_eq_u32_e64 s10, 0, v4
	s_delay_alu instid0(VALU_DEP_2) | instskip(SKIP_1) | instid1(VALU_DEP_2)
	v_dual_cndmask_b32 v3, 0, v3 :: v_dual_lshlrev_b32 v0, 2, v0
	v_cndmask_b32_e32 v2, 3, v2, vcc_lo
	v_and_b32_e32 v0, 0xfc, v0
	s_delay_alu instid0(VALU_DEP_2) | instskip(NEXT) | instid1(VALU_DEP_2)
	v_cmp_eq_u64_e32 vcc_lo, 0, v[2:3]
	v_and_or_b32 v0, v2, 3, v0
	s_and_b32 s10, s10, vcc_lo
	s_delay_alu instid0(VALU_DEP_1) | instid1(SALU_CYCLE_1)
	v_cndmask_b32_e64 v0, v0, 0, s10
	s_delay_alu instid0(VALU_DEP_1)
	v_or_b32_e32 v51, v0, v8
.LBB6_1658:                             ;   in Loop: Header=BB6_130 Depth=2
	s_or_b32 exec_lo, exec_lo, s42
                                        ; implicit-def: $vgpr8
.LBB6_1659:                             ;   in Loop: Header=BB6_130 Depth=2
	s_and_not1_saveexec_b32 s10, s41
; %bb.1660:                             ;   in Loop: Header=BB6_130 Depth=2
	v_or_b32_e32 v51, 0x7b, v8
; %bb.1661:                             ;   in Loop: Header=BB6_130 Depth=2
	s_or_b32 exec_lo, exec_lo, s10
                                        ; implicit-def: $vgpr2
                                        ; implicit-def: $vgpr3
.LBB6_1662:                             ;   in Loop: Header=BB6_130 Depth=2
	s_and_not1_saveexec_b32 s10, s40
	s_cbranch_execz .LBB6_1668
; %bb.1663:                             ;   in Loop: Header=BB6_130 Depth=2
	s_mov_b32 s40, exec_lo
                                        ; implicit-def: $vgpr51
	v_cmpx_ne_u64_e32 0, v[0:1]
	s_xor_b32 s40, exec_lo, s40
; %bb.1664:                             ;   in Loop: Header=BB6_130 Depth=2
	v_or_b32_e32 v51, 0x7f, v3
                                        ; implicit-def: $vgpr2
; %bb.1665:                             ;   in Loop: Header=BB6_130 Depth=2
	s_and_not1_saveexec_b32 s40, s40
; %bb.1666:                             ;   in Loop: Header=BB6_130 Depth=2
	v_cmp_lt_i32_e32 vcc_lo, -1, v2
	v_mov_b32_e32 v0, 0x7c
	s_delay_alu instid0(VALU_DEP_1)
	v_cndmask_b32_e32 v51, 0xfc, v0, vcc_lo
; %bb.1667:                             ;   in Loop: Header=BB6_130 Depth=2
	s_or_b32 exec_lo, exec_lo, s40
.LBB6_1668:                             ;   in Loop: Header=BB6_130 Depth=2
	s_delay_alu instid0(SALU_CYCLE_1)
	s_or_b32 exec_lo, exec_lo, s10
	v_mov_b32_e32 v2, 0
	s_mov_b32 s10, exec_lo
	v_cmpx_lt_u32_e32 0xffffff, v10
	s_cbranch_execz .LBB6_1678
; %bb.1669:                             ;   in Loop: Header=BB6_130 Depth=2
	v_lshrrev_b32_e32 v0, 24, v10
	v_bfrev_b32_e32 v2, 1
	s_mov_b32 s40, exec_lo
	s_delay_alu instid0(VALU_DEP_2)
	v_cmpx_ne_u32_e32 0x80, v0
	s_cbranch_execz .LBB6_1677
; %bb.1670:                             ;   in Loop: Header=BB6_130 Depth=2
	v_and_b32_e32 v2, 0x7c000000, v10
	v_bfe_u32 v3, v10, 24, 2
	s_delay_alu instid0(VALU_DEP_2) | instskip(SKIP_1) | instid1(SALU_CYCLE_1)
	v_cmp_ne_u32_e32 vcc_lo, 0x7c000000, v2
                                        ; implicit-def: $vgpr2
	s_and_saveexec_b32 s41, vcc_lo
	s_xor_b32 s41, exec_lo, s41
	s_cbranch_execz .LBB6_1674
; %bb.1671:                             ;   in Loop: Header=BB6_130 Depth=2
	v_bfe_u32 v2, v10, 26, 5
	s_mov_b32 s42, exec_lo
	s_delay_alu instid0(VALU_DEP_1)
	v_cmpx_eq_u32_e32 0, v2
; %bb.1672:                             ;   in Loop: Header=BB6_130 Depth=2
	v_clz_i32_u32_e32 v2, v3
	s_delay_alu instid0(VALU_DEP_1) | instskip(NEXT) | instid1(VALU_DEP_1)
	v_min_u32_e32 v2, 32, v2
	v_subrev_nc_u32_e32 v3, 29, v2
	s_delay_alu instid0(VALU_DEP_1) | instskip(NEXT) | instid1(VALU_DEP_1)
	v_lshlrev_b64_e32 v[4:5], v3, v[0:1]
	v_dual_sub_nc_u32 v2, 30, v2 :: v_dual_bitop2_b32 v3, 3, v4 bitop3:0x40
; %bb.1673:                             ;   in Loop: Header=BB6_130 Depth=2
	s_or_b32 exec_lo, exec_lo, s42
	v_and_b32_e32 v0, 0x80000000, v10
	s_delay_alu instid0(VALU_DEP_1) | instskip(NEXT) | instid1(VALU_DEP_1)
	v_lshl_add_u32 v0, v2, 23, v0
	v_lshl_or_b32 v0, v3, 21, v0
                                        ; implicit-def: $vgpr3
	s_delay_alu instid0(VALU_DEP_1)
	v_add_nc_u32_e32 v2, 0x38000000, v0
.LBB6_1674:                             ;   in Loop: Header=BB6_130 Depth=2
	s_and_not1_saveexec_b32 s41, s41
; %bb.1675:                             ;   in Loop: Header=BB6_130 Depth=2
	v_cmp_lt_i32_e32 vcc_lo, -1, v10
	v_mov_b32_e32 v0, 0x7f800000
	s_delay_alu instid0(VALU_DEP_1) | instskip(SKIP_1) | instid1(VALU_DEP_2)
	v_cndmask_b32_e32 v0, 0xff800000, v0, vcc_lo
	v_cmp_eq_u32_e32 vcc_lo, 0, v3
	v_cndmask_b32_e32 v2, 0x7f800001, v0, vcc_lo
; %bb.1676:                             ;   in Loop: Header=BB6_130 Depth=2
	s_or_b32 exec_lo, exec_lo, s41
.LBB6_1677:                             ;   in Loop: Header=BB6_130 Depth=2
	s_delay_alu instid0(SALU_CYCLE_1)
	s_or_b32 exec_lo, exec_lo, s40
.LBB6_1678:                             ;   in Loop: Header=BB6_130 Depth=2
	s_delay_alu instid0(SALU_CYCLE_1) | instskip(NEXT) | instid1(VALU_DEP_1)
	s_or_b32 exec_lo, exec_lo, s10
	v_dual_mul_f32 v2, s29, v2 :: v_dual_mov_b32 v5, v1
                                        ; implicit-def: $vgpr54
	s_mov_b32 s10, exec_lo
	s_delay_alu instid0(VALU_DEP_1) | instskip(SKIP_2) | instid1(VALU_DEP_3)
	v_and_b32_e32 v4, 0x7f800000, v2
	v_and_b32_e32 v0, 0x7fffff, v2
	v_lshrrev_b32_e32 v3, 24, v2
	v_cmpx_ne_u64_e32 0x7f800000, v[4:5]
	s_xor_b32 s40, exec_lo, s10
	s_cbranch_execz .LBB6_1692
; %bb.1679:                             ;   in Loop: Header=BB6_130 Depth=2
	v_and_b32_e32 v4, 0x7fffffff, v2
	v_mov_b32_e32 v5, v1
	v_and_b32_e32 v8, 0x80, v3
                                        ; implicit-def: $vgpr54
	s_mov_b32 s10, exec_lo
	s_delay_alu instid0(VALU_DEP_2)
	v_cmpx_gt_u64_e32 0x47600001, v[4:5]
	s_xor_b32 s41, exec_lo, s10
	s_cbranch_execz .LBB6_1689
; %bb.1680:                             ;   in Loop: Header=BB6_130 Depth=2
	v_mov_b32_e32 v54, 0
	s_mov_b32 s42, exec_lo
	v_cmpx_ne_u32_e32 0, v2
	s_cbranch_execz .LBB6_1688
; %bb.1681:                             ;   in Loop: Header=BB6_130 Depth=2
	v_bfe_u32 v14, v2, 23, 8
	v_or_b32_e32 v3, 0x800000, v0
	s_delay_alu instid0(VALU_DEP_2) | instskip(SKIP_2) | instid1(VALU_DEP_2)
	v_cmp_gt_u32_e64 s10, 0x72, v14
	v_sub_nc_u32_e32 v2, 0x71, v14
	v_cmp_eq_u32_e32 vcc_lo, 0, v14
	v_cndmask_b32_e64 v2, 0, v2, s10
	s_delay_alu instid0(VALU_DEP_1) | instskip(SKIP_1) | instid1(VALU_DEP_2)
	v_cndmask_b32_e64 v15, v2, 0x70, vcc_lo
	v_dual_cndmask_b32 v2, v3, v0 :: v_dual_mov_b32 v3, v1
	v_add_nc_u32_e32 v0, 21, v15
	s_delay_alu instid0(VALU_DEP_1) | instskip(SKIP_1) | instid1(VALU_DEP_1)
	v_lshlrev_b64_e64 v[4:5], v0, -1
	v_add_nc_u32_e32 v0, 20, v15
	v_lshlrev_b64_e64 v[16:17], v0, 1
	s_delay_alu instid0(VALU_DEP_3) | instskip(SKIP_2) | instid1(VALU_DEP_1)
	v_bfi_b32 v4, v4, 0, v2
	v_lshrrev_b64 v[2:3], v15, v[2:3]
	v_bfi_b32 v5, v5, 0, 0
	v_cmp_eq_u64_e64 s10, v[4:5], v[16:17]
	s_delay_alu instid0(VALU_DEP_3)
	v_mov_b64_e32 v[4:5], v[2:3]
	s_and_saveexec_b32 s43, s10
; %bb.1682:                             ;   in Loop: Header=BB6_130 Depth=2
	v_bfe_u32 v4, v2, 21, 1
	v_mov_b32_e32 v5, v1
	s_delay_alu instid0(VALU_DEP_1) | instskip(NEXT) | instid1(VALU_DEP_1)
	v_add_nc_u64_e32 v[4:5], v[2:3], v[4:5]
	v_add_nc_u64_e32 v[4:5], -1, v[4:5]
; %bb.1683:                             ;   in Loop: Header=BB6_130 Depth=2
	s_or_b32 exec_lo, exec_lo, s43
	v_add_nc_u32_e32 v0, 0xffffff81, v14
	v_lshrrev_b32_e32 v3, 23, v2
	s_mov_b32 s10, exec_lo
	s_delay_alu instid0(VALU_DEP_2) | instskip(NEXT) | instid1(VALU_DEP_1)
	v_cndmask_b32_e64 v0, v0, 0xffffff82, vcc_lo
	v_add3_u32 v14, v15, v0, v3
	v_and_b32_e32 v0, 0x1fffff, v4
                                        ; implicit-def: $vgpr4
	s_delay_alu instid0(VALU_DEP_2) | instskip(NEXT) | instid1(VALU_DEP_2)
	v_add_nc_u32_e32 v5, 14, v14
	v_add_nc_u32_e32 v0, v0, v2
                                        ; implicit-def: $vgpr2_vgpr3
	s_delay_alu instid0(VALU_DEP_2)
	v_cmpx_ne_u32_e32 0, v5
	s_xor_b32 s10, exec_lo, s10
; %bb.1684:                             ;   in Loop: Header=BB6_130 Depth=2
	s_delay_alu instid0(VALU_DEP_2) | instskip(SKIP_1) | instid1(VALU_DEP_1)
	v_cmp_lt_u64_e32 vcc_lo, 0xffffff, v[0:1]
	v_add_nc_u32_e32 v2, 15, v14
	v_cndmask_b32_e32 v4, v5, v2, vcc_lo
	v_cndmask_b32_e64 v2, 0, 1, vcc_lo
	s_delay_alu instid0(VALU_DEP_1)
	v_lshrrev_b64 v[2:3], v2, v[0:1]
; %bb.1685:                             ;   in Loop: Header=BB6_130 Depth=2
	s_and_not1_saveexec_b32 s10, s10
; %bb.1686:                             ;   in Loop: Header=BB6_130 Depth=2
	v_mov_b64_e32 v[2:3], v[0:1]
	v_bfe_u32 v4, v0, 23, 1
; %bb.1687:                             ;   in Loop: Header=BB6_130 Depth=2
	s_or_b32 exec_lo, exec_lo, s10
	s_delay_alu instid0(VALU_DEP_2) | instskip(NEXT) | instid1(VALU_DEP_2)
	v_lshrrev_b64 v[2:3], 21, v[2:3]
	v_cmp_gt_i32_e32 vcc_lo, 32, v4
	v_min_i32_e32 v0, 31, v4
	v_cmp_eq_u32_e64 s10, 0, v4
	s_delay_alu instid0(VALU_DEP_2) | instskip(SKIP_1) | instid1(VALU_DEP_2)
	v_dual_cndmask_b32 v3, 0, v3 :: v_dual_lshlrev_b32 v0, 2, v0
	v_cndmask_b32_e32 v2, 3, v2, vcc_lo
	v_and_b32_e32 v0, 0xfc, v0
	s_delay_alu instid0(VALU_DEP_2) | instskip(NEXT) | instid1(VALU_DEP_2)
	v_cmp_eq_u64_e32 vcc_lo, 0, v[2:3]
	v_and_or_b32 v0, v2, 3, v0
	s_and_b32 s10, s10, vcc_lo
	s_delay_alu instid0(VALU_DEP_1) | instid1(SALU_CYCLE_1)
	v_cndmask_b32_e64 v0, v0, 0, s10
	s_delay_alu instid0(VALU_DEP_1)
	v_or_b32_e32 v54, v0, v8
.LBB6_1688:                             ;   in Loop: Header=BB6_130 Depth=2
	s_or_b32 exec_lo, exec_lo, s42
                                        ; implicit-def: $vgpr8
.LBB6_1689:                             ;   in Loop: Header=BB6_130 Depth=2
	s_and_not1_saveexec_b32 s10, s41
; %bb.1690:                             ;   in Loop: Header=BB6_130 Depth=2
	v_or_b32_e32 v54, 0x7b, v8
; %bb.1691:                             ;   in Loop: Header=BB6_130 Depth=2
	s_or_b32 exec_lo, exec_lo, s10
                                        ; implicit-def: $vgpr2
                                        ; implicit-def: $vgpr3
.LBB6_1692:                             ;   in Loop: Header=BB6_130 Depth=2
	s_and_not1_saveexec_b32 s10, s40
	s_cbranch_execz .LBB6_1698
; %bb.1693:                             ;   in Loop: Header=BB6_130 Depth=2
	s_mov_b32 s40, exec_lo
                                        ; implicit-def: $vgpr54
	v_cmpx_ne_u64_e32 0, v[0:1]
	s_xor_b32 s40, exec_lo, s40
; %bb.1694:                             ;   in Loop: Header=BB6_130 Depth=2
	v_or_b32_e32 v54, 0x7f, v3
                                        ; implicit-def: $vgpr2
; %bb.1695:                             ;   in Loop: Header=BB6_130 Depth=2
	s_and_not1_saveexec_b32 s40, s40
; %bb.1696:                             ;   in Loop: Header=BB6_130 Depth=2
	v_cmp_lt_i32_e32 vcc_lo, -1, v2
	v_mov_b32_e32 v0, 0x7c
	s_delay_alu instid0(VALU_DEP_1)
	v_cndmask_b32_e32 v54, 0xfc, v0, vcc_lo
; %bb.1697:                             ;   in Loop: Header=BB6_130 Depth=2
	s_or_b32 exec_lo, exec_lo, s40
.LBB6_1698:                             ;   in Loop: Header=BB6_130 Depth=2
	s_delay_alu instid0(SALU_CYCLE_1) | instskip(SKIP_3) | instid1(VALU_DEP_2)
	s_or_b32 exec_lo, exec_lo, s10
	v_and_b32_e32 v2, 0xff, v11
	v_dual_mov_b32 v0, v11 :: v_dual_mov_b32 v3, 0
	s_mov_b32 s10, exec_lo
	v_cmpx_ne_u16_e32 0, v2
	s_cbranch_execz .LBB6_1708
; %bb.1699:                             ;   in Loop: Header=BB6_130 Depth=2
	v_bfrev_b32_e32 v3, 1
	s_mov_b32 s40, exec_lo
	v_cmpx_ne_u16_e32 0x80, v2
	s_cbranch_execz .LBB6_1707
; %bb.1700:                             ;   in Loop: Header=BB6_130 Depth=2
	v_and_b32_e32 v3, 0x7c, v11
	v_and_b32_e32 v2, 3, v11
	s_delay_alu instid0(VALU_DEP_2) | instskip(SKIP_1) | instid1(SALU_CYCLE_1)
	v_cmp_ne_u32_e32 vcc_lo, 0x7c, v3
                                        ; implicit-def: $vgpr3
	s_and_saveexec_b32 s41, vcc_lo
	s_xor_b32 s41, exec_lo, s41
	s_cbranch_execz .LBB6_1704
; %bb.1701:                             ;   in Loop: Header=BB6_130 Depth=2
	v_bfe_u32 v3, v11, 2, 5
	s_mov_b32 s42, exec_lo
	s_delay_alu instid0(VALU_DEP_1)
	v_cmpx_eq_u32_e32 0, v3
; %bb.1702:                             ;   in Loop: Header=BB6_130 Depth=2
	v_clz_i32_u32_e32 v2, v2
	s_delay_alu instid0(VALU_DEP_1) | instskip(NEXT) | instid1(VALU_DEP_1)
	v_min_u32_e32 v4, 32, v2
	v_subrev_nc_u32_e32 v2, 29, v4
	s_delay_alu instid0(VALU_DEP_1) | instskip(NEXT) | instid1(VALU_DEP_1)
	v_lshlrev_b64_e32 v[2:3], v2, v[0:1]
	v_dual_sub_nc_u32 v3, 30, v4 :: v_dual_bitop2_b32 v2, 3, v2 bitop3:0x40
; %bb.1703:                             ;   in Loop: Header=BB6_130 Depth=2
	s_or_b32 exec_lo, exec_lo, s42
	v_lshlrev_b32_e32 v4, 24, v11
	s_delay_alu instid0(VALU_DEP_1) | instskip(NEXT) | instid1(VALU_DEP_1)
	v_and_b32_e32 v4, 0x80000000, v4
	v_lshl_add_u32 v3, v3, 23, v4
	s_delay_alu instid0(VALU_DEP_1) | instskip(NEXT) | instid1(VALU_DEP_1)
	v_lshl_or_b32 v2, v2, 21, v3
	v_add_nc_u32_e32 v3, 0x38000000, v2
                                        ; implicit-def: $vgpr2
.LBB6_1704:                             ;   in Loop: Header=BB6_130 Depth=2
	s_and_not1_saveexec_b32 s41, s41
; %bb.1705:                             ;   in Loop: Header=BB6_130 Depth=2
	v_bfe_i32 v3, v11, 0, 8
	s_delay_alu instid0(VALU_DEP_1) | instskip(SKIP_1) | instid1(VALU_DEP_1)
	v_cmp_lt_i16_e32 vcc_lo, -1, v3
	v_mov_b32_e32 v3, 0x7f800000
	v_cndmask_b32_e32 v3, 0xff800000, v3, vcc_lo
	v_cmp_eq_u32_e32 vcc_lo, 0, v2
	s_delay_alu instid0(VALU_DEP_2)
	v_cndmask_b32_e32 v3, 0x7f800001, v3, vcc_lo
; %bb.1706:                             ;   in Loop: Header=BB6_130 Depth=2
	s_or_b32 exec_lo, exec_lo, s41
.LBB6_1707:                             ;   in Loop: Header=BB6_130 Depth=2
	s_delay_alu instid0(SALU_CYCLE_1)
	s_or_b32 exec_lo, exec_lo, s40
.LBB6_1708:                             ;   in Loop: Header=BB6_130 Depth=2
	s_delay_alu instid0(SALU_CYCLE_1) | instskip(NEXT) | instid1(VALU_DEP_1)
	s_or_b32 exec_lo, exec_lo, s10
	v_dual_mul_f32 v4, s29, v3 :: v_dual_mov_b32 v15, v1
	v_mov_b32_e32 v3, v1
                                        ; implicit-def: $vgpr29
	s_mov_b32 s10, exec_lo
	s_delay_alu instid0(VALU_DEP_2) | instskip(SKIP_2) | instid1(VALU_DEP_3)
	v_and_b32_e32 v14, 0x7f800000, v4
	v_and_b32_e32 v2, 0x7fffff, v4
	v_lshrrev_b32_e32 v5, 24, v4
	v_cmpx_ne_u64_e32 0x7f800000, v[14:15]
	s_xor_b32 s40, exec_lo, s10
	s_cbranch_execz .LBB6_1722
; %bb.1709:                             ;   in Loop: Header=BB6_130 Depth=2
	v_and_b32_e32 v14, 0x7fffffff, v4
	v_mov_b32_e32 v15, v1
	v_and_b32_e32 v8, 0x80, v5
                                        ; implicit-def: $vgpr29
	s_mov_b32 s10, exec_lo
	s_delay_alu instid0(VALU_DEP_2)
	v_cmpx_gt_u64_e32 0x47600001, v[14:15]
	s_xor_b32 s41, exec_lo, s10
	s_cbranch_execz .LBB6_1719
; %bb.1710:                             ;   in Loop: Header=BB6_130 Depth=2
	v_mov_b32_e32 v29, 0
	s_mov_b32 s42, exec_lo
	v_cmpx_ne_u32_e32 0, v4
	s_cbranch_execz .LBB6_1718
; %bb.1711:                             ;   in Loop: Header=BB6_130 Depth=2
	v_bfe_u32 v14, v4, 23, 8
	v_or_b32_e32 v5, 0x800000, v2
	s_delay_alu instid0(VALU_DEP_2) | instskip(SKIP_2) | instid1(VALU_DEP_2)
	v_cmp_gt_u32_e64 s10, 0x72, v14
	v_sub_nc_u32_e32 v4, 0x71, v14
	v_cmp_eq_u32_e32 vcc_lo, 0, v14
	v_dual_cndmask_b32 v4, 0, v4, s10 :: v_dual_cndmask_b32 v2, v5, v2, vcc_lo
	s_delay_alu instid0(VALU_DEP_1) | instskip(NEXT) | instid1(VALU_DEP_1)
	v_cndmask_b32_e64 v15, v4, 0x70, vcc_lo
	v_dual_add_nc_u32 v4, 21, v15 :: v_dual_add_nc_u32 v16, 20, v15
	s_delay_alu instid0(VALU_DEP_1) | instskip(NEXT) | instid1(VALU_DEP_2)
	v_lshlrev_b64_e64 v[4:5], v4, -1
	v_lshlrev_b64_e64 v[16:17], v16, 1
	s_delay_alu instid0(VALU_DEP_2) | instskip(SKIP_1) | instid1(VALU_DEP_4)
	v_bfi_b32 v4, v4, 0, v2
	v_lshrrev_b64 v[2:3], v15, v[2:3]
	v_bfi_b32 v5, v5, 0, 0
	s_delay_alu instid0(VALU_DEP_1) | instskip(NEXT) | instid1(VALU_DEP_3)
	v_cmp_eq_u64_e64 s10, v[4:5], v[16:17]
	v_mov_b64_e32 v[4:5], v[2:3]
	s_and_saveexec_b32 s43, s10
; %bb.1712:                             ;   in Loop: Header=BB6_130 Depth=2
	v_bfe_u32 v4, v2, 21, 1
	v_mov_b32_e32 v5, v1
	s_delay_alu instid0(VALU_DEP_1) | instskip(NEXT) | instid1(VALU_DEP_1)
	v_add_nc_u64_e32 v[4:5], v[2:3], v[4:5]
	v_add_nc_u64_e32 v[4:5], -1, v[4:5]
; %bb.1713:                             ;   in Loop: Header=BB6_130 Depth=2
	s_or_b32 exec_lo, exec_lo, s43
	v_add_nc_u32_e32 v3, 0xffffff81, v14
	v_lshrrev_b32_e32 v5, 23, v2
	s_mov_b32 s10, exec_lo
	s_delay_alu instid0(VALU_DEP_2) | instskip(NEXT) | instid1(VALU_DEP_1)
	v_cndmask_b32_e64 v3, v3, 0xffffff82, vcc_lo
	v_add3_u32 v14, v15, v3, v5
	v_and_b32_e32 v3, 0x1fffff, v4
                                        ; implicit-def: $vgpr4
	s_delay_alu instid0(VALU_DEP_2) | instskip(NEXT) | instid1(VALU_DEP_2)
	v_add_nc_u32_e32 v5, 14, v14
	v_dual_mov_b32 v3, v1 :: v_dual_add_nc_u32 v2, v3, v2
	s_delay_alu instid0(VALU_DEP_2)
	v_cmpx_ne_u32_e32 0, v5
	s_xor_b32 s10, exec_lo, s10
; %bb.1714:                             ;   in Loop: Header=BB6_130 Depth=2
	s_delay_alu instid0(VALU_DEP_2) | instskip(SKIP_1) | instid1(VALU_DEP_1)
	v_cmp_lt_u64_e32 vcc_lo, 0xffffff, v[2:3]
	v_add_nc_u32_e32 v4, 15, v14
	v_cndmask_b32_e32 v4, v5, v4, vcc_lo
	v_cndmask_b32_e64 v5, 0, 1, vcc_lo
	s_delay_alu instid0(VALU_DEP_1)
	v_lshrrev_b64 v[2:3], v5, v[2:3]
; %bb.1715:                             ;   in Loop: Header=BB6_130 Depth=2
	s_and_not1_saveexec_b32 s10, s10
; %bb.1716:                             ;   in Loop: Header=BB6_130 Depth=2
	s_delay_alu instid0(VALU_DEP_1)
	v_bfe_u32 v4, v2, 23, 1
; %bb.1717:                             ;   in Loop: Header=BB6_130 Depth=2
	s_or_b32 exec_lo, exec_lo, s10
	s_delay_alu instid0(VALU_DEP_2) | instskip(NEXT) | instid1(VALU_DEP_2)
	v_lshrrev_b64 v[2:3], 21, v[2:3]
	v_cmp_gt_i32_e32 vcc_lo, 32, v4
	v_min_i32_e32 v5, 31, v4
	v_cmp_eq_u32_e64 s10, 0, v4
	s_delay_alu instid0(VALU_DEP_2) | instskip(SKIP_1) | instid1(VALU_DEP_2)
	v_dual_cndmask_b32 v3, 0, v3, vcc_lo :: v_dual_lshlrev_b32 v5, 2, v5
	v_cndmask_b32_e32 v2, 3, v2, vcc_lo
	v_and_b32_e32 v5, 0xfc, v5
	s_delay_alu instid0(VALU_DEP_2) | instskip(NEXT) | instid1(VALU_DEP_2)
	v_cmp_eq_u64_e32 vcc_lo, 0, v[2:3]
	v_and_or_b32 v2, v2, 3, v5
	s_and_b32 s10, s10, vcc_lo
	s_delay_alu instid0(VALU_DEP_1) | instid1(SALU_CYCLE_1)
	v_cndmask_b32_e64 v2, v2, 0, s10
	s_delay_alu instid0(VALU_DEP_1)
	v_or_b32_e32 v29, v2, v8
.LBB6_1718:                             ;   in Loop: Header=BB6_130 Depth=2
	s_or_b32 exec_lo, exec_lo, s42
                                        ; implicit-def: $vgpr8
.LBB6_1719:                             ;   in Loop: Header=BB6_130 Depth=2
	s_and_not1_saveexec_b32 s10, s41
; %bb.1720:                             ;   in Loop: Header=BB6_130 Depth=2
	v_or_b32_e32 v29, 0x7b, v8
; %bb.1721:                             ;   in Loop: Header=BB6_130 Depth=2
	s_or_b32 exec_lo, exec_lo, s10
                                        ; implicit-def: $vgpr4
                                        ; implicit-def: $vgpr2_vgpr3
                                        ; implicit-def: $vgpr5
.LBB6_1722:                             ;   in Loop: Header=BB6_130 Depth=2
	s_and_not1_saveexec_b32 s10, s40
	s_cbranch_execz .LBB6_1728
; %bb.1723:                             ;   in Loop: Header=BB6_130 Depth=2
	s_mov_b32 s40, exec_lo
                                        ; implicit-def: $vgpr29
	v_cmpx_ne_u64_e32 0, v[2:3]
	s_xor_b32 s40, exec_lo, s40
; %bb.1724:                             ;   in Loop: Header=BB6_130 Depth=2
	v_or_b32_e32 v29, 0x7f, v5
                                        ; implicit-def: $vgpr4
; %bb.1725:                             ;   in Loop: Header=BB6_130 Depth=2
	s_and_not1_saveexec_b32 s40, s40
; %bb.1726:                             ;   in Loop: Header=BB6_130 Depth=2
	v_cmp_lt_i32_e32 vcc_lo, -1, v4
	v_mov_b32_e32 v2, 0x7c
	s_delay_alu instid0(VALU_DEP_1)
	v_cndmask_b32_e32 v29, 0xfc, v2, vcc_lo
; %bb.1727:                             ;   in Loop: Header=BB6_130 Depth=2
	s_or_b32 exec_lo, exec_lo, s40
.LBB6_1728:                             ;   in Loop: Header=BB6_130 Depth=2
	s_delay_alu instid0(SALU_CYCLE_1) | instskip(SKIP_3) | instid1(VALU_DEP_2)
	s_or_b32 exec_lo, exec_lo, s10
	v_lshrrev_b16 v2, 8, v0
	v_mov_b32_e32 v4, 0
	s_mov_b32 s10, exec_lo
	v_cmpx_ne_u16_e32 0, v2
	s_cbranch_execz .LBB6_1738
; %bb.1729:                             ;   in Loop: Header=BB6_130 Depth=2
	v_bfrev_b32_e32 v4, 1
	s_mov_b32 s40, exec_lo
	v_cmpx_ne_u16_e32 0x80, v2
	s_cbranch_execz .LBB6_1737
; %bb.1730:                             ;   in Loop: Header=BB6_130 Depth=2
	v_and_b32_e32 v5, 0xffff, v2
	s_delay_alu instid0(VALU_DEP_1) | instskip(SKIP_1) | instid1(VALU_DEP_2)
	v_and_b32_e32 v4, 0x7c, v5
	v_and_b32_e32 v3, 3, v5
	v_cmp_ne_u32_e32 vcc_lo, 0x7c, v4
                                        ; implicit-def: $vgpr4
	s_and_saveexec_b32 s41, vcc_lo
	s_delay_alu instid0(SALU_CYCLE_1)
	s_xor_b32 s41, exec_lo, s41
	s_cbranch_execz .LBB6_1734
; %bb.1731:                             ;   in Loop: Header=BB6_130 Depth=2
	v_bfe_u32 v4, v5, 2, 5
	s_mov_b32 s42, exec_lo
	s_delay_alu instid0(VALU_DEP_1)
	v_cmpx_eq_u32_e32 0, v4
	s_cbranch_execz .LBB6_1733
; %bb.1732:                             ;   in Loop: Header=BB6_130 Depth=2
	v_clz_i32_u32_e32 v3, v3
	s_delay_alu instid0(VALU_DEP_1) | instskip(SKIP_1) | instid1(VALU_DEP_2)
	v_min_u32_e32 v4, 32, v3
	v_mov_b32_e32 v3, v1
	v_subrev_nc_u32_e32 v5, 29, v4
	v_sub_nc_u32_e32 v4, 30, v4
	s_delay_alu instid0(VALU_DEP_2) | instskip(NEXT) | instid1(VALU_DEP_1)
	v_lshlrev_b64_e32 v[2:3], v5, v[2:3]
	v_and_b32_e32 v3, 3, v2
.LBB6_1733:                             ;   in Loop: Header=BB6_130 Depth=2
	s_or_b32 exec_lo, exec_lo, s42
	v_lshlrev_b32_e32 v0, 16, v0
	s_delay_alu instid0(VALU_DEP_1) | instskip(NEXT) | instid1(VALU_DEP_1)
	v_and_b32_e32 v0, 0x80000000, v0
	v_lshl_add_u32 v0, v4, 23, v0
	s_delay_alu instid0(VALU_DEP_1) | instskip(NEXT) | instid1(VALU_DEP_1)
	v_lshl_or_b32 v0, v3, 21, v0
                                        ; implicit-def: $vgpr3
	v_add_nc_u32_e32 v4, 0x38000000, v0
.LBB6_1734:                             ;   in Loop: Header=BB6_130 Depth=2
	s_and_not1_saveexec_b32 s41, s41
; %bb.1735:                             ;   in Loop: Header=BB6_130 Depth=2
	v_cmp_lt_i16_e32 vcc_lo, -1, v0
	v_mov_b32_e32 v0, 0x7f800000
	s_delay_alu instid0(VALU_DEP_1) | instskip(SKIP_1) | instid1(VALU_DEP_2)
	v_cndmask_b32_e32 v0, 0xff800000, v0, vcc_lo
	v_cmp_eq_u32_e32 vcc_lo, 0, v3
	v_cndmask_b32_e32 v4, 0x7f800001, v0, vcc_lo
; %bb.1736:                             ;   in Loop: Header=BB6_130 Depth=2
	s_or_b32 exec_lo, exec_lo, s41
.LBB6_1737:                             ;   in Loop: Header=BB6_130 Depth=2
	s_delay_alu instid0(SALU_CYCLE_1)
	s_or_b32 exec_lo, exec_lo, s40
.LBB6_1738:                             ;   in Loop: Header=BB6_130 Depth=2
	s_delay_alu instid0(SALU_CYCLE_1) | instskip(NEXT) | instid1(VALU_DEP_1)
	s_or_b32 exec_lo, exec_lo, s10
	v_dual_mul_f32 v2, s29, v4 :: v_dual_mov_b32 v5, v1
                                        ; implicit-def: $vgpr36
	s_mov_b32 s10, exec_lo
	s_delay_alu instid0(VALU_DEP_1) | instskip(SKIP_2) | instid1(VALU_DEP_3)
	v_and_b32_e32 v4, 0x7f800000, v2
	v_and_b32_e32 v0, 0x7fffff, v2
	v_lshrrev_b32_e32 v3, 24, v2
	v_cmpx_ne_u64_e32 0x7f800000, v[4:5]
	s_xor_b32 s40, exec_lo, s10
	s_cbranch_execz .LBB6_1752
; %bb.1739:                             ;   in Loop: Header=BB6_130 Depth=2
	v_and_b32_e32 v4, 0x7fffffff, v2
	v_mov_b32_e32 v5, v1
	v_and_b32_e32 v8, 0x80, v3
                                        ; implicit-def: $vgpr36
	s_mov_b32 s10, exec_lo
	s_delay_alu instid0(VALU_DEP_2)
	v_cmpx_gt_u64_e32 0x47600001, v[4:5]
	s_xor_b32 s41, exec_lo, s10
	s_cbranch_execz .LBB6_1749
; %bb.1740:                             ;   in Loop: Header=BB6_130 Depth=2
	v_mov_b32_e32 v36, 0
	s_mov_b32 s42, exec_lo
	v_cmpx_ne_u32_e32 0, v2
	s_cbranch_execz .LBB6_1748
; %bb.1741:                             ;   in Loop: Header=BB6_130 Depth=2
	v_bfe_u32 v14, v2, 23, 8
	v_or_b32_e32 v3, 0x800000, v0
	s_delay_alu instid0(VALU_DEP_2) | instskip(SKIP_2) | instid1(VALU_DEP_2)
	v_cmp_gt_u32_e64 s10, 0x72, v14
	v_sub_nc_u32_e32 v2, 0x71, v14
	v_cmp_eq_u32_e32 vcc_lo, 0, v14
	v_cndmask_b32_e64 v2, 0, v2, s10
	s_delay_alu instid0(VALU_DEP_1) | instskip(SKIP_1) | instid1(VALU_DEP_2)
	v_cndmask_b32_e64 v15, v2, 0x70, vcc_lo
	v_dual_cndmask_b32 v2, v3, v0 :: v_dual_mov_b32 v3, v1
	v_add_nc_u32_e32 v0, 21, v15
	s_delay_alu instid0(VALU_DEP_1) | instskip(SKIP_1) | instid1(VALU_DEP_1)
	v_lshlrev_b64_e64 v[4:5], v0, -1
	v_add_nc_u32_e32 v0, 20, v15
	v_lshlrev_b64_e64 v[16:17], v0, 1
	s_delay_alu instid0(VALU_DEP_3) | instskip(SKIP_2) | instid1(VALU_DEP_1)
	v_bfi_b32 v4, v4, 0, v2
	v_lshrrev_b64 v[2:3], v15, v[2:3]
	v_bfi_b32 v5, v5, 0, 0
	v_cmp_eq_u64_e64 s10, v[4:5], v[16:17]
	s_delay_alu instid0(VALU_DEP_3)
	v_mov_b64_e32 v[4:5], v[2:3]
	s_and_saveexec_b32 s43, s10
; %bb.1742:                             ;   in Loop: Header=BB6_130 Depth=2
	v_bfe_u32 v4, v2, 21, 1
	v_mov_b32_e32 v5, v1
	s_delay_alu instid0(VALU_DEP_1) | instskip(NEXT) | instid1(VALU_DEP_1)
	v_add_nc_u64_e32 v[4:5], v[2:3], v[4:5]
	v_add_nc_u64_e32 v[4:5], -1, v[4:5]
; %bb.1743:                             ;   in Loop: Header=BB6_130 Depth=2
	s_or_b32 exec_lo, exec_lo, s43
	v_add_nc_u32_e32 v0, 0xffffff81, v14
	v_lshrrev_b32_e32 v3, 23, v2
	s_mov_b32 s10, exec_lo
	s_delay_alu instid0(VALU_DEP_2) | instskip(NEXT) | instid1(VALU_DEP_1)
	v_cndmask_b32_e64 v0, v0, 0xffffff82, vcc_lo
	v_add3_u32 v14, v15, v0, v3
	v_and_b32_e32 v0, 0x1fffff, v4
                                        ; implicit-def: $vgpr4
	s_delay_alu instid0(VALU_DEP_2) | instskip(NEXT) | instid1(VALU_DEP_2)
	v_add_nc_u32_e32 v5, 14, v14
	v_add_nc_u32_e32 v0, v0, v2
                                        ; implicit-def: $vgpr2_vgpr3
	s_delay_alu instid0(VALU_DEP_2)
	v_cmpx_ne_u32_e32 0, v5
	s_xor_b32 s10, exec_lo, s10
; %bb.1744:                             ;   in Loop: Header=BB6_130 Depth=2
	s_delay_alu instid0(VALU_DEP_2) | instskip(SKIP_1) | instid1(VALU_DEP_1)
	v_cmp_lt_u64_e32 vcc_lo, 0xffffff, v[0:1]
	v_add_nc_u32_e32 v2, 15, v14
	v_cndmask_b32_e32 v4, v5, v2, vcc_lo
	v_cndmask_b32_e64 v2, 0, 1, vcc_lo
	s_delay_alu instid0(VALU_DEP_1)
	v_lshrrev_b64 v[2:3], v2, v[0:1]
; %bb.1745:                             ;   in Loop: Header=BB6_130 Depth=2
	s_and_not1_saveexec_b32 s10, s10
; %bb.1746:                             ;   in Loop: Header=BB6_130 Depth=2
	v_mov_b64_e32 v[2:3], v[0:1]
	v_bfe_u32 v4, v0, 23, 1
; %bb.1747:                             ;   in Loop: Header=BB6_130 Depth=2
	s_or_b32 exec_lo, exec_lo, s10
	s_delay_alu instid0(VALU_DEP_2) | instskip(NEXT) | instid1(VALU_DEP_2)
	v_lshrrev_b64 v[2:3], 21, v[2:3]
	v_cmp_gt_i32_e32 vcc_lo, 32, v4
	v_min_i32_e32 v0, 31, v4
	v_cmp_eq_u32_e64 s10, 0, v4
	s_delay_alu instid0(VALU_DEP_2) | instskip(SKIP_1) | instid1(VALU_DEP_2)
	v_dual_cndmask_b32 v3, 0, v3 :: v_dual_lshlrev_b32 v0, 2, v0
	v_cndmask_b32_e32 v2, 3, v2, vcc_lo
	v_and_b32_e32 v0, 0xfc, v0
	s_delay_alu instid0(VALU_DEP_2) | instskip(NEXT) | instid1(VALU_DEP_2)
	v_cmp_eq_u64_e32 vcc_lo, 0, v[2:3]
	v_and_or_b32 v0, v2, 3, v0
	s_and_b32 s10, s10, vcc_lo
	s_delay_alu instid0(VALU_DEP_1) | instid1(SALU_CYCLE_1)
	v_cndmask_b32_e64 v0, v0, 0, s10
	s_delay_alu instid0(VALU_DEP_1)
	v_or_b32_e32 v36, v0, v8
.LBB6_1748:                             ;   in Loop: Header=BB6_130 Depth=2
	s_or_b32 exec_lo, exec_lo, s42
                                        ; implicit-def: $vgpr8
.LBB6_1749:                             ;   in Loop: Header=BB6_130 Depth=2
	s_and_not1_saveexec_b32 s10, s41
; %bb.1750:                             ;   in Loop: Header=BB6_130 Depth=2
	v_or_b32_e32 v36, 0x7b, v8
; %bb.1751:                             ;   in Loop: Header=BB6_130 Depth=2
	s_or_b32 exec_lo, exec_lo, s10
                                        ; implicit-def: $vgpr2
                                        ; implicit-def: $vgpr3
.LBB6_1752:                             ;   in Loop: Header=BB6_130 Depth=2
	s_and_not1_saveexec_b32 s10, s40
	s_cbranch_execz .LBB6_1758
; %bb.1753:                             ;   in Loop: Header=BB6_130 Depth=2
	s_mov_b32 s40, exec_lo
                                        ; implicit-def: $vgpr36
	v_cmpx_ne_u64_e32 0, v[0:1]
	s_xor_b32 s40, exec_lo, s40
; %bb.1754:                             ;   in Loop: Header=BB6_130 Depth=2
	v_or_b32_e32 v36, 0x7f, v3
                                        ; implicit-def: $vgpr2
; %bb.1755:                             ;   in Loop: Header=BB6_130 Depth=2
	s_and_not1_saveexec_b32 s40, s40
; %bb.1756:                             ;   in Loop: Header=BB6_130 Depth=2
	v_cmp_lt_i32_e32 vcc_lo, -1, v2
	v_mov_b32_e32 v0, 0x7c
	s_delay_alu instid0(VALU_DEP_1)
	v_cndmask_b32_e32 v36, 0xfc, v0, vcc_lo
; %bb.1757:                             ;   in Loop: Header=BB6_130 Depth=2
	s_or_b32 exec_lo, exec_lo, s40
.LBB6_1758:                             ;   in Loop: Header=BB6_130 Depth=2
	s_delay_alu instid0(SALU_CYCLE_1) | instskip(SKIP_2) | instid1(VALU_DEP_1)
	s_or_b32 exec_lo, exec_lo, s10
	v_dual_lshrrev_b32 v0, 16, v11 :: v_dual_mov_b32 v2, 0
	s_mov_b32 s40, exec_lo
	v_and_b32_e32 v3, 0xff, v0
	s_delay_alu instid0(VALU_DEP_1)
	v_cmpx_ne_u16_e32 0, v3
	s_cbranch_execz .LBB6_1768
; %bb.1759:                             ;   in Loop: Header=BB6_130 Depth=2
	v_bfrev_b32_e32 v2, 1
	s_mov_b32 s41, exec_lo
	v_cmpx_ne_u16_e32 0x80, v3
	s_cbranch_execz .LBB6_1767
; %bb.1760:                             ;   in Loop: Header=BB6_130 Depth=2
	v_and_b32_e32 v2, 0x7c0000, v11
	v_bfe_u32 v3, v11, 16, 2
	s_delay_alu instid0(VALU_DEP_2) | instskip(SKIP_1) | instid1(SALU_CYCLE_1)
	v_cmp_ne_u32_e32 vcc_lo, 0x7c0000, v2
                                        ; implicit-def: $vgpr2
	s_and_saveexec_b32 s10, vcc_lo
	s_xor_b32 s10, exec_lo, s10
	s_cbranch_execz .LBB6_1764
; %bb.1761:                             ;   in Loop: Header=BB6_130 Depth=2
	v_bfe_u32 v2, v11, 18, 5
	s_mov_b32 s42, exec_lo
	s_delay_alu instid0(VALU_DEP_1)
	v_cmpx_eq_u32_e32 0, v2
; %bb.1762:                             ;   in Loop: Header=BB6_130 Depth=2
	v_clz_i32_u32_e32 v2, v3
	s_delay_alu instid0(VALU_DEP_1) | instskip(NEXT) | instid1(VALU_DEP_1)
	v_min_u32_e32 v2, 32, v2
	v_subrev_nc_u32_e32 v3, 29, v2
	s_delay_alu instid0(VALU_DEP_1) | instskip(NEXT) | instid1(VALU_DEP_1)
	v_lshlrev_b64_e32 v[4:5], v3, v[0:1]
	v_dual_sub_nc_u32 v2, 30, v2 :: v_dual_bitop2_b32 v3, 3, v4 bitop3:0x40
; %bb.1763:                             ;   in Loop: Header=BB6_130 Depth=2
	s_or_b32 exec_lo, exec_lo, s42
	v_lshlrev_b32_e32 v0, 24, v0
	s_delay_alu instid0(VALU_DEP_1) | instskip(NEXT) | instid1(VALU_DEP_1)
	v_and_b32_e32 v0, 0x80000000, v0
	v_lshl_add_u32 v0, v2, 23, v0
	s_delay_alu instid0(VALU_DEP_1) | instskip(NEXT) | instid1(VALU_DEP_1)
	v_lshl_or_b32 v0, v3, 21, v0
                                        ; implicit-def: $vgpr3
	v_add_nc_u32_e32 v2, 0x38000000, v0
                                        ; implicit-def: $vgpr0
.LBB6_1764:                             ;   in Loop: Header=BB6_130 Depth=2
	s_and_not1_saveexec_b32 s42, s10
; %bb.1765:                             ;   in Loop: Header=BB6_130 Depth=2
	v_bfe_i32 v0, v0, 0, 8
	v_cmp_eq_u32_e32 vcc_lo, 0, v3
	s_delay_alu instid0(VALU_DEP_2) | instskip(SKIP_1) | instid1(VALU_DEP_1)
	v_cmp_lt_i16_e64 s10, -1, v0
	v_mov_b32_e32 v0, 0x7f800000
	v_cndmask_b32_e64 v0, 0xff800000, v0, s10
	s_delay_alu instid0(VALU_DEP_1)
	v_cndmask_b32_e32 v2, 0x7f800001, v0, vcc_lo
; %bb.1766:                             ;   in Loop: Header=BB6_130 Depth=2
	s_or_b32 exec_lo, exec_lo, s42
.LBB6_1767:                             ;   in Loop: Header=BB6_130 Depth=2
	s_delay_alu instid0(SALU_CYCLE_1)
	s_or_b32 exec_lo, exec_lo, s41
.LBB6_1768:                             ;   in Loop: Header=BB6_130 Depth=2
	s_delay_alu instid0(SALU_CYCLE_1) | instskip(NEXT) | instid1(VALU_DEP_1)
	s_or_b32 exec_lo, exec_lo, s40
	v_dual_mul_f32 v2, s29, v2 :: v_dual_mov_b32 v5, v1
                                        ; implicit-def: $vgpr38
	s_mov_b32 s10, exec_lo
	s_delay_alu instid0(VALU_DEP_1) | instskip(SKIP_2) | instid1(VALU_DEP_3)
	v_and_b32_e32 v4, 0x7f800000, v2
	v_and_b32_e32 v0, 0x7fffff, v2
	v_lshrrev_b32_e32 v3, 24, v2
	v_cmpx_ne_u64_e32 0x7f800000, v[4:5]
	s_xor_b32 s40, exec_lo, s10
	s_cbranch_execz .LBB6_1782
; %bb.1769:                             ;   in Loop: Header=BB6_130 Depth=2
	v_and_b32_e32 v4, 0x7fffffff, v2
	v_mov_b32_e32 v5, v1
	v_and_b32_e32 v8, 0x80, v3
                                        ; implicit-def: $vgpr38
	s_mov_b32 s10, exec_lo
	s_delay_alu instid0(VALU_DEP_2)
	v_cmpx_gt_u64_e32 0x47600001, v[4:5]
	s_xor_b32 s41, exec_lo, s10
	s_cbranch_execz .LBB6_1779
; %bb.1770:                             ;   in Loop: Header=BB6_130 Depth=2
	v_mov_b32_e32 v38, 0
	s_mov_b32 s42, exec_lo
	v_cmpx_ne_u32_e32 0, v2
	s_cbranch_execz .LBB6_1778
; %bb.1771:                             ;   in Loop: Header=BB6_130 Depth=2
	v_bfe_u32 v14, v2, 23, 8
	v_or_b32_e32 v3, 0x800000, v0
	s_delay_alu instid0(VALU_DEP_2) | instskip(SKIP_2) | instid1(VALU_DEP_2)
	v_cmp_gt_u32_e64 s10, 0x72, v14
	v_sub_nc_u32_e32 v2, 0x71, v14
	v_cmp_eq_u32_e32 vcc_lo, 0, v14
	v_cndmask_b32_e64 v2, 0, v2, s10
	s_delay_alu instid0(VALU_DEP_1) | instskip(SKIP_1) | instid1(VALU_DEP_2)
	v_cndmask_b32_e64 v15, v2, 0x70, vcc_lo
	v_dual_cndmask_b32 v2, v3, v0 :: v_dual_mov_b32 v3, v1
	v_add_nc_u32_e32 v0, 21, v15
	s_delay_alu instid0(VALU_DEP_1) | instskip(SKIP_1) | instid1(VALU_DEP_1)
	v_lshlrev_b64_e64 v[4:5], v0, -1
	v_add_nc_u32_e32 v0, 20, v15
	v_lshlrev_b64_e64 v[16:17], v0, 1
	s_delay_alu instid0(VALU_DEP_3) | instskip(SKIP_2) | instid1(VALU_DEP_1)
	v_bfi_b32 v4, v4, 0, v2
	v_lshrrev_b64 v[2:3], v15, v[2:3]
	v_bfi_b32 v5, v5, 0, 0
	v_cmp_eq_u64_e64 s10, v[4:5], v[16:17]
	s_delay_alu instid0(VALU_DEP_3)
	v_mov_b64_e32 v[4:5], v[2:3]
	s_and_saveexec_b32 s43, s10
; %bb.1772:                             ;   in Loop: Header=BB6_130 Depth=2
	v_bfe_u32 v4, v2, 21, 1
	v_mov_b32_e32 v5, v1
	s_delay_alu instid0(VALU_DEP_1) | instskip(NEXT) | instid1(VALU_DEP_1)
	v_add_nc_u64_e32 v[4:5], v[2:3], v[4:5]
	v_add_nc_u64_e32 v[4:5], -1, v[4:5]
; %bb.1773:                             ;   in Loop: Header=BB6_130 Depth=2
	s_or_b32 exec_lo, exec_lo, s43
	v_add_nc_u32_e32 v0, 0xffffff81, v14
	v_lshrrev_b32_e32 v3, 23, v2
	s_mov_b32 s10, exec_lo
	s_delay_alu instid0(VALU_DEP_2) | instskip(NEXT) | instid1(VALU_DEP_1)
	v_cndmask_b32_e64 v0, v0, 0xffffff82, vcc_lo
	v_add3_u32 v14, v15, v0, v3
	v_and_b32_e32 v0, 0x1fffff, v4
                                        ; implicit-def: $vgpr4
	s_delay_alu instid0(VALU_DEP_2) | instskip(NEXT) | instid1(VALU_DEP_2)
	v_add_nc_u32_e32 v5, 14, v14
	v_add_nc_u32_e32 v0, v0, v2
                                        ; implicit-def: $vgpr2_vgpr3
	s_delay_alu instid0(VALU_DEP_2)
	v_cmpx_ne_u32_e32 0, v5
	s_xor_b32 s10, exec_lo, s10
; %bb.1774:                             ;   in Loop: Header=BB6_130 Depth=2
	s_delay_alu instid0(VALU_DEP_2) | instskip(SKIP_1) | instid1(VALU_DEP_1)
	v_cmp_lt_u64_e32 vcc_lo, 0xffffff, v[0:1]
	v_add_nc_u32_e32 v2, 15, v14
	v_cndmask_b32_e32 v4, v5, v2, vcc_lo
	v_cndmask_b32_e64 v2, 0, 1, vcc_lo
	s_delay_alu instid0(VALU_DEP_1)
	v_lshrrev_b64 v[2:3], v2, v[0:1]
; %bb.1775:                             ;   in Loop: Header=BB6_130 Depth=2
	s_and_not1_saveexec_b32 s10, s10
; %bb.1776:                             ;   in Loop: Header=BB6_130 Depth=2
	v_mov_b64_e32 v[2:3], v[0:1]
	v_bfe_u32 v4, v0, 23, 1
; %bb.1777:                             ;   in Loop: Header=BB6_130 Depth=2
	s_or_b32 exec_lo, exec_lo, s10
	s_delay_alu instid0(VALU_DEP_2) | instskip(NEXT) | instid1(VALU_DEP_2)
	v_lshrrev_b64 v[2:3], 21, v[2:3]
	v_cmp_gt_i32_e32 vcc_lo, 32, v4
	v_min_i32_e32 v0, 31, v4
	v_cmp_eq_u32_e64 s10, 0, v4
	s_delay_alu instid0(VALU_DEP_2) | instskip(SKIP_1) | instid1(VALU_DEP_2)
	v_dual_cndmask_b32 v3, 0, v3 :: v_dual_lshlrev_b32 v0, 2, v0
	v_cndmask_b32_e32 v2, 3, v2, vcc_lo
	v_and_b32_e32 v0, 0xfc, v0
	s_delay_alu instid0(VALU_DEP_2) | instskip(NEXT) | instid1(VALU_DEP_2)
	v_cmp_eq_u64_e32 vcc_lo, 0, v[2:3]
	v_and_or_b32 v0, v2, 3, v0
	s_and_b32 s10, s10, vcc_lo
	s_delay_alu instid0(VALU_DEP_1) | instid1(SALU_CYCLE_1)
	v_cndmask_b32_e64 v0, v0, 0, s10
	s_delay_alu instid0(VALU_DEP_1)
	v_or_b32_e32 v38, v0, v8
.LBB6_1778:                             ;   in Loop: Header=BB6_130 Depth=2
	s_or_b32 exec_lo, exec_lo, s42
                                        ; implicit-def: $vgpr8
.LBB6_1779:                             ;   in Loop: Header=BB6_130 Depth=2
	s_and_not1_saveexec_b32 s10, s41
; %bb.1780:                             ;   in Loop: Header=BB6_130 Depth=2
	v_or_b32_e32 v38, 0x7b, v8
; %bb.1781:                             ;   in Loop: Header=BB6_130 Depth=2
	s_or_b32 exec_lo, exec_lo, s10
                                        ; implicit-def: $vgpr2
                                        ; implicit-def: $vgpr3
.LBB6_1782:                             ;   in Loop: Header=BB6_130 Depth=2
	s_and_not1_saveexec_b32 s10, s40
	s_cbranch_execz .LBB6_1788
; %bb.1783:                             ;   in Loop: Header=BB6_130 Depth=2
	s_mov_b32 s40, exec_lo
                                        ; implicit-def: $vgpr38
	v_cmpx_ne_u64_e32 0, v[0:1]
	s_xor_b32 s40, exec_lo, s40
; %bb.1784:                             ;   in Loop: Header=BB6_130 Depth=2
	v_or_b32_e32 v38, 0x7f, v3
                                        ; implicit-def: $vgpr2
; %bb.1785:                             ;   in Loop: Header=BB6_130 Depth=2
	s_and_not1_saveexec_b32 s40, s40
; %bb.1786:                             ;   in Loop: Header=BB6_130 Depth=2
	v_cmp_lt_i32_e32 vcc_lo, -1, v2
	v_mov_b32_e32 v0, 0x7c
	s_delay_alu instid0(VALU_DEP_1)
	v_cndmask_b32_e32 v38, 0xfc, v0, vcc_lo
; %bb.1787:                             ;   in Loop: Header=BB6_130 Depth=2
	s_or_b32 exec_lo, exec_lo, s40
.LBB6_1788:                             ;   in Loop: Header=BB6_130 Depth=2
	s_delay_alu instid0(SALU_CYCLE_1)
	s_or_b32 exec_lo, exec_lo, s10
	v_mov_b32_e32 v2, 0
	s_mov_b32 s10, exec_lo
	v_cmpx_lt_u64_e64 s[12:13], v[10:11]
	s_cbranch_execz .LBB6_1798
; %bb.1789:                             ;   in Loop: Header=BB6_130 Depth=2
	v_lshrrev_b32_e32 v0, 24, v11
	v_bfrev_b32_e32 v2, 1
	s_mov_b32 s40, exec_lo
	s_delay_alu instid0(VALU_DEP_2)
	v_cmpx_ne_u32_e32 0x80, v0
	s_cbranch_execz .LBB6_1797
; %bb.1790:                             ;   in Loop: Header=BB6_130 Depth=2
	v_and_b32_e32 v2, 0x7c000000, v11
	v_bfe_u32 v3, v11, 24, 2
	s_delay_alu instid0(VALU_DEP_2) | instskip(SKIP_1) | instid1(SALU_CYCLE_1)
	v_cmp_ne_u32_e32 vcc_lo, 0x7c000000, v2
                                        ; implicit-def: $vgpr2
	s_and_saveexec_b32 s41, vcc_lo
	s_xor_b32 s41, exec_lo, s41
	s_cbranch_execz .LBB6_1794
; %bb.1791:                             ;   in Loop: Header=BB6_130 Depth=2
	v_bfe_u32 v2, v11, 26, 5
	s_mov_b32 s42, exec_lo
	s_delay_alu instid0(VALU_DEP_1)
	v_cmpx_eq_u32_e32 0, v2
; %bb.1792:                             ;   in Loop: Header=BB6_130 Depth=2
	v_clz_i32_u32_e32 v2, v3
	s_delay_alu instid0(VALU_DEP_1) | instskip(NEXT) | instid1(VALU_DEP_1)
	v_min_u32_e32 v2, 32, v2
	v_subrev_nc_u32_e32 v3, 29, v2
	s_delay_alu instid0(VALU_DEP_1) | instskip(NEXT) | instid1(VALU_DEP_1)
	v_lshlrev_b64_e32 v[4:5], v3, v[0:1]
	v_dual_sub_nc_u32 v2, 30, v2 :: v_dual_bitop2_b32 v3, 3, v4 bitop3:0x40
; %bb.1793:                             ;   in Loop: Header=BB6_130 Depth=2
	s_or_b32 exec_lo, exec_lo, s42
	v_and_b32_e32 v0, 0x80000000, v11
	s_delay_alu instid0(VALU_DEP_1) | instskip(NEXT) | instid1(VALU_DEP_1)
	v_lshl_add_u32 v0, v2, 23, v0
	v_lshl_or_b32 v0, v3, 21, v0
                                        ; implicit-def: $vgpr3
	s_delay_alu instid0(VALU_DEP_1)
	v_add_nc_u32_e32 v2, 0x38000000, v0
.LBB6_1794:                             ;   in Loop: Header=BB6_130 Depth=2
	s_and_not1_saveexec_b32 s41, s41
; %bb.1795:                             ;   in Loop: Header=BB6_130 Depth=2
	v_cmp_lt_i64_e32 vcc_lo, -1, v[10:11]
	v_mov_b32_e32 v0, 0x7f800000
	s_delay_alu instid0(VALU_DEP_1) | instskip(SKIP_1) | instid1(VALU_DEP_2)
	v_cndmask_b32_e32 v0, 0xff800000, v0, vcc_lo
	v_cmp_eq_u32_e32 vcc_lo, 0, v3
	v_cndmask_b32_e32 v2, 0x7f800001, v0, vcc_lo
; %bb.1796:                             ;   in Loop: Header=BB6_130 Depth=2
	s_or_b32 exec_lo, exec_lo, s41
.LBB6_1797:                             ;   in Loop: Header=BB6_130 Depth=2
	s_delay_alu instid0(SALU_CYCLE_1)
	s_or_b32 exec_lo, exec_lo, s40
.LBB6_1798:                             ;   in Loop: Header=BB6_130 Depth=2
	s_delay_alu instid0(SALU_CYCLE_1) | instskip(NEXT) | instid1(VALU_DEP_1)
	s_or_b32 exec_lo, exec_lo, s10
	v_dual_mul_f32 v2, s29, v2 :: v_dual_mov_b32 v5, v1
                                        ; implicit-def: $vgpr50
	s_mov_b32 s10, exec_lo
	s_delay_alu instid0(VALU_DEP_1) | instskip(SKIP_2) | instid1(VALU_DEP_3)
	v_and_b32_e32 v4, 0x7f800000, v2
	v_and_b32_e32 v0, 0x7fffff, v2
	v_lshrrev_b32_e32 v3, 24, v2
	v_cmpx_ne_u64_e32 0x7f800000, v[4:5]
	s_xor_b32 s40, exec_lo, s10
	s_cbranch_execz .LBB6_1812
; %bb.1799:                             ;   in Loop: Header=BB6_130 Depth=2
	v_and_b32_e32 v4, 0x7fffffff, v2
	v_mov_b32_e32 v5, v1
	v_and_b32_e32 v8, 0x80, v3
                                        ; implicit-def: $vgpr50
	s_mov_b32 s10, exec_lo
	s_delay_alu instid0(VALU_DEP_2)
	v_cmpx_gt_u64_e32 0x47600001, v[4:5]
	s_xor_b32 s41, exec_lo, s10
	s_cbranch_execz .LBB6_1809
; %bb.1800:                             ;   in Loop: Header=BB6_130 Depth=2
	v_mov_b32_e32 v50, 0
	s_mov_b32 s42, exec_lo
	v_cmpx_ne_u32_e32 0, v2
	s_cbranch_execz .LBB6_1808
; %bb.1801:                             ;   in Loop: Header=BB6_130 Depth=2
	v_bfe_u32 v10, v2, 23, 8
	v_or_b32_e32 v3, 0x800000, v0
	s_delay_alu instid0(VALU_DEP_2) | instskip(SKIP_2) | instid1(VALU_DEP_2)
	v_cmp_gt_u32_e64 s10, 0x72, v10
	v_sub_nc_u32_e32 v2, 0x71, v10
	v_cmp_eq_u32_e32 vcc_lo, 0, v10
	v_cndmask_b32_e64 v2, 0, v2, s10
	s_delay_alu instid0(VALU_DEP_1) | instskip(SKIP_1) | instid1(VALU_DEP_2)
	v_cndmask_b32_e64 v11, v2, 0x70, vcc_lo
	v_dual_cndmask_b32 v2, v3, v0 :: v_dual_mov_b32 v3, v1
	v_add_nc_u32_e32 v0, 21, v11
	s_delay_alu instid0(VALU_DEP_1) | instskip(SKIP_1) | instid1(VALU_DEP_1)
	v_lshlrev_b64_e64 v[4:5], v0, -1
	v_add_nc_u32_e32 v0, 20, v11
	v_lshlrev_b64_e64 v[14:15], v0, 1
	s_delay_alu instid0(VALU_DEP_3) | instskip(SKIP_2) | instid1(VALU_DEP_1)
	v_bfi_b32 v4, v4, 0, v2
	v_lshrrev_b64 v[2:3], v11, v[2:3]
	v_bfi_b32 v5, v5, 0, 0
	v_cmp_eq_u64_e64 s10, v[4:5], v[14:15]
	s_delay_alu instid0(VALU_DEP_3)
	v_mov_b64_e32 v[4:5], v[2:3]
	s_and_saveexec_b32 s43, s10
; %bb.1802:                             ;   in Loop: Header=BB6_130 Depth=2
	v_bfe_u32 v4, v2, 21, 1
	v_mov_b32_e32 v5, v1
	s_delay_alu instid0(VALU_DEP_1) | instskip(NEXT) | instid1(VALU_DEP_1)
	v_add_nc_u64_e32 v[4:5], v[2:3], v[4:5]
	v_add_nc_u64_e32 v[4:5], -1, v[4:5]
; %bb.1803:                             ;   in Loop: Header=BB6_130 Depth=2
	s_or_b32 exec_lo, exec_lo, s43
	v_add_nc_u32_e32 v0, 0xffffff81, v10
	v_lshrrev_b32_e32 v3, 23, v2
	s_mov_b32 s10, exec_lo
	s_delay_alu instid0(VALU_DEP_2) | instskip(NEXT) | instid1(VALU_DEP_1)
	v_cndmask_b32_e64 v0, v0, 0xffffff82, vcc_lo
	v_add3_u32 v10, v11, v0, v3
	v_and_b32_e32 v0, 0x1fffff, v4
                                        ; implicit-def: $vgpr4
	s_delay_alu instid0(VALU_DEP_2) | instskip(NEXT) | instid1(VALU_DEP_2)
	v_add_nc_u32_e32 v5, 14, v10
	v_add_nc_u32_e32 v0, v0, v2
                                        ; implicit-def: $vgpr2_vgpr3
	s_delay_alu instid0(VALU_DEP_2)
	v_cmpx_ne_u32_e32 0, v5
	s_xor_b32 s10, exec_lo, s10
; %bb.1804:                             ;   in Loop: Header=BB6_130 Depth=2
	s_delay_alu instid0(VALU_DEP_2) | instskip(SKIP_1) | instid1(VALU_DEP_1)
	v_cmp_lt_u64_e32 vcc_lo, 0xffffff, v[0:1]
	v_add_nc_u32_e32 v2, 15, v10
	v_cndmask_b32_e32 v4, v5, v2, vcc_lo
	v_cndmask_b32_e64 v2, 0, 1, vcc_lo
	s_delay_alu instid0(VALU_DEP_1)
	v_lshrrev_b64 v[2:3], v2, v[0:1]
; %bb.1805:                             ;   in Loop: Header=BB6_130 Depth=2
	s_and_not1_saveexec_b32 s10, s10
; %bb.1806:                             ;   in Loop: Header=BB6_130 Depth=2
	v_mov_b64_e32 v[2:3], v[0:1]
	v_bfe_u32 v4, v0, 23, 1
; %bb.1807:                             ;   in Loop: Header=BB6_130 Depth=2
	s_or_b32 exec_lo, exec_lo, s10
	s_delay_alu instid0(VALU_DEP_2) | instskip(NEXT) | instid1(VALU_DEP_2)
	v_lshrrev_b64 v[2:3], 21, v[2:3]
	v_cmp_gt_i32_e32 vcc_lo, 32, v4
	v_min_i32_e32 v0, 31, v4
	v_cmp_eq_u32_e64 s10, 0, v4
	s_delay_alu instid0(VALU_DEP_2) | instskip(SKIP_1) | instid1(VALU_DEP_2)
	v_dual_cndmask_b32 v3, 0, v3 :: v_dual_lshlrev_b32 v0, 2, v0
	v_cndmask_b32_e32 v2, 3, v2, vcc_lo
	v_and_b32_e32 v0, 0xfc, v0
	s_delay_alu instid0(VALU_DEP_2) | instskip(NEXT) | instid1(VALU_DEP_2)
	v_cmp_eq_u64_e32 vcc_lo, 0, v[2:3]
	v_and_or_b32 v0, v2, 3, v0
	s_and_b32 s10, s10, vcc_lo
	s_delay_alu instid0(VALU_DEP_1) | instid1(SALU_CYCLE_1)
	v_cndmask_b32_e64 v0, v0, 0, s10
	s_delay_alu instid0(VALU_DEP_1)
	v_or_b32_e32 v50, v0, v8
.LBB6_1808:                             ;   in Loop: Header=BB6_130 Depth=2
	s_or_b32 exec_lo, exec_lo, s42
                                        ; implicit-def: $vgpr8
.LBB6_1809:                             ;   in Loop: Header=BB6_130 Depth=2
	s_and_not1_saveexec_b32 s10, s41
; %bb.1810:                             ;   in Loop: Header=BB6_130 Depth=2
	v_or_b32_e32 v50, 0x7b, v8
; %bb.1811:                             ;   in Loop: Header=BB6_130 Depth=2
	s_or_b32 exec_lo, exec_lo, s10
                                        ; implicit-def: $vgpr2
                                        ; implicit-def: $vgpr3
.LBB6_1812:                             ;   in Loop: Header=BB6_130 Depth=2
	s_and_not1_saveexec_b32 s10, s40
	s_cbranch_execz .LBB6_1818
; %bb.1813:                             ;   in Loop: Header=BB6_130 Depth=2
	s_mov_b32 s40, exec_lo
                                        ; implicit-def: $vgpr50
	v_cmpx_ne_u64_e32 0, v[0:1]
	s_xor_b32 s40, exec_lo, s40
; %bb.1814:                             ;   in Loop: Header=BB6_130 Depth=2
	v_or_b32_e32 v50, 0x7f, v3
                                        ; implicit-def: $vgpr2
; %bb.1815:                             ;   in Loop: Header=BB6_130 Depth=2
	s_and_not1_saveexec_b32 s40, s40
; %bb.1816:                             ;   in Loop: Header=BB6_130 Depth=2
	v_cmp_lt_i32_e32 vcc_lo, -1, v2
	v_mov_b32_e32 v0, 0x7c
	s_delay_alu instid0(VALU_DEP_1)
	v_cndmask_b32_e32 v50, 0xfc, v0, vcc_lo
; %bb.1817:                             ;   in Loop: Header=BB6_130 Depth=2
	s_or_b32 exec_lo, exec_lo, s40
.LBB6_1818:                             ;   in Loop: Header=BB6_130 Depth=2
	s_delay_alu instid0(SALU_CYCLE_1) | instskip(SKIP_1) | instid1(VALU_DEP_1)
	s_or_b32 exec_lo, exec_lo, s10
	v_and_b32_e32 v0, 0xff, v12
	v_cmp_ne_u16_e32 vcc_lo, 0, v0
	v_mov_b32_e32 v0, 0
	s_and_saveexec_b32 s10, vcc_lo
	s_cbranch_execz .LBB6_1828
; %bb.1819:                             ;   in Loop: Header=BB6_130 Depth=2
	v_bfe_i32 v3, v12, 0, 8
	v_bfrev_b32_e32 v0, 1
	s_mov_b32 s40, exec_lo
	s_delay_alu instid0(VALU_DEP_2)
	v_cmpx_ne_u16_e32 0xff80, v3
	s_cbranch_execz .LBB6_1827
; %bb.1820:                             ;   in Loop: Header=BB6_130 Depth=2
	v_and_b32_e32 v0, 0x7c, v12
	v_and_b32_e32 v2, 3, v12
	s_delay_alu instid0(VALU_DEP_2) | instskip(SKIP_1) | instid1(SALU_CYCLE_1)
	v_cmp_ne_u32_e32 vcc_lo, 0x7c, v0
                                        ; implicit-def: $vgpr0
	s_and_saveexec_b32 s41, vcc_lo
	s_xor_b32 s41, exec_lo, s41
	s_cbranch_execz .LBB6_1824
; %bb.1821:                             ;   in Loop: Header=BB6_130 Depth=2
	v_bfe_u32 v0, v12, 2, 5
	s_mov_b32 s42, exec_lo
	s_delay_alu instid0(VALU_DEP_1)
	v_cmpx_eq_u32_e32 0, v0
; %bb.1822:                             ;   in Loop: Header=BB6_130 Depth=2
	v_clz_i32_u32_e32 v0, v2
	s_delay_alu instid0(VALU_DEP_1) | instskip(NEXT) | instid1(VALU_DEP_1)
	v_min_u32_e32 v0, 32, v0
	v_subrev_nc_u32_e32 v2, 29, v0
	s_delay_alu instid0(VALU_DEP_1) | instskip(NEXT) | instid1(VALU_DEP_1)
	v_lshlrev_b64_e32 v[2:3], v2, v[12:13]
	v_dual_sub_nc_u32 v0, 30, v0 :: v_dual_bitop2_b32 v2, 3, v2 bitop3:0x40
; %bb.1823:                             ;   in Loop: Header=BB6_130 Depth=2
	s_or_b32 exec_lo, exec_lo, s42
	v_lshlrev_b32_e32 v3, 24, v12
	s_delay_alu instid0(VALU_DEP_1) | instskip(NEXT) | instid1(VALU_DEP_1)
	v_and_b32_e32 v3, 0x80000000, v3
	v_lshl_add_u32 v0, v0, 23, v3
                                        ; implicit-def: $vgpr3
	s_delay_alu instid0(VALU_DEP_1) | instskip(NEXT) | instid1(VALU_DEP_1)
	v_lshl_or_b32 v0, v2, 21, v0
                                        ; implicit-def: $vgpr2
	v_add_nc_u32_e32 v0, 0x38000000, v0
.LBB6_1824:                             ;   in Loop: Header=BB6_130 Depth=2
	s_and_not1_saveexec_b32 s41, s41
; %bb.1825:                             ;   in Loop: Header=BB6_130 Depth=2
	v_cmp_lt_i16_e32 vcc_lo, -1, v3
	v_mov_b32_e32 v0, 0x7f800000
	s_delay_alu instid0(VALU_DEP_1) | instskip(SKIP_1) | instid1(VALU_DEP_2)
	v_cndmask_b32_e32 v0, 0xff800000, v0, vcc_lo
	v_cmp_eq_u32_e32 vcc_lo, 0, v2
	v_cndmask_b32_e32 v0, 0x7f800001, v0, vcc_lo
; %bb.1826:                             ;   in Loop: Header=BB6_130 Depth=2
	s_or_b32 exec_lo, exec_lo, s41
.LBB6_1827:                             ;   in Loop: Header=BB6_130 Depth=2
	s_delay_alu instid0(SALU_CYCLE_1)
	s_or_b32 exec_lo, exec_lo, s40
.LBB6_1828:                             ;   in Loop: Header=BB6_130 Depth=2
	s_delay_alu instid0(SALU_CYCLE_1) | instskip(NEXT) | instid1(VALU_DEP_1)
	s_or_b32 exec_lo, exec_lo, s10
	v_dual_mul_f32 v2, s29, v0 :: v_dual_mov_b32 v5, v1
                                        ; implicit-def: $vgpr26
	s_mov_b32 s10, exec_lo
	s_delay_alu instid0(VALU_DEP_1) | instskip(SKIP_2) | instid1(VALU_DEP_3)
	v_and_b32_e32 v4, 0x7f800000, v2
	v_and_b32_e32 v0, 0x7fffff, v2
	v_lshrrev_b32_e32 v3, 24, v2
	v_cmpx_ne_u64_e32 0x7f800000, v[4:5]
	s_xor_b32 s40, exec_lo, s10
	s_cbranch_execz .LBB6_1842
; %bb.1829:                             ;   in Loop: Header=BB6_130 Depth=2
	v_and_b32_e32 v4, 0x7fffffff, v2
	v_mov_b32_e32 v5, v1
	v_and_b32_e32 v8, 0x80, v3
                                        ; implicit-def: $vgpr26
	s_mov_b32 s10, exec_lo
	s_delay_alu instid0(VALU_DEP_2)
	v_cmpx_gt_u64_e32 0x47600001, v[4:5]
	s_xor_b32 s41, exec_lo, s10
	s_cbranch_execz .LBB6_1839
; %bb.1830:                             ;   in Loop: Header=BB6_130 Depth=2
	v_mov_b32_e32 v26, 0
	s_mov_b32 s42, exec_lo
	v_cmpx_ne_u32_e32 0, v2
	s_cbranch_execz .LBB6_1838
; %bb.1831:                             ;   in Loop: Header=BB6_130 Depth=2
	v_bfe_u32 v10, v2, 23, 8
	v_or_b32_e32 v3, 0x800000, v0
	s_delay_alu instid0(VALU_DEP_2) | instskip(SKIP_2) | instid1(VALU_DEP_2)
	v_cmp_gt_u32_e64 s10, 0x72, v10
	v_sub_nc_u32_e32 v2, 0x71, v10
	v_cmp_eq_u32_e32 vcc_lo, 0, v10
	v_cndmask_b32_e64 v2, 0, v2, s10
	s_delay_alu instid0(VALU_DEP_1) | instskip(SKIP_1) | instid1(VALU_DEP_2)
	v_cndmask_b32_e64 v11, v2, 0x70, vcc_lo
	v_dual_cndmask_b32 v2, v3, v0 :: v_dual_mov_b32 v3, v1
	v_add_nc_u32_e32 v0, 21, v11
	s_delay_alu instid0(VALU_DEP_1) | instskip(SKIP_1) | instid1(VALU_DEP_1)
	v_lshlrev_b64_e64 v[4:5], v0, -1
	v_add_nc_u32_e32 v0, 20, v11
	v_lshlrev_b64_e64 v[14:15], v0, 1
	s_delay_alu instid0(VALU_DEP_3) | instskip(SKIP_2) | instid1(VALU_DEP_1)
	v_bfi_b32 v4, v4, 0, v2
	v_lshrrev_b64 v[2:3], v11, v[2:3]
	v_bfi_b32 v5, v5, 0, 0
	v_cmp_eq_u64_e64 s10, v[4:5], v[14:15]
	s_delay_alu instid0(VALU_DEP_3)
	v_mov_b64_e32 v[4:5], v[2:3]
	s_and_saveexec_b32 s43, s10
; %bb.1832:                             ;   in Loop: Header=BB6_130 Depth=2
	v_bfe_u32 v4, v2, 21, 1
	v_mov_b32_e32 v5, v1
	s_delay_alu instid0(VALU_DEP_1) | instskip(NEXT) | instid1(VALU_DEP_1)
	v_add_nc_u64_e32 v[4:5], v[2:3], v[4:5]
	v_add_nc_u64_e32 v[4:5], -1, v[4:5]
; %bb.1833:                             ;   in Loop: Header=BB6_130 Depth=2
	s_or_b32 exec_lo, exec_lo, s43
	v_add_nc_u32_e32 v0, 0xffffff81, v10
	v_lshrrev_b32_e32 v3, 23, v2
	s_mov_b32 s10, exec_lo
	s_delay_alu instid0(VALU_DEP_2) | instskip(NEXT) | instid1(VALU_DEP_1)
	v_cndmask_b32_e64 v0, v0, 0xffffff82, vcc_lo
	v_add3_u32 v10, v11, v0, v3
	v_and_b32_e32 v0, 0x1fffff, v4
                                        ; implicit-def: $vgpr4
	s_delay_alu instid0(VALU_DEP_2) | instskip(NEXT) | instid1(VALU_DEP_2)
	v_add_nc_u32_e32 v5, 14, v10
	v_add_nc_u32_e32 v0, v0, v2
                                        ; implicit-def: $vgpr2_vgpr3
	s_delay_alu instid0(VALU_DEP_2)
	v_cmpx_ne_u32_e32 0, v5
	s_xor_b32 s10, exec_lo, s10
; %bb.1834:                             ;   in Loop: Header=BB6_130 Depth=2
	s_delay_alu instid0(VALU_DEP_2) | instskip(SKIP_1) | instid1(VALU_DEP_1)
	v_cmp_lt_u64_e32 vcc_lo, 0xffffff, v[0:1]
	v_add_nc_u32_e32 v2, 15, v10
	v_cndmask_b32_e32 v4, v5, v2, vcc_lo
	v_cndmask_b32_e64 v2, 0, 1, vcc_lo
	s_delay_alu instid0(VALU_DEP_1)
	v_lshrrev_b64 v[2:3], v2, v[0:1]
; %bb.1835:                             ;   in Loop: Header=BB6_130 Depth=2
	s_and_not1_saveexec_b32 s10, s10
; %bb.1836:                             ;   in Loop: Header=BB6_130 Depth=2
	v_mov_b64_e32 v[2:3], v[0:1]
	v_bfe_u32 v4, v0, 23, 1
; %bb.1837:                             ;   in Loop: Header=BB6_130 Depth=2
	s_or_b32 exec_lo, exec_lo, s10
	s_delay_alu instid0(VALU_DEP_2) | instskip(NEXT) | instid1(VALU_DEP_2)
	v_lshrrev_b64 v[2:3], 21, v[2:3]
	v_cmp_gt_i32_e32 vcc_lo, 32, v4
	v_min_i32_e32 v0, 31, v4
	v_cmp_eq_u32_e64 s10, 0, v4
	s_delay_alu instid0(VALU_DEP_2) | instskip(SKIP_1) | instid1(VALU_DEP_2)
	v_dual_cndmask_b32 v3, 0, v3 :: v_dual_lshlrev_b32 v0, 2, v0
	v_cndmask_b32_e32 v2, 3, v2, vcc_lo
	v_and_b32_e32 v0, 0xfc, v0
	s_delay_alu instid0(VALU_DEP_2) | instskip(NEXT) | instid1(VALU_DEP_2)
	v_cmp_eq_u64_e32 vcc_lo, 0, v[2:3]
	v_and_or_b32 v0, v2, 3, v0
	s_and_b32 s10, s10, vcc_lo
	s_delay_alu instid0(VALU_DEP_1) | instid1(SALU_CYCLE_1)
	v_cndmask_b32_e64 v0, v0, 0, s10
	s_delay_alu instid0(VALU_DEP_1)
	v_or_b32_e32 v26, v0, v8
.LBB6_1838:                             ;   in Loop: Header=BB6_130 Depth=2
	s_or_b32 exec_lo, exec_lo, s42
                                        ; implicit-def: $vgpr8
.LBB6_1839:                             ;   in Loop: Header=BB6_130 Depth=2
	s_and_not1_saveexec_b32 s10, s41
; %bb.1840:                             ;   in Loop: Header=BB6_130 Depth=2
	v_or_b32_e32 v26, 0x7b, v8
; %bb.1841:                             ;   in Loop: Header=BB6_130 Depth=2
	s_or_b32 exec_lo, exec_lo, s10
                                        ; implicit-def: $vgpr2
                                        ; implicit-def: $vgpr3
.LBB6_1842:                             ;   in Loop: Header=BB6_130 Depth=2
	s_and_not1_saveexec_b32 s10, s40
	s_cbranch_execz .LBB6_1848
; %bb.1843:                             ;   in Loop: Header=BB6_130 Depth=2
	s_mov_b32 s40, exec_lo
                                        ; implicit-def: $vgpr26
	v_cmpx_ne_u64_e32 0, v[0:1]
	s_xor_b32 s40, exec_lo, s40
; %bb.1844:                             ;   in Loop: Header=BB6_130 Depth=2
	v_or_b32_e32 v26, 0x7f, v3
                                        ; implicit-def: $vgpr2
; %bb.1845:                             ;   in Loop: Header=BB6_130 Depth=2
	s_and_not1_saveexec_b32 s40, s40
; %bb.1846:                             ;   in Loop: Header=BB6_130 Depth=2
	v_cmp_lt_i32_e32 vcc_lo, -1, v2
	v_mov_b32_e32 v0, 0x7c
	s_delay_alu instid0(VALU_DEP_1)
	v_cndmask_b32_e32 v26, 0xfc, v0, vcc_lo
; %bb.1847:                             ;   in Loop: Header=BB6_130 Depth=2
	s_or_b32 exec_lo, exec_lo, s40
.LBB6_1848:                             ;   in Loop: Header=BB6_130 Depth=2
	s_delay_alu instid0(SALU_CYCLE_1) | instskip(SKIP_3) | instid1(VALU_DEP_2)
	s_or_b32 exec_lo, exec_lo, s10
	v_lshrrev_b16 v2, 8, v12
	v_mov_b32_e32 v0, 0
	s_mov_b32 s40, exec_lo
	v_cmpx_ne_u16_e32 0, v2
	s_cbranch_execz .LBB6_1858
; %bb.1849:                             ;   in Loop: Header=BB6_130 Depth=2
	v_bfrev_b32_e32 v0, 1
	s_mov_b32 s41, exec_lo
	v_cmpx_ne_u16_e32 0x80, v2
	s_cbranch_execz .LBB6_1857
; %bb.1850:                             ;   in Loop: Header=BB6_130 Depth=2
	v_and_b32_e32 v4, 0xffff, v2
	s_delay_alu instid0(VALU_DEP_1) | instskip(SKIP_1) | instid1(VALU_DEP_2)
	v_and_b32_e32 v0, 0x7c, v4
	v_and_b32_e32 v3, 3, v4
	v_cmp_ne_u32_e32 vcc_lo, 0x7c, v0
                                        ; implicit-def: $vgpr0
	s_and_saveexec_b32 s10, vcc_lo
	s_delay_alu instid0(SALU_CYCLE_1)
	s_xor_b32 s10, exec_lo, s10
	s_cbranch_execz .LBB6_1854
; %bb.1851:                             ;   in Loop: Header=BB6_130 Depth=2
	v_bfe_u32 v0, v4, 2, 5
	s_mov_b32 s42, exec_lo
	s_delay_alu instid0(VALU_DEP_1)
	v_cmpx_eq_u32_e32 0, v0
	s_cbranch_execz .LBB6_1853
; %bb.1852:                             ;   in Loop: Header=BB6_130 Depth=2
	v_clz_i32_u32_e32 v0, v3
	s_delay_alu instid0(VALU_DEP_1) | instskip(SKIP_1) | instid1(VALU_DEP_2)
	v_min_u32_e32 v0, 32, v0
	v_mov_b32_e32 v3, v1
	v_subrev_nc_u32_e32 v4, 29, v0
	v_sub_nc_u32_e32 v0, 30, v0
	s_delay_alu instid0(VALU_DEP_2) | instskip(NEXT) | instid1(VALU_DEP_1)
	v_lshlrev_b64_e32 v[2:3], v4, v[2:3]
	v_and_b32_e32 v3, 3, v2
.LBB6_1853:                             ;   in Loop: Header=BB6_130 Depth=2
	s_or_b32 exec_lo, exec_lo, s42
	v_lshlrev_b32_e32 v2, 16, v12
	s_delay_alu instid0(VALU_DEP_1) | instskip(NEXT) | instid1(VALU_DEP_1)
	v_and_b32_e32 v2, 0x80000000, v2
	v_lshl_add_u32 v0, v0, 23, v2
	s_delay_alu instid0(VALU_DEP_1) | instskip(NEXT) | instid1(VALU_DEP_1)
	v_lshl_or_b32 v0, v3, 21, v0
                                        ; implicit-def: $vgpr3
	v_add_nc_u32_e32 v0, 0x38000000, v0
.LBB6_1854:                             ;   in Loop: Header=BB6_130 Depth=2
	s_and_not1_saveexec_b32 s42, s10
; %bb.1855:                             ;   in Loop: Header=BB6_130 Depth=2
	v_cmp_lt_i16_e64 s10, -1, v12
	v_mov_b32_e32 v0, 0x7f800000
	v_cmp_eq_u32_e32 vcc_lo, 0, v3
	s_delay_alu instid0(VALU_DEP_2) | instskip(NEXT) | instid1(VALU_DEP_1)
	v_cndmask_b32_e64 v0, 0xff800000, v0, s10
	v_cndmask_b32_e32 v0, 0x7f800001, v0, vcc_lo
; %bb.1856:                             ;   in Loop: Header=BB6_130 Depth=2
	s_or_b32 exec_lo, exec_lo, s42
.LBB6_1857:                             ;   in Loop: Header=BB6_130 Depth=2
	s_delay_alu instid0(SALU_CYCLE_1)
	s_or_b32 exec_lo, exec_lo, s41
.LBB6_1858:                             ;   in Loop: Header=BB6_130 Depth=2
	s_delay_alu instid0(SALU_CYCLE_1) | instskip(NEXT) | instid1(VALU_DEP_1)
	s_or_b32 exec_lo, exec_lo, s40
	v_dual_mul_f32 v2, s29, v0 :: v_dual_mov_b32 v5, v1
                                        ; implicit-def: $vgpr31
	s_mov_b32 s10, exec_lo
	s_delay_alu instid0(VALU_DEP_1) | instskip(SKIP_2) | instid1(VALU_DEP_3)
	v_and_b32_e32 v4, 0x7f800000, v2
	v_and_b32_e32 v0, 0x7fffff, v2
	v_lshrrev_b32_e32 v3, 24, v2
	v_cmpx_ne_u64_e32 0x7f800000, v[4:5]
	s_xor_b32 s40, exec_lo, s10
	s_cbranch_execz .LBB6_1872
; %bb.1859:                             ;   in Loop: Header=BB6_130 Depth=2
	v_and_b32_e32 v4, 0x7fffffff, v2
	v_mov_b32_e32 v5, v1
	v_and_b32_e32 v8, 0x80, v3
                                        ; implicit-def: $vgpr31
	s_mov_b32 s10, exec_lo
	s_delay_alu instid0(VALU_DEP_2)
	v_cmpx_gt_u64_e32 0x47600001, v[4:5]
	s_xor_b32 s41, exec_lo, s10
	s_cbranch_execz .LBB6_1869
; %bb.1860:                             ;   in Loop: Header=BB6_130 Depth=2
	v_mov_b32_e32 v31, 0
	s_mov_b32 s42, exec_lo
	v_cmpx_ne_u32_e32 0, v2
	s_cbranch_execz .LBB6_1868
; %bb.1861:                             ;   in Loop: Header=BB6_130 Depth=2
	v_bfe_u32 v10, v2, 23, 8
	v_or_b32_e32 v3, 0x800000, v0
	s_delay_alu instid0(VALU_DEP_2) | instskip(SKIP_2) | instid1(VALU_DEP_2)
	v_cmp_gt_u32_e64 s10, 0x72, v10
	v_sub_nc_u32_e32 v2, 0x71, v10
	v_cmp_eq_u32_e32 vcc_lo, 0, v10
	v_cndmask_b32_e64 v2, 0, v2, s10
	s_delay_alu instid0(VALU_DEP_1) | instskip(SKIP_1) | instid1(VALU_DEP_2)
	v_cndmask_b32_e64 v11, v2, 0x70, vcc_lo
	v_dual_cndmask_b32 v2, v3, v0 :: v_dual_mov_b32 v3, v1
	v_add_nc_u32_e32 v0, 21, v11
	s_delay_alu instid0(VALU_DEP_1) | instskip(SKIP_1) | instid1(VALU_DEP_1)
	v_lshlrev_b64_e64 v[4:5], v0, -1
	v_add_nc_u32_e32 v0, 20, v11
	v_lshlrev_b64_e64 v[14:15], v0, 1
	s_delay_alu instid0(VALU_DEP_3) | instskip(SKIP_2) | instid1(VALU_DEP_1)
	v_bfi_b32 v4, v4, 0, v2
	v_lshrrev_b64 v[2:3], v11, v[2:3]
	v_bfi_b32 v5, v5, 0, 0
	v_cmp_eq_u64_e64 s10, v[4:5], v[14:15]
	s_delay_alu instid0(VALU_DEP_3)
	v_mov_b64_e32 v[4:5], v[2:3]
	s_and_saveexec_b32 s43, s10
; %bb.1862:                             ;   in Loop: Header=BB6_130 Depth=2
	v_bfe_u32 v4, v2, 21, 1
	v_mov_b32_e32 v5, v1
	s_delay_alu instid0(VALU_DEP_1) | instskip(NEXT) | instid1(VALU_DEP_1)
	v_add_nc_u64_e32 v[4:5], v[2:3], v[4:5]
	v_add_nc_u64_e32 v[4:5], -1, v[4:5]
; %bb.1863:                             ;   in Loop: Header=BB6_130 Depth=2
	s_or_b32 exec_lo, exec_lo, s43
	v_add_nc_u32_e32 v0, 0xffffff81, v10
	v_lshrrev_b32_e32 v3, 23, v2
	s_mov_b32 s10, exec_lo
	s_delay_alu instid0(VALU_DEP_2) | instskip(NEXT) | instid1(VALU_DEP_1)
	v_cndmask_b32_e64 v0, v0, 0xffffff82, vcc_lo
	v_add3_u32 v10, v11, v0, v3
	v_and_b32_e32 v0, 0x1fffff, v4
                                        ; implicit-def: $vgpr4
	s_delay_alu instid0(VALU_DEP_2) | instskip(NEXT) | instid1(VALU_DEP_2)
	v_add_nc_u32_e32 v5, 14, v10
	v_add_nc_u32_e32 v0, v0, v2
                                        ; implicit-def: $vgpr2_vgpr3
	s_delay_alu instid0(VALU_DEP_2)
	v_cmpx_ne_u32_e32 0, v5
	s_xor_b32 s10, exec_lo, s10
; %bb.1864:                             ;   in Loop: Header=BB6_130 Depth=2
	s_delay_alu instid0(VALU_DEP_2) | instskip(SKIP_1) | instid1(VALU_DEP_1)
	v_cmp_lt_u64_e32 vcc_lo, 0xffffff, v[0:1]
	v_add_nc_u32_e32 v2, 15, v10
	v_cndmask_b32_e32 v4, v5, v2, vcc_lo
	v_cndmask_b32_e64 v2, 0, 1, vcc_lo
	s_delay_alu instid0(VALU_DEP_1)
	v_lshrrev_b64 v[2:3], v2, v[0:1]
; %bb.1865:                             ;   in Loop: Header=BB6_130 Depth=2
	s_and_not1_saveexec_b32 s10, s10
; %bb.1866:                             ;   in Loop: Header=BB6_130 Depth=2
	v_mov_b64_e32 v[2:3], v[0:1]
	v_bfe_u32 v4, v0, 23, 1
; %bb.1867:                             ;   in Loop: Header=BB6_130 Depth=2
	s_or_b32 exec_lo, exec_lo, s10
	s_delay_alu instid0(VALU_DEP_2) | instskip(NEXT) | instid1(VALU_DEP_2)
	v_lshrrev_b64 v[2:3], 21, v[2:3]
	v_cmp_gt_i32_e32 vcc_lo, 32, v4
	v_min_i32_e32 v0, 31, v4
	v_cmp_eq_u32_e64 s10, 0, v4
	s_delay_alu instid0(VALU_DEP_2) | instskip(SKIP_1) | instid1(VALU_DEP_2)
	v_dual_cndmask_b32 v3, 0, v3 :: v_dual_lshlrev_b32 v0, 2, v0
	v_cndmask_b32_e32 v2, 3, v2, vcc_lo
	v_and_b32_e32 v0, 0xfc, v0
	s_delay_alu instid0(VALU_DEP_2) | instskip(NEXT) | instid1(VALU_DEP_2)
	v_cmp_eq_u64_e32 vcc_lo, 0, v[2:3]
	v_and_or_b32 v0, v2, 3, v0
	s_and_b32 s10, s10, vcc_lo
	s_delay_alu instid0(VALU_DEP_1) | instid1(SALU_CYCLE_1)
	v_cndmask_b32_e64 v0, v0, 0, s10
	s_delay_alu instid0(VALU_DEP_1)
	v_or_b32_e32 v31, v0, v8
.LBB6_1868:                             ;   in Loop: Header=BB6_130 Depth=2
	s_or_b32 exec_lo, exec_lo, s42
                                        ; implicit-def: $vgpr8
.LBB6_1869:                             ;   in Loop: Header=BB6_130 Depth=2
	s_and_not1_saveexec_b32 s10, s41
; %bb.1870:                             ;   in Loop: Header=BB6_130 Depth=2
	v_or_b32_e32 v31, 0x7b, v8
; %bb.1871:                             ;   in Loop: Header=BB6_130 Depth=2
	s_or_b32 exec_lo, exec_lo, s10
                                        ; implicit-def: $vgpr2
                                        ; implicit-def: $vgpr3
.LBB6_1872:                             ;   in Loop: Header=BB6_130 Depth=2
	s_and_not1_saveexec_b32 s10, s40
	s_cbranch_execz .LBB6_1878
; %bb.1873:                             ;   in Loop: Header=BB6_130 Depth=2
	s_mov_b32 s40, exec_lo
                                        ; implicit-def: $vgpr31
	v_cmpx_ne_u64_e32 0, v[0:1]
	s_xor_b32 s40, exec_lo, s40
; %bb.1874:                             ;   in Loop: Header=BB6_130 Depth=2
	v_or_b32_e32 v31, 0x7f, v3
                                        ; implicit-def: $vgpr2
; %bb.1875:                             ;   in Loop: Header=BB6_130 Depth=2
	s_and_not1_saveexec_b32 s40, s40
; %bb.1876:                             ;   in Loop: Header=BB6_130 Depth=2
	v_cmp_lt_i32_e32 vcc_lo, -1, v2
	v_mov_b32_e32 v0, 0x7c
	s_delay_alu instid0(VALU_DEP_1)
	v_cndmask_b32_e32 v31, 0xfc, v0, vcc_lo
; %bb.1877:                             ;   in Loop: Header=BB6_130 Depth=2
	s_or_b32 exec_lo, exec_lo, s40
.LBB6_1878:                             ;   in Loop: Header=BB6_130 Depth=2
	s_delay_alu instid0(SALU_CYCLE_1) | instskip(SKIP_2) | instid1(VALU_DEP_1)
	s_or_b32 exec_lo, exec_lo, s10
	v_dual_lshrrev_b32 v0, 16, v12 :: v_dual_mov_b32 v2, 0
	s_mov_b32 s40, exec_lo
	v_and_b32_e32 v3, 0xff, v0
	s_delay_alu instid0(VALU_DEP_1)
	v_cmpx_ne_u16_e32 0, v3
	s_cbranch_execz .LBB6_1888
; %bb.1879:                             ;   in Loop: Header=BB6_130 Depth=2
	v_bfrev_b32_e32 v2, 1
	s_mov_b32 s41, exec_lo
	v_cmpx_ne_u16_e32 0x80, v3
	s_cbranch_execz .LBB6_1887
; %bb.1880:                             ;   in Loop: Header=BB6_130 Depth=2
	v_and_b32_e32 v2, 0x7c0000, v12
	v_bfe_u32 v3, v12, 16, 2
	s_delay_alu instid0(VALU_DEP_2) | instskip(SKIP_1) | instid1(SALU_CYCLE_1)
	v_cmp_ne_u32_e32 vcc_lo, 0x7c0000, v2
                                        ; implicit-def: $vgpr2
	s_and_saveexec_b32 s10, vcc_lo
	s_xor_b32 s10, exec_lo, s10
	s_cbranch_execz .LBB6_1884
; %bb.1881:                             ;   in Loop: Header=BB6_130 Depth=2
	v_bfe_u32 v2, v12, 18, 5
	s_mov_b32 s42, exec_lo
	s_delay_alu instid0(VALU_DEP_1)
	v_cmpx_eq_u32_e32 0, v2
; %bb.1882:                             ;   in Loop: Header=BB6_130 Depth=2
	v_clz_i32_u32_e32 v2, v3
	s_delay_alu instid0(VALU_DEP_1) | instskip(NEXT) | instid1(VALU_DEP_1)
	v_min_u32_e32 v2, 32, v2
	v_subrev_nc_u32_e32 v3, 29, v2
	s_delay_alu instid0(VALU_DEP_1) | instskip(NEXT) | instid1(VALU_DEP_1)
	v_lshlrev_b64_e32 v[4:5], v3, v[0:1]
	v_dual_sub_nc_u32 v2, 30, v2 :: v_dual_bitop2_b32 v3, 3, v4 bitop3:0x40
; %bb.1883:                             ;   in Loop: Header=BB6_130 Depth=2
	s_or_b32 exec_lo, exec_lo, s42
	v_lshlrev_b32_e32 v0, 24, v0
	s_delay_alu instid0(VALU_DEP_1) | instskip(NEXT) | instid1(VALU_DEP_1)
	v_and_b32_e32 v0, 0x80000000, v0
	v_lshl_add_u32 v0, v2, 23, v0
	s_delay_alu instid0(VALU_DEP_1) | instskip(NEXT) | instid1(VALU_DEP_1)
	v_lshl_or_b32 v0, v3, 21, v0
                                        ; implicit-def: $vgpr3
	v_add_nc_u32_e32 v2, 0x38000000, v0
                                        ; implicit-def: $vgpr0
.LBB6_1884:                             ;   in Loop: Header=BB6_130 Depth=2
	s_and_not1_saveexec_b32 s42, s10
; %bb.1885:                             ;   in Loop: Header=BB6_130 Depth=2
	v_bfe_i32 v0, v0, 0, 8
	v_cmp_eq_u32_e32 vcc_lo, 0, v3
	s_delay_alu instid0(VALU_DEP_2) | instskip(SKIP_1) | instid1(VALU_DEP_1)
	v_cmp_lt_i16_e64 s10, -1, v0
	v_mov_b32_e32 v0, 0x7f800000
	v_cndmask_b32_e64 v0, 0xff800000, v0, s10
	s_delay_alu instid0(VALU_DEP_1)
	v_cndmask_b32_e32 v2, 0x7f800001, v0, vcc_lo
; %bb.1886:                             ;   in Loop: Header=BB6_130 Depth=2
	s_or_b32 exec_lo, exec_lo, s42
.LBB6_1887:                             ;   in Loop: Header=BB6_130 Depth=2
	s_delay_alu instid0(SALU_CYCLE_1)
	s_or_b32 exec_lo, exec_lo, s41
.LBB6_1888:                             ;   in Loop: Header=BB6_130 Depth=2
	s_delay_alu instid0(SALU_CYCLE_1) | instskip(NEXT) | instid1(VALU_DEP_1)
	s_or_b32 exec_lo, exec_lo, s40
	v_dual_mul_f32 v2, s29, v2 :: v_dual_mov_b32 v5, v1
                                        ; implicit-def: $vgpr35
	s_mov_b32 s10, exec_lo
	s_delay_alu instid0(VALU_DEP_1) | instskip(SKIP_2) | instid1(VALU_DEP_3)
	v_and_b32_e32 v4, 0x7f800000, v2
	v_and_b32_e32 v0, 0x7fffff, v2
	v_lshrrev_b32_e32 v3, 24, v2
	v_cmpx_ne_u64_e32 0x7f800000, v[4:5]
	s_xor_b32 s40, exec_lo, s10
	s_cbranch_execz .LBB6_1902
; %bb.1889:                             ;   in Loop: Header=BB6_130 Depth=2
	v_and_b32_e32 v4, 0x7fffffff, v2
	v_mov_b32_e32 v5, v1
	v_and_b32_e32 v8, 0x80, v3
                                        ; implicit-def: $vgpr35
	s_mov_b32 s10, exec_lo
	s_delay_alu instid0(VALU_DEP_2)
	v_cmpx_gt_u64_e32 0x47600001, v[4:5]
	s_xor_b32 s41, exec_lo, s10
	s_cbranch_execz .LBB6_1899
; %bb.1890:                             ;   in Loop: Header=BB6_130 Depth=2
	v_mov_b32_e32 v35, 0
	s_mov_b32 s42, exec_lo
	v_cmpx_ne_u32_e32 0, v2
	s_cbranch_execz .LBB6_1898
; %bb.1891:                             ;   in Loop: Header=BB6_130 Depth=2
	v_bfe_u32 v10, v2, 23, 8
	v_or_b32_e32 v3, 0x800000, v0
	s_delay_alu instid0(VALU_DEP_2) | instskip(SKIP_2) | instid1(VALU_DEP_2)
	v_cmp_gt_u32_e64 s10, 0x72, v10
	v_sub_nc_u32_e32 v2, 0x71, v10
	v_cmp_eq_u32_e32 vcc_lo, 0, v10
	v_cndmask_b32_e64 v2, 0, v2, s10
	s_delay_alu instid0(VALU_DEP_1) | instskip(SKIP_1) | instid1(VALU_DEP_2)
	v_cndmask_b32_e64 v11, v2, 0x70, vcc_lo
	v_dual_cndmask_b32 v2, v3, v0 :: v_dual_mov_b32 v3, v1
	v_add_nc_u32_e32 v0, 21, v11
	s_delay_alu instid0(VALU_DEP_1) | instskip(SKIP_1) | instid1(VALU_DEP_1)
	v_lshlrev_b64_e64 v[4:5], v0, -1
	v_add_nc_u32_e32 v0, 20, v11
	v_lshlrev_b64_e64 v[14:15], v0, 1
	s_delay_alu instid0(VALU_DEP_3) | instskip(SKIP_2) | instid1(VALU_DEP_1)
	v_bfi_b32 v4, v4, 0, v2
	v_lshrrev_b64 v[2:3], v11, v[2:3]
	v_bfi_b32 v5, v5, 0, 0
	v_cmp_eq_u64_e64 s10, v[4:5], v[14:15]
	s_delay_alu instid0(VALU_DEP_3)
	v_mov_b64_e32 v[4:5], v[2:3]
	s_and_saveexec_b32 s43, s10
; %bb.1892:                             ;   in Loop: Header=BB6_130 Depth=2
	v_bfe_u32 v4, v2, 21, 1
	v_mov_b32_e32 v5, v1
	s_delay_alu instid0(VALU_DEP_1) | instskip(NEXT) | instid1(VALU_DEP_1)
	v_add_nc_u64_e32 v[4:5], v[2:3], v[4:5]
	v_add_nc_u64_e32 v[4:5], -1, v[4:5]
; %bb.1893:                             ;   in Loop: Header=BB6_130 Depth=2
	s_or_b32 exec_lo, exec_lo, s43
	v_add_nc_u32_e32 v0, 0xffffff81, v10
	v_lshrrev_b32_e32 v3, 23, v2
	s_mov_b32 s10, exec_lo
	s_delay_alu instid0(VALU_DEP_2) | instskip(NEXT) | instid1(VALU_DEP_1)
	v_cndmask_b32_e64 v0, v0, 0xffffff82, vcc_lo
	v_add3_u32 v10, v11, v0, v3
	v_and_b32_e32 v0, 0x1fffff, v4
                                        ; implicit-def: $vgpr4
	s_delay_alu instid0(VALU_DEP_2) | instskip(NEXT) | instid1(VALU_DEP_2)
	v_add_nc_u32_e32 v5, 14, v10
	v_add_nc_u32_e32 v0, v0, v2
                                        ; implicit-def: $vgpr2_vgpr3
	s_delay_alu instid0(VALU_DEP_2)
	v_cmpx_ne_u32_e32 0, v5
	s_xor_b32 s10, exec_lo, s10
; %bb.1894:                             ;   in Loop: Header=BB6_130 Depth=2
	s_delay_alu instid0(VALU_DEP_2) | instskip(SKIP_1) | instid1(VALU_DEP_1)
	v_cmp_lt_u64_e32 vcc_lo, 0xffffff, v[0:1]
	v_add_nc_u32_e32 v2, 15, v10
	v_cndmask_b32_e32 v4, v5, v2, vcc_lo
	v_cndmask_b32_e64 v2, 0, 1, vcc_lo
	s_delay_alu instid0(VALU_DEP_1)
	v_lshrrev_b64 v[2:3], v2, v[0:1]
; %bb.1895:                             ;   in Loop: Header=BB6_130 Depth=2
	s_and_not1_saveexec_b32 s10, s10
; %bb.1896:                             ;   in Loop: Header=BB6_130 Depth=2
	v_mov_b64_e32 v[2:3], v[0:1]
	v_bfe_u32 v4, v0, 23, 1
; %bb.1897:                             ;   in Loop: Header=BB6_130 Depth=2
	s_or_b32 exec_lo, exec_lo, s10
	s_delay_alu instid0(VALU_DEP_2) | instskip(NEXT) | instid1(VALU_DEP_2)
	v_lshrrev_b64 v[2:3], 21, v[2:3]
	v_cmp_gt_i32_e32 vcc_lo, 32, v4
	v_min_i32_e32 v0, 31, v4
	v_cmp_eq_u32_e64 s10, 0, v4
	s_delay_alu instid0(VALU_DEP_2) | instskip(SKIP_1) | instid1(VALU_DEP_2)
	v_dual_cndmask_b32 v3, 0, v3 :: v_dual_lshlrev_b32 v0, 2, v0
	v_cndmask_b32_e32 v2, 3, v2, vcc_lo
	v_and_b32_e32 v0, 0xfc, v0
	s_delay_alu instid0(VALU_DEP_2) | instskip(NEXT) | instid1(VALU_DEP_2)
	v_cmp_eq_u64_e32 vcc_lo, 0, v[2:3]
	v_and_or_b32 v0, v2, 3, v0
	s_and_b32 s10, s10, vcc_lo
	s_delay_alu instid0(VALU_DEP_1) | instid1(SALU_CYCLE_1)
	v_cndmask_b32_e64 v0, v0, 0, s10
	s_delay_alu instid0(VALU_DEP_1)
	v_or_b32_e32 v35, v0, v8
.LBB6_1898:                             ;   in Loop: Header=BB6_130 Depth=2
	s_or_b32 exec_lo, exec_lo, s42
                                        ; implicit-def: $vgpr8
.LBB6_1899:                             ;   in Loop: Header=BB6_130 Depth=2
	s_and_not1_saveexec_b32 s10, s41
; %bb.1900:                             ;   in Loop: Header=BB6_130 Depth=2
	v_or_b32_e32 v35, 0x7b, v8
; %bb.1901:                             ;   in Loop: Header=BB6_130 Depth=2
	s_or_b32 exec_lo, exec_lo, s10
                                        ; implicit-def: $vgpr2
                                        ; implicit-def: $vgpr3
.LBB6_1902:                             ;   in Loop: Header=BB6_130 Depth=2
	s_and_not1_saveexec_b32 s10, s40
	s_cbranch_execz .LBB6_1908
; %bb.1903:                             ;   in Loop: Header=BB6_130 Depth=2
	s_mov_b32 s40, exec_lo
                                        ; implicit-def: $vgpr35
	v_cmpx_ne_u64_e32 0, v[0:1]
	s_xor_b32 s40, exec_lo, s40
; %bb.1904:                             ;   in Loop: Header=BB6_130 Depth=2
	v_or_b32_e32 v35, 0x7f, v3
                                        ; implicit-def: $vgpr2
; %bb.1905:                             ;   in Loop: Header=BB6_130 Depth=2
	s_and_not1_saveexec_b32 s40, s40
; %bb.1906:                             ;   in Loop: Header=BB6_130 Depth=2
	v_cmp_lt_i32_e32 vcc_lo, -1, v2
	v_mov_b32_e32 v0, 0x7c
	s_delay_alu instid0(VALU_DEP_1)
	v_cndmask_b32_e32 v35, 0xfc, v0, vcc_lo
; %bb.1907:                             ;   in Loop: Header=BB6_130 Depth=2
	s_or_b32 exec_lo, exec_lo, s40
.LBB6_1908:                             ;   in Loop: Header=BB6_130 Depth=2
	s_delay_alu instid0(SALU_CYCLE_1)
	s_or_b32 exec_lo, exec_lo, s10
	v_mov_b32_e32 v2, 0
	s_mov_b32 s40, exec_lo
	v_cmpx_lt_u32_e32 0xffffff, v12
	s_cbranch_execz .LBB6_1918
; %bb.1909:                             ;   in Loop: Header=BB6_130 Depth=2
	v_lshrrev_b32_e32 v0, 24, v12
	v_bfrev_b32_e32 v2, 1
	s_mov_b32 s41, exec_lo
	s_delay_alu instid0(VALU_DEP_2)
	v_cmpx_ne_u32_e32 0x80, v0
	s_cbranch_execz .LBB6_1917
; %bb.1910:                             ;   in Loop: Header=BB6_130 Depth=2
	v_and_b32_e32 v2, 0x7c000000, v12
	v_bfe_u32 v3, v12, 24, 2
	s_delay_alu instid0(VALU_DEP_2) | instskip(SKIP_1) | instid1(SALU_CYCLE_1)
	v_cmp_ne_u32_e32 vcc_lo, 0x7c000000, v2
                                        ; implicit-def: $vgpr2
	s_and_saveexec_b32 s10, vcc_lo
	s_xor_b32 s10, exec_lo, s10
	s_cbranch_execz .LBB6_1914
; %bb.1911:                             ;   in Loop: Header=BB6_130 Depth=2
	v_bfe_u32 v2, v12, 26, 5
	s_mov_b32 s42, exec_lo
	s_delay_alu instid0(VALU_DEP_1)
	v_cmpx_eq_u32_e32 0, v2
; %bb.1912:                             ;   in Loop: Header=BB6_130 Depth=2
	v_clz_i32_u32_e32 v2, v3
	s_delay_alu instid0(VALU_DEP_1) | instskip(NEXT) | instid1(VALU_DEP_1)
	v_min_u32_e32 v2, 32, v2
	v_subrev_nc_u32_e32 v3, 29, v2
	s_delay_alu instid0(VALU_DEP_1) | instskip(NEXT) | instid1(VALU_DEP_1)
	v_lshlrev_b64_e32 v[4:5], v3, v[0:1]
	v_dual_sub_nc_u32 v2, 30, v2 :: v_dual_bitop2_b32 v3, 3, v4 bitop3:0x40
; %bb.1913:                             ;   in Loop: Header=BB6_130 Depth=2
	s_or_b32 exec_lo, exec_lo, s42
	v_and_b32_e32 v0, 0x80000000, v12
	s_delay_alu instid0(VALU_DEP_1) | instskip(NEXT) | instid1(VALU_DEP_1)
	v_lshl_add_u32 v0, v2, 23, v0
	v_lshl_or_b32 v0, v3, 21, v0
                                        ; implicit-def: $vgpr3
	s_delay_alu instid0(VALU_DEP_1)
	v_add_nc_u32_e32 v2, 0x38000000, v0
.LBB6_1914:                             ;   in Loop: Header=BB6_130 Depth=2
	s_and_not1_saveexec_b32 s42, s10
; %bb.1915:                             ;   in Loop: Header=BB6_130 Depth=2
	v_cmp_lt_i32_e64 s10, -1, v12
	v_mov_b32_e32 v0, 0x7f800000
	v_cmp_eq_u32_e32 vcc_lo, 0, v3
	s_delay_alu instid0(VALU_DEP_2) | instskip(NEXT) | instid1(VALU_DEP_1)
	v_cndmask_b32_e64 v0, 0xff800000, v0, s10
	v_cndmask_b32_e32 v2, 0x7f800001, v0, vcc_lo
; %bb.1916:                             ;   in Loop: Header=BB6_130 Depth=2
	s_or_b32 exec_lo, exec_lo, s42
.LBB6_1917:                             ;   in Loop: Header=BB6_130 Depth=2
	s_delay_alu instid0(SALU_CYCLE_1)
	s_or_b32 exec_lo, exec_lo, s41
.LBB6_1918:                             ;   in Loop: Header=BB6_130 Depth=2
	s_delay_alu instid0(SALU_CYCLE_1) | instskip(NEXT) | instid1(VALU_DEP_1)
	s_or_b32 exec_lo, exec_lo, s40
	v_dual_mul_f32 v2, s29, v2 :: v_dual_mov_b32 v5, v1
                                        ; implicit-def: $vgpr37
	s_mov_b32 s10, exec_lo
	s_delay_alu instid0(VALU_DEP_1) | instskip(SKIP_2) | instid1(VALU_DEP_3)
	v_and_b32_e32 v4, 0x7f800000, v2
	v_and_b32_e32 v0, 0x7fffff, v2
	v_lshrrev_b32_e32 v3, 24, v2
	v_cmpx_ne_u64_e32 0x7f800000, v[4:5]
	s_xor_b32 s40, exec_lo, s10
	s_cbranch_execz .LBB6_1932
; %bb.1919:                             ;   in Loop: Header=BB6_130 Depth=2
	v_and_b32_e32 v4, 0x7fffffff, v2
	v_mov_b32_e32 v5, v1
	v_and_b32_e32 v8, 0x80, v3
                                        ; implicit-def: $vgpr37
	s_mov_b32 s10, exec_lo
	s_delay_alu instid0(VALU_DEP_2)
	v_cmpx_gt_u64_e32 0x47600001, v[4:5]
	s_xor_b32 s41, exec_lo, s10
	s_cbranch_execz .LBB6_1929
; %bb.1920:                             ;   in Loop: Header=BB6_130 Depth=2
	v_mov_b32_e32 v37, 0
	s_mov_b32 s42, exec_lo
	v_cmpx_ne_u32_e32 0, v2
	s_cbranch_execz .LBB6_1928
; %bb.1921:                             ;   in Loop: Header=BB6_130 Depth=2
	v_bfe_u32 v10, v2, 23, 8
	v_or_b32_e32 v3, 0x800000, v0
	s_delay_alu instid0(VALU_DEP_2) | instskip(SKIP_2) | instid1(VALU_DEP_2)
	v_cmp_gt_u32_e64 s10, 0x72, v10
	v_sub_nc_u32_e32 v2, 0x71, v10
	v_cmp_eq_u32_e32 vcc_lo, 0, v10
	v_cndmask_b32_e64 v2, 0, v2, s10
	s_delay_alu instid0(VALU_DEP_1) | instskip(SKIP_1) | instid1(VALU_DEP_2)
	v_cndmask_b32_e64 v11, v2, 0x70, vcc_lo
	v_dual_cndmask_b32 v2, v3, v0 :: v_dual_mov_b32 v3, v1
	v_add_nc_u32_e32 v0, 21, v11
	s_delay_alu instid0(VALU_DEP_1) | instskip(SKIP_1) | instid1(VALU_DEP_1)
	v_lshlrev_b64_e64 v[4:5], v0, -1
	v_add_nc_u32_e32 v0, 20, v11
	v_lshlrev_b64_e64 v[14:15], v0, 1
	s_delay_alu instid0(VALU_DEP_3) | instskip(SKIP_2) | instid1(VALU_DEP_1)
	v_bfi_b32 v4, v4, 0, v2
	v_lshrrev_b64 v[2:3], v11, v[2:3]
	v_bfi_b32 v5, v5, 0, 0
	v_cmp_eq_u64_e64 s10, v[4:5], v[14:15]
	s_delay_alu instid0(VALU_DEP_3)
	v_mov_b64_e32 v[4:5], v[2:3]
	s_and_saveexec_b32 s43, s10
; %bb.1922:                             ;   in Loop: Header=BB6_130 Depth=2
	v_bfe_u32 v4, v2, 21, 1
	v_mov_b32_e32 v5, v1
	s_delay_alu instid0(VALU_DEP_1) | instskip(NEXT) | instid1(VALU_DEP_1)
	v_add_nc_u64_e32 v[4:5], v[2:3], v[4:5]
	v_add_nc_u64_e32 v[4:5], -1, v[4:5]
; %bb.1923:                             ;   in Loop: Header=BB6_130 Depth=2
	s_or_b32 exec_lo, exec_lo, s43
	v_add_nc_u32_e32 v0, 0xffffff81, v10
	v_lshrrev_b32_e32 v3, 23, v2
	s_mov_b32 s10, exec_lo
	s_delay_alu instid0(VALU_DEP_2) | instskip(NEXT) | instid1(VALU_DEP_1)
	v_cndmask_b32_e64 v0, v0, 0xffffff82, vcc_lo
	v_add3_u32 v10, v11, v0, v3
	v_and_b32_e32 v0, 0x1fffff, v4
                                        ; implicit-def: $vgpr4
	s_delay_alu instid0(VALU_DEP_2) | instskip(NEXT) | instid1(VALU_DEP_2)
	v_add_nc_u32_e32 v5, 14, v10
	v_add_nc_u32_e32 v0, v0, v2
                                        ; implicit-def: $vgpr2_vgpr3
	s_delay_alu instid0(VALU_DEP_2)
	v_cmpx_ne_u32_e32 0, v5
	s_xor_b32 s10, exec_lo, s10
; %bb.1924:                             ;   in Loop: Header=BB6_130 Depth=2
	s_delay_alu instid0(VALU_DEP_2) | instskip(SKIP_1) | instid1(VALU_DEP_1)
	v_cmp_lt_u64_e32 vcc_lo, 0xffffff, v[0:1]
	v_add_nc_u32_e32 v2, 15, v10
	v_cndmask_b32_e32 v4, v5, v2, vcc_lo
	v_cndmask_b32_e64 v2, 0, 1, vcc_lo
	s_delay_alu instid0(VALU_DEP_1)
	v_lshrrev_b64 v[2:3], v2, v[0:1]
; %bb.1925:                             ;   in Loop: Header=BB6_130 Depth=2
	s_and_not1_saveexec_b32 s10, s10
; %bb.1926:                             ;   in Loop: Header=BB6_130 Depth=2
	v_mov_b64_e32 v[2:3], v[0:1]
	v_bfe_u32 v4, v0, 23, 1
; %bb.1927:                             ;   in Loop: Header=BB6_130 Depth=2
	s_or_b32 exec_lo, exec_lo, s10
	s_delay_alu instid0(VALU_DEP_2) | instskip(NEXT) | instid1(VALU_DEP_2)
	v_lshrrev_b64 v[2:3], 21, v[2:3]
	v_cmp_gt_i32_e32 vcc_lo, 32, v4
	v_min_i32_e32 v0, 31, v4
	v_cmp_eq_u32_e64 s10, 0, v4
	s_delay_alu instid0(VALU_DEP_2) | instskip(SKIP_1) | instid1(VALU_DEP_2)
	v_dual_cndmask_b32 v3, 0, v3 :: v_dual_lshlrev_b32 v0, 2, v0
	v_cndmask_b32_e32 v2, 3, v2, vcc_lo
	v_and_b32_e32 v0, 0xfc, v0
	s_delay_alu instid0(VALU_DEP_2) | instskip(NEXT) | instid1(VALU_DEP_2)
	v_cmp_eq_u64_e32 vcc_lo, 0, v[2:3]
	v_and_or_b32 v0, v2, 3, v0
	s_and_b32 s10, s10, vcc_lo
	s_delay_alu instid0(VALU_DEP_1) | instid1(SALU_CYCLE_1)
	v_cndmask_b32_e64 v0, v0, 0, s10
	s_delay_alu instid0(VALU_DEP_1)
	v_or_b32_e32 v37, v0, v8
.LBB6_1928:                             ;   in Loop: Header=BB6_130 Depth=2
	s_or_b32 exec_lo, exec_lo, s42
                                        ; implicit-def: $vgpr8
.LBB6_1929:                             ;   in Loop: Header=BB6_130 Depth=2
	s_and_not1_saveexec_b32 s10, s41
; %bb.1930:                             ;   in Loop: Header=BB6_130 Depth=2
	v_or_b32_e32 v37, 0x7b, v8
; %bb.1931:                             ;   in Loop: Header=BB6_130 Depth=2
	s_or_b32 exec_lo, exec_lo, s10
                                        ; implicit-def: $vgpr2
                                        ; implicit-def: $vgpr3
.LBB6_1932:                             ;   in Loop: Header=BB6_130 Depth=2
	s_and_not1_saveexec_b32 s10, s40
	s_cbranch_execz .LBB6_1938
; %bb.1933:                             ;   in Loop: Header=BB6_130 Depth=2
	s_mov_b32 s40, exec_lo
                                        ; implicit-def: $vgpr37
	v_cmpx_ne_u64_e32 0, v[0:1]
	s_xor_b32 s40, exec_lo, s40
; %bb.1934:                             ;   in Loop: Header=BB6_130 Depth=2
	v_or_b32_e32 v37, 0x7f, v3
                                        ; implicit-def: $vgpr2
; %bb.1935:                             ;   in Loop: Header=BB6_130 Depth=2
	s_and_not1_saveexec_b32 s40, s40
; %bb.1936:                             ;   in Loop: Header=BB6_130 Depth=2
	v_cmp_lt_i32_e32 vcc_lo, -1, v2
	v_mov_b32_e32 v0, 0x7c
	s_delay_alu instid0(VALU_DEP_1)
	v_cndmask_b32_e32 v37, 0xfc, v0, vcc_lo
; %bb.1937:                             ;   in Loop: Header=BB6_130 Depth=2
	s_or_b32 exec_lo, exec_lo, s40
.LBB6_1938:                             ;   in Loop: Header=BB6_130 Depth=2
	s_delay_alu instid0(SALU_CYCLE_1) | instskip(SKIP_3) | instid1(VALU_DEP_2)
	s_or_b32 exec_lo, exec_lo, s10
	v_and_b32_e32 v3, 0xff, v13
	v_dual_mov_b32 v0, v13 :: v_dual_mov_b32 v2, 0
	s_mov_b32 s40, exec_lo
	v_cmpx_ne_u16_e32 0, v3
	s_cbranch_execz .LBB6_1948
; %bb.1939:                             ;   in Loop: Header=BB6_130 Depth=2
	v_bfrev_b32_e32 v2, 1
	s_mov_b32 s41, exec_lo
	v_cmpx_ne_u16_e32 0x80, v3
	s_cbranch_execz .LBB6_1947
; %bb.1940:                             ;   in Loop: Header=BB6_130 Depth=2
	v_and_b32_e32 v2, 0x7c, v13
	v_and_b32_e32 v3, 3, v13
	s_delay_alu instid0(VALU_DEP_2) | instskip(SKIP_1) | instid1(SALU_CYCLE_1)
	v_cmp_ne_u32_e32 vcc_lo, 0x7c, v2
                                        ; implicit-def: $vgpr2
	s_and_saveexec_b32 s10, vcc_lo
	s_xor_b32 s10, exec_lo, s10
	s_cbranch_execz .LBB6_1944
; %bb.1941:                             ;   in Loop: Header=BB6_130 Depth=2
	v_bfe_u32 v2, v13, 2, 5
	s_mov_b32 s42, exec_lo
	s_delay_alu instid0(VALU_DEP_1)
	v_cmpx_eq_u32_e32 0, v2
; %bb.1942:                             ;   in Loop: Header=BB6_130 Depth=2
	v_clz_i32_u32_e32 v2, v3
	s_delay_alu instid0(VALU_DEP_1) | instskip(NEXT) | instid1(VALU_DEP_1)
	v_min_u32_e32 v2, 32, v2
	v_subrev_nc_u32_e32 v3, 29, v2
	s_delay_alu instid0(VALU_DEP_1) | instskip(NEXT) | instid1(VALU_DEP_1)
	v_lshlrev_b64_e32 v[4:5], v3, v[0:1]
	v_dual_sub_nc_u32 v2, 30, v2 :: v_dual_bitop2_b32 v3, 3, v4 bitop3:0x40
; %bb.1943:                             ;   in Loop: Header=BB6_130 Depth=2
	s_or_b32 exec_lo, exec_lo, s42
	v_lshlrev_b32_e32 v4, 24, v13
	s_delay_alu instid0(VALU_DEP_1) | instskip(NEXT) | instid1(VALU_DEP_1)
	v_and_b32_e32 v4, 0x80000000, v4
	v_lshl_add_u32 v2, v2, 23, v4
	s_delay_alu instid0(VALU_DEP_1) | instskip(NEXT) | instid1(VALU_DEP_1)
	v_lshl_or_b32 v2, v3, 21, v2
                                        ; implicit-def: $vgpr3
	v_add_nc_u32_e32 v2, 0x38000000, v2
.LBB6_1944:                             ;   in Loop: Header=BB6_130 Depth=2
	s_and_not1_saveexec_b32 s42, s10
; %bb.1945:                             ;   in Loop: Header=BB6_130 Depth=2
	v_bfe_i32 v2, v13, 0, 8
	v_cmp_eq_u32_e32 vcc_lo, 0, v3
	s_delay_alu instid0(VALU_DEP_2) | instskip(SKIP_1) | instid1(VALU_DEP_1)
	v_cmp_lt_i16_e64 s10, -1, v2
	v_mov_b32_e32 v2, 0x7f800000
	v_cndmask_b32_e64 v2, 0xff800000, v2, s10
	s_delay_alu instid0(VALU_DEP_1)
	v_cndmask_b32_e32 v2, 0x7f800001, v2, vcc_lo
; %bb.1946:                             ;   in Loop: Header=BB6_130 Depth=2
	s_or_b32 exec_lo, exec_lo, s42
.LBB6_1947:                             ;   in Loop: Header=BB6_130 Depth=2
	s_delay_alu instid0(SALU_CYCLE_1)
	s_or_b32 exec_lo, exec_lo, s41
.LBB6_1948:                             ;   in Loop: Header=BB6_130 Depth=2
	s_delay_alu instid0(SALU_CYCLE_1) | instskip(NEXT) | instid1(VALU_DEP_1)
	s_or_b32 exec_lo, exec_lo, s40
	v_dual_mul_f32 v4, s29, v2 :: v_dual_mov_b32 v11, v1
	v_mov_b32_e32 v3, v1
                                        ; implicit-def: $vgpr8
	s_mov_b32 s10, exec_lo
	s_delay_alu instid0(VALU_DEP_2) | instskip(SKIP_2) | instid1(VALU_DEP_3)
	v_and_b32_e32 v10, 0x7f800000, v4
	v_and_b32_e32 v2, 0x7fffff, v4
	v_lshrrev_b32_e32 v5, 24, v4
	v_cmpx_ne_u64_e32 0x7f800000, v[10:11]
	s_xor_b32 s40, exec_lo, s10
	s_cbranch_execz .LBB6_1962
; %bb.1949:                             ;   in Loop: Header=BB6_130 Depth=2
	v_and_b32_e32 v10, 0x7fffffff, v4
	v_mov_b32_e32 v11, v1
                                        ; implicit-def: $vgpr8
	s_delay_alu instid0(VALU_DEP_1) | instskip(SKIP_2) | instid1(SALU_CYCLE_1)
	v_cmp_gt_u64_e32 vcc_lo, 0x47600001, v[10:11]
	v_and_b32_e32 v10, 0x80, v5
	s_and_saveexec_b32 s10, vcc_lo
	s_xor_b32 s41, exec_lo, s10
	s_cbranch_execz .LBB6_1959
; %bb.1950:                             ;   in Loop: Header=BB6_130 Depth=2
	v_mov_b32_e32 v8, 0
	s_mov_b32 s42, exec_lo
	v_cmpx_ne_u32_e32 0, v4
	s_cbranch_execz .LBB6_1958
; %bb.1951:                             ;   in Loop: Header=BB6_130 Depth=2
	v_bfe_u32 v8, v4, 23, 8
	v_or_b32_e32 v5, 0x800000, v2
	s_delay_alu instid0(VALU_DEP_2) | instskip(SKIP_2) | instid1(VALU_DEP_2)
	v_cmp_gt_u32_e64 s10, 0x72, v8
	v_sub_nc_u32_e32 v4, 0x71, v8
	v_cmp_eq_u32_e32 vcc_lo, 0, v8
	v_dual_cndmask_b32 v4, 0, v4, s10 :: v_dual_cndmask_b32 v2, v5, v2, vcc_lo
	s_delay_alu instid0(VALU_DEP_1) | instskip(NEXT) | instid1(VALU_DEP_1)
	v_cndmask_b32_e64 v11, v4, 0x70, vcc_lo
	v_dual_add_nc_u32 v4, 21, v11 :: v_dual_add_nc_u32 v14, 20, v11
	s_delay_alu instid0(VALU_DEP_1) | instskip(NEXT) | instid1(VALU_DEP_2)
	v_lshlrev_b64_e64 v[4:5], v4, -1
	v_lshlrev_b64_e64 v[14:15], v14, 1
	s_delay_alu instid0(VALU_DEP_2) | instskip(SKIP_1) | instid1(VALU_DEP_4)
	v_bfi_b32 v4, v4, 0, v2
	v_lshrrev_b64 v[2:3], v11, v[2:3]
	v_bfi_b32 v5, v5, 0, 0
	s_delay_alu instid0(VALU_DEP_1) | instskip(NEXT) | instid1(VALU_DEP_3)
	v_cmp_eq_u64_e64 s10, v[4:5], v[14:15]
	v_mov_b64_e32 v[4:5], v[2:3]
	s_and_saveexec_b32 s43, s10
; %bb.1952:                             ;   in Loop: Header=BB6_130 Depth=2
	v_bfe_u32 v4, v2, 21, 1
	v_mov_b32_e32 v5, v1
	s_delay_alu instid0(VALU_DEP_1) | instskip(NEXT) | instid1(VALU_DEP_1)
	v_add_nc_u64_e32 v[4:5], v[2:3], v[4:5]
	v_add_nc_u64_e32 v[4:5], -1, v[4:5]
; %bb.1953:                             ;   in Loop: Header=BB6_130 Depth=2
	s_or_b32 exec_lo, exec_lo, s43
	v_add_nc_u32_e32 v3, 0xffffff81, v8
	v_lshrrev_b32_e32 v5, 23, v2
	s_mov_b32 s10, exec_lo
	s_delay_alu instid0(VALU_DEP_2) | instskip(NEXT) | instid1(VALU_DEP_1)
	v_cndmask_b32_e64 v3, v3, 0xffffff82, vcc_lo
	v_add3_u32 v8, v11, v3, v5
	v_and_b32_e32 v3, 0x1fffff, v4
                                        ; implicit-def: $vgpr4
	s_delay_alu instid0(VALU_DEP_1) | instskip(SKIP_1) | instid1(VALU_DEP_2)
	v_dual_add_nc_u32 v5, 14, v8 :: v_dual_add_nc_u32 v2, v3, v2
	v_mov_b32_e32 v3, v1
	v_cmpx_ne_u32_e32 0, v5
	s_xor_b32 s10, exec_lo, s10
; %bb.1954:                             ;   in Loop: Header=BB6_130 Depth=2
	s_delay_alu instid0(VALU_DEP_2) | instskip(SKIP_1) | instid1(VALU_DEP_1)
	v_cmp_lt_u64_e32 vcc_lo, 0xffffff, v[2:3]
	v_add_nc_u32_e32 v4, 15, v8
	v_cndmask_b32_e32 v4, v5, v4, vcc_lo
	v_cndmask_b32_e64 v5, 0, 1, vcc_lo
	s_delay_alu instid0(VALU_DEP_1)
	v_lshrrev_b64 v[2:3], v5, v[2:3]
; %bb.1955:                             ;   in Loop: Header=BB6_130 Depth=2
	s_and_not1_saveexec_b32 s10, s10
; %bb.1956:                             ;   in Loop: Header=BB6_130 Depth=2
	s_delay_alu instid0(VALU_DEP_1)
	v_bfe_u32 v4, v2, 23, 1
; %bb.1957:                             ;   in Loop: Header=BB6_130 Depth=2
	s_or_b32 exec_lo, exec_lo, s10
	s_delay_alu instid0(VALU_DEP_2) | instskip(NEXT) | instid1(VALU_DEP_2)
	v_lshrrev_b64 v[2:3], 21, v[2:3]
	v_cmp_gt_i32_e32 vcc_lo, 32, v4
	v_min_i32_e32 v5, 31, v4
	v_cmp_eq_u32_e64 s10, 0, v4
	s_delay_alu instid0(VALU_DEP_2) | instskip(SKIP_1) | instid1(VALU_DEP_2)
	v_dual_cndmask_b32 v3, 0, v3, vcc_lo :: v_dual_lshlrev_b32 v5, 2, v5
	v_cndmask_b32_e32 v2, 3, v2, vcc_lo
	v_and_b32_e32 v5, 0xfc, v5
	s_delay_alu instid0(VALU_DEP_2) | instskip(NEXT) | instid1(VALU_DEP_2)
	v_cmp_eq_u64_e32 vcc_lo, 0, v[2:3]
	v_and_or_b32 v2, v2, 3, v5
	s_and_b32 s10, s10, vcc_lo
	s_delay_alu instid0(VALU_DEP_1) | instid1(SALU_CYCLE_1)
	v_cndmask_b32_e64 v2, v2, 0, s10
	s_delay_alu instid0(VALU_DEP_1)
	v_or_b32_e32 v8, v2, v10
.LBB6_1958:                             ;   in Loop: Header=BB6_130 Depth=2
	s_or_b32 exec_lo, exec_lo, s42
                                        ; implicit-def: $vgpr10
.LBB6_1959:                             ;   in Loop: Header=BB6_130 Depth=2
	s_and_not1_saveexec_b32 s10, s41
; %bb.1960:                             ;   in Loop: Header=BB6_130 Depth=2
	v_or_b32_e32 v8, 0x7b, v10
; %bb.1961:                             ;   in Loop: Header=BB6_130 Depth=2
	s_or_b32 exec_lo, exec_lo, s10
                                        ; implicit-def: $vgpr4
                                        ; implicit-def: $vgpr2_vgpr3
                                        ; implicit-def: $vgpr5
.LBB6_1962:                             ;   in Loop: Header=BB6_130 Depth=2
	s_and_not1_saveexec_b32 s10, s40
	s_cbranch_execz .LBB6_1968
; %bb.1963:                             ;   in Loop: Header=BB6_130 Depth=2
	s_mov_b32 s40, exec_lo
                                        ; implicit-def: $vgpr8
	v_cmpx_ne_u64_e32 0, v[2:3]
	s_xor_b32 s40, exec_lo, s40
; %bb.1964:                             ;   in Loop: Header=BB6_130 Depth=2
	v_or_b32_e32 v8, 0x7f, v5
                                        ; implicit-def: $vgpr4
; %bb.1965:                             ;   in Loop: Header=BB6_130 Depth=2
	s_and_not1_saveexec_b32 s40, s40
; %bb.1966:                             ;   in Loop: Header=BB6_130 Depth=2
	v_cmp_lt_i32_e32 vcc_lo, -1, v4
	v_mov_b32_e32 v2, 0x7c
	s_delay_alu instid0(VALU_DEP_1)
	v_cndmask_b32_e32 v8, 0xfc, v2, vcc_lo
; %bb.1967:                             ;   in Loop: Header=BB6_130 Depth=2
	s_or_b32 exec_lo, exec_lo, s40
.LBB6_1968:                             ;   in Loop: Header=BB6_130 Depth=2
	s_delay_alu instid0(SALU_CYCLE_1) | instskip(SKIP_3) | instid1(VALU_DEP_2)
	s_or_b32 exec_lo, exec_lo, s10
	v_lshrrev_b16 v2, 8, v0
	v_mov_b32_e32 v3, 0
	s_mov_b32 s40, exec_lo
	v_cmpx_ne_u16_e32 0, v2
	s_cbranch_execz .LBB6_1978
; %bb.1969:                             ;   in Loop: Header=BB6_130 Depth=2
	v_bfrev_b32_e32 v3, 1
	s_mov_b32 s41, exec_lo
	v_cmpx_ne_u16_e32 0x80, v2
	s_cbranch_execz .LBB6_1977
; %bb.1970:                             ;   in Loop: Header=BB6_130 Depth=2
	v_and_b32_e32 v5, 0xffff, v2
	s_delay_alu instid0(VALU_DEP_1) | instskip(SKIP_1) | instid1(VALU_DEP_2)
	v_and_b32_e32 v3, 0x7c, v5
	v_and_b32_e32 v4, 3, v5
	v_cmp_ne_u32_e32 vcc_lo, 0x7c, v3
                                        ; implicit-def: $vgpr3
	s_and_saveexec_b32 s10, vcc_lo
	s_delay_alu instid0(SALU_CYCLE_1)
	s_xor_b32 s10, exec_lo, s10
	s_cbranch_execz .LBB6_1974
; %bb.1971:                             ;   in Loop: Header=BB6_130 Depth=2
	v_bfe_u32 v3, v5, 2, 5
	s_mov_b32 s42, exec_lo
	s_delay_alu instid0(VALU_DEP_1)
	v_cmpx_eq_u32_e32 0, v3
; %bb.1972:                             ;   in Loop: Header=BB6_130 Depth=2
	v_clz_i32_u32_e32 v3, v4
	s_delay_alu instid0(VALU_DEP_1) | instskip(SKIP_1) | instid1(VALU_DEP_2)
	v_min_u32_e32 v4, 32, v3
	v_mov_b32_e32 v3, v1
	v_subrev_nc_u32_e32 v5, 29, v4
	s_delay_alu instid0(VALU_DEP_1) | instskip(NEXT) | instid1(VALU_DEP_1)
	v_lshlrev_b64_e32 v[2:3], v5, v[2:3]
	v_dual_sub_nc_u32 v3, 30, v4 :: v_dual_bitop2_b32 v4, 3, v2 bitop3:0x40
; %bb.1973:                             ;   in Loop: Header=BB6_130 Depth=2
	s_or_b32 exec_lo, exec_lo, s42
	v_lshlrev_b32_e32 v0, 16, v0
	s_delay_alu instid0(VALU_DEP_1) | instskip(NEXT) | instid1(VALU_DEP_1)
	v_and_b32_e32 v0, 0x80000000, v0
	v_lshl_add_u32 v0, v3, 23, v0
	s_delay_alu instid0(VALU_DEP_1) | instskip(NEXT) | instid1(VALU_DEP_1)
	v_lshl_or_b32 v0, v4, 21, v0
                                        ; implicit-def: $vgpr4
	v_add_nc_u32_e32 v3, 0x38000000, v0
.LBB6_1974:                             ;   in Loop: Header=BB6_130 Depth=2
	s_and_not1_saveexec_b32 s42, s10
; %bb.1975:                             ;   in Loop: Header=BB6_130 Depth=2
	v_cmp_lt_i16_e64 s10, -1, v0
	v_mov_b32_e32 v0, 0x7f800000
	v_cmp_eq_u32_e32 vcc_lo, 0, v4
	s_delay_alu instid0(VALU_DEP_2) | instskip(NEXT) | instid1(VALU_DEP_1)
	v_cndmask_b32_e64 v0, 0xff800000, v0, s10
	v_cndmask_b32_e32 v3, 0x7f800001, v0, vcc_lo
; %bb.1976:                             ;   in Loop: Header=BB6_130 Depth=2
	s_or_b32 exec_lo, exec_lo, s42
.LBB6_1977:                             ;   in Loop: Header=BB6_130 Depth=2
	s_delay_alu instid0(SALU_CYCLE_1)
	s_or_b32 exec_lo, exec_lo, s41
.LBB6_1978:                             ;   in Loop: Header=BB6_130 Depth=2
	s_delay_alu instid0(SALU_CYCLE_1) | instskip(NEXT) | instid1(VALU_DEP_1)
	s_or_b32 exec_lo, exec_lo, s40
	v_dual_mul_f32 v2, s29, v3 :: v_dual_mov_b32 v5, v1
                                        ; implicit-def: $vgpr27
	s_mov_b32 s10, exec_lo
	s_delay_alu instid0(VALU_DEP_1) | instskip(SKIP_2) | instid1(VALU_DEP_3)
	v_and_b32_e32 v4, 0x7f800000, v2
	v_and_b32_e32 v0, 0x7fffff, v2
	v_lshrrev_b32_e32 v3, 24, v2
	v_cmpx_ne_u64_e32 0x7f800000, v[4:5]
	s_xor_b32 s40, exec_lo, s10
	s_cbranch_execz .LBB6_1992
; %bb.1979:                             ;   in Loop: Header=BB6_130 Depth=2
	v_and_b32_e32 v4, 0x7fffffff, v2
	v_mov_b32_e32 v5, v1
	v_and_b32_e32 v10, 0x80, v3
                                        ; implicit-def: $vgpr27
	s_mov_b32 s10, exec_lo
	s_delay_alu instid0(VALU_DEP_2)
	v_cmpx_gt_u64_e32 0x47600001, v[4:5]
	s_xor_b32 s41, exec_lo, s10
	s_cbranch_execz .LBB6_1989
; %bb.1980:                             ;   in Loop: Header=BB6_130 Depth=2
	v_mov_b32_e32 v27, 0
	s_mov_b32 s42, exec_lo
	v_cmpx_ne_u32_e32 0, v2
	s_cbranch_execz .LBB6_1988
; %bb.1981:                             ;   in Loop: Header=BB6_130 Depth=2
	v_bfe_u32 v11, v2, 23, 8
	v_or_b32_e32 v3, 0x800000, v0
	s_delay_alu instid0(VALU_DEP_2) | instskip(SKIP_2) | instid1(VALU_DEP_2)
	v_cmp_gt_u32_e64 s10, 0x72, v11
	v_sub_nc_u32_e32 v2, 0x71, v11
	v_cmp_eq_u32_e32 vcc_lo, 0, v11
	v_cndmask_b32_e64 v2, 0, v2, s10
	s_delay_alu instid0(VALU_DEP_1) | instskip(SKIP_1) | instid1(VALU_DEP_2)
	v_cndmask_b32_e64 v14, v2, 0x70, vcc_lo
	v_dual_cndmask_b32 v2, v3, v0 :: v_dual_mov_b32 v3, v1
	v_add_nc_u32_e32 v0, 21, v14
	s_delay_alu instid0(VALU_DEP_1) | instskip(SKIP_1) | instid1(VALU_DEP_1)
	v_lshlrev_b64_e64 v[4:5], v0, -1
	v_add_nc_u32_e32 v0, 20, v14
	v_lshlrev_b64_e64 v[16:17], v0, 1
	s_delay_alu instid0(VALU_DEP_3) | instskip(SKIP_2) | instid1(VALU_DEP_1)
	v_bfi_b32 v4, v4, 0, v2
	v_lshrrev_b64 v[2:3], v14, v[2:3]
	v_bfi_b32 v5, v5, 0, 0
	v_cmp_eq_u64_e64 s10, v[4:5], v[16:17]
	s_delay_alu instid0(VALU_DEP_3)
	v_mov_b64_e32 v[4:5], v[2:3]
	s_and_saveexec_b32 s43, s10
; %bb.1982:                             ;   in Loop: Header=BB6_130 Depth=2
	v_bfe_u32 v4, v2, 21, 1
	v_mov_b32_e32 v5, v1
	s_delay_alu instid0(VALU_DEP_1) | instskip(NEXT) | instid1(VALU_DEP_1)
	v_add_nc_u64_e32 v[4:5], v[2:3], v[4:5]
	v_add_nc_u64_e32 v[4:5], -1, v[4:5]
; %bb.1983:                             ;   in Loop: Header=BB6_130 Depth=2
	s_or_b32 exec_lo, exec_lo, s43
	v_add_nc_u32_e32 v0, 0xffffff81, v11
	v_lshrrev_b32_e32 v3, 23, v2
	s_mov_b32 s10, exec_lo
	s_delay_alu instid0(VALU_DEP_2) | instskip(NEXT) | instid1(VALU_DEP_1)
	v_cndmask_b32_e64 v0, v0, 0xffffff82, vcc_lo
	v_add3_u32 v11, v14, v0, v3
	v_and_b32_e32 v0, 0x1fffff, v4
                                        ; implicit-def: $vgpr4
	s_delay_alu instid0(VALU_DEP_1) | instskip(NEXT) | instid1(VALU_DEP_1)
	v_dual_add_nc_u32 v5, 14, v11 :: v_dual_add_nc_u32 v0, v0, v2
                                        ; implicit-def: $vgpr2_vgpr3
	v_cmpx_ne_u32_e32 0, v5
	s_xor_b32 s10, exec_lo, s10
; %bb.1984:                             ;   in Loop: Header=BB6_130 Depth=2
	s_delay_alu instid0(VALU_DEP_2) | instskip(SKIP_1) | instid1(VALU_DEP_1)
	v_cmp_lt_u64_e32 vcc_lo, 0xffffff, v[0:1]
	v_add_nc_u32_e32 v2, 15, v11
	v_cndmask_b32_e32 v4, v5, v2, vcc_lo
	v_cndmask_b32_e64 v2, 0, 1, vcc_lo
	s_delay_alu instid0(VALU_DEP_1)
	v_lshrrev_b64 v[2:3], v2, v[0:1]
; %bb.1985:                             ;   in Loop: Header=BB6_130 Depth=2
	s_and_not1_saveexec_b32 s10, s10
; %bb.1986:                             ;   in Loop: Header=BB6_130 Depth=2
	v_mov_b64_e32 v[2:3], v[0:1]
	v_bfe_u32 v4, v0, 23, 1
; %bb.1987:                             ;   in Loop: Header=BB6_130 Depth=2
	s_or_b32 exec_lo, exec_lo, s10
	s_delay_alu instid0(VALU_DEP_2) | instskip(NEXT) | instid1(VALU_DEP_2)
	v_lshrrev_b64 v[2:3], 21, v[2:3]
	v_cmp_gt_i32_e32 vcc_lo, 32, v4
	v_min_i32_e32 v0, 31, v4
	v_cmp_eq_u32_e64 s10, 0, v4
	s_delay_alu instid0(VALU_DEP_2) | instskip(SKIP_1) | instid1(VALU_DEP_2)
	v_dual_cndmask_b32 v3, 0, v3 :: v_dual_lshlrev_b32 v0, 2, v0
	v_cndmask_b32_e32 v2, 3, v2, vcc_lo
	v_and_b32_e32 v0, 0xfc, v0
	s_delay_alu instid0(VALU_DEP_2) | instskip(NEXT) | instid1(VALU_DEP_2)
	v_cmp_eq_u64_e32 vcc_lo, 0, v[2:3]
	v_and_or_b32 v0, v2, 3, v0
	s_and_b32 s10, s10, vcc_lo
	s_delay_alu instid0(VALU_DEP_1) | instid1(SALU_CYCLE_1)
	v_cndmask_b32_e64 v0, v0, 0, s10
	s_delay_alu instid0(VALU_DEP_1)
	v_or_b32_e32 v27, v0, v10
.LBB6_1988:                             ;   in Loop: Header=BB6_130 Depth=2
	s_or_b32 exec_lo, exec_lo, s42
                                        ; implicit-def: $vgpr10
.LBB6_1989:                             ;   in Loop: Header=BB6_130 Depth=2
	s_and_not1_saveexec_b32 s10, s41
; %bb.1990:                             ;   in Loop: Header=BB6_130 Depth=2
	v_or_b32_e32 v27, 0x7b, v10
; %bb.1991:                             ;   in Loop: Header=BB6_130 Depth=2
	s_or_b32 exec_lo, exec_lo, s10
                                        ; implicit-def: $vgpr2
                                        ; implicit-def: $vgpr3
.LBB6_1992:                             ;   in Loop: Header=BB6_130 Depth=2
	s_and_not1_saveexec_b32 s10, s40
	s_cbranch_execz .LBB6_1998
; %bb.1993:                             ;   in Loop: Header=BB6_130 Depth=2
	s_mov_b32 s40, exec_lo
                                        ; implicit-def: $vgpr27
	v_cmpx_ne_u64_e32 0, v[0:1]
	s_xor_b32 s40, exec_lo, s40
; %bb.1994:                             ;   in Loop: Header=BB6_130 Depth=2
	v_or_b32_e32 v27, 0x7f, v3
                                        ; implicit-def: $vgpr2
; %bb.1995:                             ;   in Loop: Header=BB6_130 Depth=2
	s_and_not1_saveexec_b32 s40, s40
; %bb.1996:                             ;   in Loop: Header=BB6_130 Depth=2
	v_cmp_lt_i32_e32 vcc_lo, -1, v2
	v_mov_b32_e32 v0, 0x7c
	s_delay_alu instid0(VALU_DEP_1)
	v_cndmask_b32_e32 v27, 0xfc, v0, vcc_lo
; %bb.1997:                             ;   in Loop: Header=BB6_130 Depth=2
	s_or_b32 exec_lo, exec_lo, s40
.LBB6_1998:                             ;   in Loop: Header=BB6_130 Depth=2
	s_delay_alu instid0(SALU_CYCLE_1) | instskip(SKIP_2) | instid1(VALU_DEP_1)
	s_or_b32 exec_lo, exec_lo, s10
	v_dual_lshrrev_b32 v0, 16, v13 :: v_dual_mov_b32 v2, 0
	s_mov_b32 s40, exec_lo
	v_and_b32_e32 v3, 0xff, v0
	s_delay_alu instid0(VALU_DEP_1)
	v_cmpx_ne_u16_e32 0, v3
	s_cbranch_execz .LBB6_2008
; %bb.1999:                             ;   in Loop: Header=BB6_130 Depth=2
	v_bfrev_b32_e32 v2, 1
	s_mov_b32 s41, exec_lo
	v_cmpx_ne_u16_e32 0x80, v3
	s_cbranch_execz .LBB6_2007
; %bb.2000:                             ;   in Loop: Header=BB6_130 Depth=2
	v_and_b32_e32 v2, 0x7c0000, v13
	v_bfe_u32 v3, v13, 16, 2
	s_delay_alu instid0(VALU_DEP_2) | instskip(SKIP_1) | instid1(SALU_CYCLE_1)
	v_cmp_ne_u32_e32 vcc_lo, 0x7c0000, v2
                                        ; implicit-def: $vgpr2
	s_and_saveexec_b32 s10, vcc_lo
	s_xor_b32 s10, exec_lo, s10
	s_cbranch_execz .LBB6_2004
; %bb.2001:                             ;   in Loop: Header=BB6_130 Depth=2
	v_bfe_u32 v2, v13, 18, 5
	s_mov_b32 s42, exec_lo
	s_delay_alu instid0(VALU_DEP_1)
	v_cmpx_eq_u32_e32 0, v2
; %bb.2002:                             ;   in Loop: Header=BB6_130 Depth=2
	v_clz_i32_u32_e32 v2, v3
	s_delay_alu instid0(VALU_DEP_1) | instskip(NEXT) | instid1(VALU_DEP_1)
	v_min_u32_e32 v2, 32, v2
	v_subrev_nc_u32_e32 v3, 29, v2
	s_delay_alu instid0(VALU_DEP_1) | instskip(NEXT) | instid1(VALU_DEP_1)
	v_lshlrev_b64_e32 v[4:5], v3, v[0:1]
	v_dual_sub_nc_u32 v2, 30, v2 :: v_dual_bitop2_b32 v3, 3, v4 bitop3:0x40
; %bb.2003:                             ;   in Loop: Header=BB6_130 Depth=2
	s_or_b32 exec_lo, exec_lo, s42
	v_lshlrev_b32_e32 v0, 24, v0
	s_delay_alu instid0(VALU_DEP_1) | instskip(NEXT) | instid1(VALU_DEP_1)
	v_and_b32_e32 v0, 0x80000000, v0
	v_lshl_add_u32 v0, v2, 23, v0
	s_delay_alu instid0(VALU_DEP_1) | instskip(NEXT) | instid1(VALU_DEP_1)
	v_lshl_or_b32 v0, v3, 21, v0
                                        ; implicit-def: $vgpr3
	v_add_nc_u32_e32 v2, 0x38000000, v0
                                        ; implicit-def: $vgpr0
.LBB6_2004:                             ;   in Loop: Header=BB6_130 Depth=2
	s_and_not1_saveexec_b32 s42, s10
; %bb.2005:                             ;   in Loop: Header=BB6_130 Depth=2
	v_bfe_i32 v0, v0, 0, 8
	v_cmp_eq_u32_e32 vcc_lo, 0, v3
	s_delay_alu instid0(VALU_DEP_2) | instskip(SKIP_1) | instid1(VALU_DEP_1)
	v_cmp_lt_i16_e64 s10, -1, v0
	v_mov_b32_e32 v0, 0x7f800000
	v_cndmask_b32_e64 v0, 0xff800000, v0, s10
	s_delay_alu instid0(VALU_DEP_1)
	v_cndmask_b32_e32 v2, 0x7f800001, v0, vcc_lo
; %bb.2006:                             ;   in Loop: Header=BB6_130 Depth=2
	s_or_b32 exec_lo, exec_lo, s42
.LBB6_2007:                             ;   in Loop: Header=BB6_130 Depth=2
	s_delay_alu instid0(SALU_CYCLE_1)
	s_or_b32 exec_lo, exec_lo, s41
.LBB6_2008:                             ;   in Loop: Header=BB6_130 Depth=2
	s_delay_alu instid0(SALU_CYCLE_1) | instskip(NEXT) | instid1(VALU_DEP_1)
	s_or_b32 exec_lo, exec_lo, s40
	v_dual_mul_f32 v2, s29, v2 :: v_dual_mov_b32 v5, v1
                                        ; implicit-def: $vgpr30
	s_mov_b32 s10, exec_lo
	s_delay_alu instid0(VALU_DEP_1) | instskip(SKIP_2) | instid1(VALU_DEP_3)
	v_and_b32_e32 v4, 0x7f800000, v2
	v_and_b32_e32 v0, 0x7fffff, v2
	v_lshrrev_b32_e32 v3, 24, v2
	v_cmpx_ne_u64_e32 0x7f800000, v[4:5]
	s_xor_b32 s40, exec_lo, s10
	s_cbranch_execz .LBB6_2022
; %bb.2009:                             ;   in Loop: Header=BB6_130 Depth=2
	v_and_b32_e32 v4, 0x7fffffff, v2
	v_mov_b32_e32 v5, v1
	v_and_b32_e32 v10, 0x80, v3
                                        ; implicit-def: $vgpr30
	s_mov_b32 s10, exec_lo
	s_delay_alu instid0(VALU_DEP_2)
	v_cmpx_gt_u64_e32 0x47600001, v[4:5]
	s_xor_b32 s41, exec_lo, s10
	s_cbranch_execz .LBB6_2019
; %bb.2010:                             ;   in Loop: Header=BB6_130 Depth=2
	v_mov_b32_e32 v30, 0
	s_mov_b32 s42, exec_lo
	v_cmpx_ne_u32_e32 0, v2
	s_cbranch_execz .LBB6_2018
; %bb.2011:                             ;   in Loop: Header=BB6_130 Depth=2
	v_bfe_u32 v11, v2, 23, 8
	v_or_b32_e32 v3, 0x800000, v0
	s_delay_alu instid0(VALU_DEP_2) | instskip(SKIP_2) | instid1(VALU_DEP_2)
	v_cmp_gt_u32_e64 s10, 0x72, v11
	v_sub_nc_u32_e32 v2, 0x71, v11
	v_cmp_eq_u32_e32 vcc_lo, 0, v11
	v_cndmask_b32_e64 v2, 0, v2, s10
	s_delay_alu instid0(VALU_DEP_1) | instskip(SKIP_1) | instid1(VALU_DEP_2)
	v_cndmask_b32_e64 v14, v2, 0x70, vcc_lo
	v_dual_cndmask_b32 v2, v3, v0 :: v_dual_mov_b32 v3, v1
	v_add_nc_u32_e32 v0, 21, v14
	s_delay_alu instid0(VALU_DEP_1) | instskip(SKIP_1) | instid1(VALU_DEP_1)
	v_lshlrev_b64_e64 v[4:5], v0, -1
	v_add_nc_u32_e32 v0, 20, v14
	v_lshlrev_b64_e64 v[16:17], v0, 1
	s_delay_alu instid0(VALU_DEP_3) | instskip(SKIP_2) | instid1(VALU_DEP_1)
	v_bfi_b32 v4, v4, 0, v2
	v_lshrrev_b64 v[2:3], v14, v[2:3]
	v_bfi_b32 v5, v5, 0, 0
	v_cmp_eq_u64_e64 s10, v[4:5], v[16:17]
	s_delay_alu instid0(VALU_DEP_3)
	v_mov_b64_e32 v[4:5], v[2:3]
	s_and_saveexec_b32 s43, s10
; %bb.2012:                             ;   in Loop: Header=BB6_130 Depth=2
	v_bfe_u32 v4, v2, 21, 1
	v_mov_b32_e32 v5, v1
	s_delay_alu instid0(VALU_DEP_1) | instskip(NEXT) | instid1(VALU_DEP_1)
	v_add_nc_u64_e32 v[4:5], v[2:3], v[4:5]
	v_add_nc_u64_e32 v[4:5], -1, v[4:5]
; %bb.2013:                             ;   in Loop: Header=BB6_130 Depth=2
	s_or_b32 exec_lo, exec_lo, s43
	v_add_nc_u32_e32 v0, 0xffffff81, v11
	v_lshrrev_b32_e32 v3, 23, v2
	s_mov_b32 s10, exec_lo
	s_delay_alu instid0(VALU_DEP_2) | instskip(NEXT) | instid1(VALU_DEP_1)
	v_cndmask_b32_e64 v0, v0, 0xffffff82, vcc_lo
	v_add3_u32 v11, v14, v0, v3
	v_and_b32_e32 v0, 0x1fffff, v4
                                        ; implicit-def: $vgpr4
	s_delay_alu instid0(VALU_DEP_1) | instskip(NEXT) | instid1(VALU_DEP_1)
	v_dual_add_nc_u32 v5, 14, v11 :: v_dual_add_nc_u32 v0, v0, v2
                                        ; implicit-def: $vgpr2_vgpr3
	v_cmpx_ne_u32_e32 0, v5
	s_xor_b32 s10, exec_lo, s10
; %bb.2014:                             ;   in Loop: Header=BB6_130 Depth=2
	s_delay_alu instid0(VALU_DEP_2) | instskip(SKIP_1) | instid1(VALU_DEP_1)
	v_cmp_lt_u64_e32 vcc_lo, 0xffffff, v[0:1]
	v_add_nc_u32_e32 v2, 15, v11
	v_cndmask_b32_e32 v4, v5, v2, vcc_lo
	v_cndmask_b32_e64 v2, 0, 1, vcc_lo
	s_delay_alu instid0(VALU_DEP_1)
	v_lshrrev_b64 v[2:3], v2, v[0:1]
; %bb.2015:                             ;   in Loop: Header=BB6_130 Depth=2
	s_and_not1_saveexec_b32 s10, s10
; %bb.2016:                             ;   in Loop: Header=BB6_130 Depth=2
	v_mov_b64_e32 v[2:3], v[0:1]
	v_bfe_u32 v4, v0, 23, 1
; %bb.2017:                             ;   in Loop: Header=BB6_130 Depth=2
	s_or_b32 exec_lo, exec_lo, s10
	s_delay_alu instid0(VALU_DEP_2) | instskip(NEXT) | instid1(VALU_DEP_2)
	v_lshrrev_b64 v[2:3], 21, v[2:3]
	v_cmp_gt_i32_e32 vcc_lo, 32, v4
	v_min_i32_e32 v0, 31, v4
	v_cmp_eq_u32_e64 s10, 0, v4
	s_delay_alu instid0(VALU_DEP_2) | instskip(SKIP_1) | instid1(VALU_DEP_2)
	v_dual_cndmask_b32 v3, 0, v3 :: v_dual_lshlrev_b32 v0, 2, v0
	v_cndmask_b32_e32 v2, 3, v2, vcc_lo
	v_and_b32_e32 v0, 0xfc, v0
	s_delay_alu instid0(VALU_DEP_2) | instskip(NEXT) | instid1(VALU_DEP_2)
	v_cmp_eq_u64_e32 vcc_lo, 0, v[2:3]
	v_and_or_b32 v0, v2, 3, v0
	s_and_b32 s10, s10, vcc_lo
	s_delay_alu instid0(VALU_DEP_1) | instid1(SALU_CYCLE_1)
	v_cndmask_b32_e64 v0, v0, 0, s10
	s_delay_alu instid0(VALU_DEP_1)
	v_or_b32_e32 v30, v0, v10
.LBB6_2018:                             ;   in Loop: Header=BB6_130 Depth=2
	s_or_b32 exec_lo, exec_lo, s42
                                        ; implicit-def: $vgpr10
.LBB6_2019:                             ;   in Loop: Header=BB6_130 Depth=2
	s_and_not1_saveexec_b32 s10, s41
; %bb.2020:                             ;   in Loop: Header=BB6_130 Depth=2
	v_or_b32_e32 v30, 0x7b, v10
; %bb.2021:                             ;   in Loop: Header=BB6_130 Depth=2
	s_or_b32 exec_lo, exec_lo, s10
                                        ; implicit-def: $vgpr2
                                        ; implicit-def: $vgpr3
.LBB6_2022:                             ;   in Loop: Header=BB6_130 Depth=2
	s_and_not1_saveexec_b32 s10, s40
	s_cbranch_execz .LBB6_2028
; %bb.2023:                             ;   in Loop: Header=BB6_130 Depth=2
	s_mov_b32 s40, exec_lo
                                        ; implicit-def: $vgpr30
	v_cmpx_ne_u64_e32 0, v[0:1]
	s_xor_b32 s40, exec_lo, s40
; %bb.2024:                             ;   in Loop: Header=BB6_130 Depth=2
	v_or_b32_e32 v30, 0x7f, v3
                                        ; implicit-def: $vgpr2
; %bb.2025:                             ;   in Loop: Header=BB6_130 Depth=2
	s_and_not1_saveexec_b32 s40, s40
; %bb.2026:                             ;   in Loop: Header=BB6_130 Depth=2
	v_cmp_lt_i32_e32 vcc_lo, -1, v2
	v_mov_b32_e32 v0, 0x7c
	s_delay_alu instid0(VALU_DEP_1)
	v_cndmask_b32_e32 v30, 0xfc, v0, vcc_lo
; %bb.2027:                             ;   in Loop: Header=BB6_130 Depth=2
	s_or_b32 exec_lo, exec_lo, s40
.LBB6_2028:                             ;   in Loop: Header=BB6_130 Depth=2
	s_delay_alu instid0(SALU_CYCLE_1)
	s_or_b32 exec_lo, exec_lo, s10
	v_mov_b32_e32 v2, 0
	s_mov_b32 s40, exec_lo
	v_cmpx_lt_u64_e64 s[12:13], v[12:13]
	s_cbranch_execz .LBB6_2038
; %bb.2029:                             ;   in Loop: Header=BB6_130 Depth=2
	v_lshrrev_b32_e32 v0, 24, v13
	v_bfrev_b32_e32 v2, 1
	s_mov_b32 s41, exec_lo
	s_delay_alu instid0(VALU_DEP_2)
	v_cmpx_ne_u32_e32 0x80, v0
	s_cbranch_execz .LBB6_2037
; %bb.2030:                             ;   in Loop: Header=BB6_130 Depth=2
	v_and_b32_e32 v2, 0x7c000000, v13
	v_bfe_u32 v3, v13, 24, 2
	s_delay_alu instid0(VALU_DEP_2) | instskip(SKIP_1) | instid1(SALU_CYCLE_1)
	v_cmp_ne_u32_e32 vcc_lo, 0x7c000000, v2
                                        ; implicit-def: $vgpr2
	s_and_saveexec_b32 s10, vcc_lo
	s_xor_b32 s10, exec_lo, s10
	s_cbranch_execz .LBB6_2034
; %bb.2031:                             ;   in Loop: Header=BB6_130 Depth=2
	v_bfe_u32 v2, v13, 26, 5
	s_mov_b32 s42, exec_lo
	s_delay_alu instid0(VALU_DEP_1)
	v_cmpx_eq_u32_e32 0, v2
; %bb.2032:                             ;   in Loop: Header=BB6_130 Depth=2
	v_clz_i32_u32_e32 v2, v3
	s_delay_alu instid0(VALU_DEP_1) | instskip(NEXT) | instid1(VALU_DEP_1)
	v_min_u32_e32 v2, 32, v2
	v_subrev_nc_u32_e32 v3, 29, v2
	s_delay_alu instid0(VALU_DEP_1) | instskip(NEXT) | instid1(VALU_DEP_1)
	v_lshlrev_b64_e32 v[4:5], v3, v[0:1]
	v_dual_sub_nc_u32 v2, 30, v2 :: v_dual_bitop2_b32 v3, 3, v4 bitop3:0x40
; %bb.2033:                             ;   in Loop: Header=BB6_130 Depth=2
	s_or_b32 exec_lo, exec_lo, s42
	v_and_b32_e32 v0, 0x80000000, v13
                                        ; implicit-def: $vgpr12_vgpr13
	s_delay_alu instid0(VALU_DEP_1) | instskip(NEXT) | instid1(VALU_DEP_1)
	v_lshl_add_u32 v0, v2, 23, v0
	v_lshl_or_b32 v0, v3, 21, v0
                                        ; implicit-def: $vgpr3
	s_delay_alu instid0(VALU_DEP_1)
	v_add_nc_u32_e32 v2, 0x38000000, v0
.LBB6_2034:                             ;   in Loop: Header=BB6_130 Depth=2
	s_and_not1_saveexec_b32 s42, s10
; %bb.2035:                             ;   in Loop: Header=BB6_130 Depth=2
	v_cmp_lt_i64_e64 s10, -1, v[12:13]
	v_mov_b32_e32 v0, 0x7f800000
	v_cmp_eq_u32_e32 vcc_lo, 0, v3
	s_delay_alu instid0(VALU_DEP_2) | instskip(NEXT) | instid1(VALU_DEP_1)
	v_cndmask_b32_e64 v0, 0xff800000, v0, s10
	v_cndmask_b32_e32 v2, 0x7f800001, v0, vcc_lo
; %bb.2036:                             ;   in Loop: Header=BB6_130 Depth=2
	s_or_b32 exec_lo, exec_lo, s42
.LBB6_2037:                             ;   in Loop: Header=BB6_130 Depth=2
	s_delay_alu instid0(SALU_CYCLE_1)
	s_or_b32 exec_lo, exec_lo, s41
.LBB6_2038:                             ;   in Loop: Header=BB6_130 Depth=2
	s_delay_alu instid0(SALU_CYCLE_1) | instskip(NEXT) | instid1(VALU_DEP_1)
	s_or_b32 exec_lo, exec_lo, s40
	v_dual_mul_f32 v2, s29, v2 :: v_dual_mov_b32 v5, v1
                                        ; implicit-def: $vgpr34
	s_mov_b32 s10, exec_lo
	s_delay_alu instid0(VALU_DEP_1) | instskip(SKIP_2) | instid1(VALU_DEP_3)
	v_and_b32_e32 v4, 0x7f800000, v2
	v_and_b32_e32 v0, 0x7fffff, v2
	v_lshrrev_b32_e32 v3, 24, v2
	v_cmpx_ne_u64_e32 0x7f800000, v[4:5]
	s_xor_b32 s29, exec_lo, s10
	s_cbranch_execz .LBB6_2052
; %bb.2039:                             ;   in Loop: Header=BB6_130 Depth=2
	v_and_b32_e32 v4, 0x7fffffff, v2
	v_mov_b32_e32 v5, v1
	v_and_b32_e32 v10, 0x80, v3
                                        ; implicit-def: $vgpr34
	s_mov_b32 s10, exec_lo
	s_delay_alu instid0(VALU_DEP_2)
	v_cmpx_gt_u64_e32 0x47600001, v[4:5]
	s_xor_b32 s40, exec_lo, s10
	s_cbranch_execz .LBB6_2049
; %bb.2040:                             ;   in Loop: Header=BB6_130 Depth=2
	v_mov_b32_e32 v34, 0
	s_mov_b32 s41, exec_lo
	v_cmpx_ne_u32_e32 0, v2
	s_cbranch_execz .LBB6_2048
; %bb.2041:                             ;   in Loop: Header=BB6_130 Depth=2
	v_bfe_u32 v11, v2, 23, 8
	v_or_b32_e32 v3, 0x800000, v0
	s_delay_alu instid0(VALU_DEP_2) | instskip(SKIP_2) | instid1(VALU_DEP_2)
	v_cmp_gt_u32_e64 s10, 0x72, v11
	v_sub_nc_u32_e32 v2, 0x71, v11
	v_cmp_eq_u32_e32 vcc_lo, 0, v11
	v_cndmask_b32_e64 v2, 0, v2, s10
	s_delay_alu instid0(VALU_DEP_1) | instskip(SKIP_1) | instid1(VALU_DEP_2)
	v_cndmask_b32_e64 v12, v2, 0x70, vcc_lo
	v_dual_cndmask_b32 v2, v3, v0 :: v_dual_mov_b32 v3, v1
	v_add_nc_u32_e32 v0, 21, v12
	s_delay_alu instid0(VALU_DEP_1) | instskip(SKIP_1) | instid1(VALU_DEP_1)
	v_lshlrev_b64_e64 v[4:5], v0, -1
	v_add_nc_u32_e32 v0, 20, v12
	v_lshlrev_b64_e64 v[14:15], v0, 1
	s_delay_alu instid0(VALU_DEP_3) | instskip(SKIP_2) | instid1(VALU_DEP_1)
	v_bfi_b32 v4, v4, 0, v2
	v_lshrrev_b64 v[2:3], v12, v[2:3]
	v_bfi_b32 v5, v5, 0, 0
	v_cmp_eq_u64_e64 s10, v[4:5], v[14:15]
	s_delay_alu instid0(VALU_DEP_3)
	v_mov_b64_e32 v[4:5], v[2:3]
	s_and_saveexec_b32 s42, s10
; %bb.2042:                             ;   in Loop: Header=BB6_130 Depth=2
	v_bfe_u32 v4, v2, 21, 1
	v_mov_b32_e32 v5, v1
	s_delay_alu instid0(VALU_DEP_1) | instskip(NEXT) | instid1(VALU_DEP_1)
	v_add_nc_u64_e32 v[4:5], v[2:3], v[4:5]
	v_add_nc_u64_e32 v[4:5], -1, v[4:5]
; %bb.2043:                             ;   in Loop: Header=BB6_130 Depth=2
	s_or_b32 exec_lo, exec_lo, s42
	v_add_nc_u32_e32 v0, 0xffffff81, v11
	v_lshrrev_b32_e32 v3, 23, v2
	s_mov_b32 s10, exec_lo
	s_delay_alu instid0(VALU_DEP_2) | instskip(NEXT) | instid1(VALU_DEP_1)
	v_cndmask_b32_e64 v0, v0, 0xffffff82, vcc_lo
	v_add3_u32 v11, v12, v0, v3
	v_and_b32_e32 v0, 0x1fffff, v4
                                        ; implicit-def: $vgpr4
	s_delay_alu instid0(VALU_DEP_1) | instskip(NEXT) | instid1(VALU_DEP_1)
	v_dual_add_nc_u32 v5, 14, v11 :: v_dual_add_nc_u32 v0, v0, v2
                                        ; implicit-def: $vgpr2_vgpr3
	v_cmpx_ne_u32_e32 0, v5
	s_xor_b32 s10, exec_lo, s10
; %bb.2044:                             ;   in Loop: Header=BB6_130 Depth=2
	s_delay_alu instid0(VALU_DEP_2) | instskip(SKIP_1) | instid1(VALU_DEP_1)
	v_cmp_lt_u64_e32 vcc_lo, 0xffffff, v[0:1]
	v_add_nc_u32_e32 v2, 15, v11
	v_cndmask_b32_e32 v4, v5, v2, vcc_lo
	v_cndmask_b32_e64 v2, 0, 1, vcc_lo
	s_delay_alu instid0(VALU_DEP_1)
	v_lshrrev_b64 v[2:3], v2, v[0:1]
; %bb.2045:                             ;   in Loop: Header=BB6_130 Depth=2
	s_and_not1_saveexec_b32 s10, s10
; %bb.2046:                             ;   in Loop: Header=BB6_130 Depth=2
	v_mov_b64_e32 v[2:3], v[0:1]
	v_bfe_u32 v4, v0, 23, 1
; %bb.2047:                             ;   in Loop: Header=BB6_130 Depth=2
	s_or_b32 exec_lo, exec_lo, s10
	s_delay_alu instid0(VALU_DEP_2) | instskip(NEXT) | instid1(VALU_DEP_2)
	v_lshrrev_b64 v[2:3], 21, v[2:3]
	v_cmp_gt_i32_e32 vcc_lo, 32, v4
	v_min_i32_e32 v0, 31, v4
	v_cmp_eq_u32_e64 s10, 0, v4
	s_delay_alu instid0(VALU_DEP_2) | instskip(SKIP_1) | instid1(VALU_DEP_2)
	v_dual_cndmask_b32 v3, 0, v3 :: v_dual_lshlrev_b32 v0, 2, v0
	v_cndmask_b32_e32 v2, 3, v2, vcc_lo
	v_and_b32_e32 v0, 0xfc, v0
	s_delay_alu instid0(VALU_DEP_2) | instskip(NEXT) | instid1(VALU_DEP_2)
	v_cmp_eq_u64_e32 vcc_lo, 0, v[2:3]
	v_and_or_b32 v0, v2, 3, v0
	s_and_b32 s10, s10, vcc_lo
	s_delay_alu instid0(VALU_DEP_1) | instid1(SALU_CYCLE_1)
	v_cndmask_b32_e64 v0, v0, 0, s10
	s_delay_alu instid0(VALU_DEP_1)
	v_or_b32_e32 v34, v0, v10
.LBB6_2048:                             ;   in Loop: Header=BB6_130 Depth=2
	s_or_b32 exec_lo, exec_lo, s41
                                        ; implicit-def: $vgpr10
.LBB6_2049:                             ;   in Loop: Header=BB6_130 Depth=2
	s_and_not1_saveexec_b32 s10, s40
; %bb.2050:                             ;   in Loop: Header=BB6_130 Depth=2
	v_or_b32_e32 v34, 0x7b, v10
; %bb.2051:                             ;   in Loop: Header=BB6_130 Depth=2
	s_or_b32 exec_lo, exec_lo, s10
                                        ; implicit-def: $vgpr2
                                        ; implicit-def: $vgpr3
.LBB6_2052:                             ;   in Loop: Header=BB6_130 Depth=2
	s_and_not1_saveexec_b32 s10, s29
	s_cbranch_execz .LBB6_2058
; %bb.2053:                             ;   in Loop: Header=BB6_130 Depth=2
	s_mov_b32 s29, exec_lo
                                        ; implicit-def: $vgpr34
	v_cmpx_ne_u64_e32 0, v[0:1]
	s_xor_b32 s29, exec_lo, s29
; %bb.2054:                             ;   in Loop: Header=BB6_130 Depth=2
	v_or_b32_e32 v34, 0x7f, v3
                                        ; implicit-def: $vgpr2
; %bb.2055:                             ;   in Loop: Header=BB6_130 Depth=2
	s_and_not1_saveexec_b32 s29, s29
; %bb.2056:                             ;   in Loop: Header=BB6_130 Depth=2
	v_cmp_lt_i32_e32 vcc_lo, -1, v2
	v_mov_b32_e32 v0, 0x7c
	s_delay_alu instid0(VALU_DEP_1)
	v_cndmask_b32_e32 v34, 0xfc, v0, vcc_lo
; %bb.2057:                             ;   in Loop: Header=BB6_130 Depth=2
	s_or_b32 exec_lo, exec_lo, s29
.LBB6_2058:                             ;   in Loop: Header=BB6_130 Depth=2
	s_delay_alu instid0(SALU_CYCLE_1)
	s_or_b32 exec_lo, exec_lo, s10
	s_clause 0x3
	global_load_b128 v[22:25], v[114:115], off th:TH_LOAD_NT
	global_load_b128 v[18:21], v[114:115], off offset:512 th:TH_LOAD_NT
	global_load_b128 v[14:17], v[114:115], off offset:1024 th:TH_LOAD_NT
	;; [unrolled: 1-line block ×3, first 2 shown]
	v_lshl_or_b32 v9, v9, 8, v7
	v_lshlrev_b32_e32 v0, 16, v28
	v_dual_mov_b32 v3, 0 :: v_dual_lshlrev_b32 v2, 24, v32
	s_mov_b32 s29, exec_lo
	s_delay_alu instid0(VALU_DEP_1)
	v_or3_b32 v0, v0, v2, v9
	v_mov_b32_e32 v2, 0
	s_wait_xcnt 0x0
	v_cmpx_ne_u32_e32 0, v7
	s_cbranch_execz .LBB6_2068
; %bb.2059:                             ;   in Loop: Header=BB6_130 Depth=2
	v_bfrev_b32_e32 v3, 1
	s_mov_b32 s40, exec_lo
	v_cmpx_ne_u32_e32 0x80, v7
	s_cbranch_execz .LBB6_2067
; %bb.2060:                             ;   in Loop: Header=BB6_130 Depth=2
	v_and_b32_e32 v3, 0x7c, v7
	v_and_b32_e32 v4, 3, v7
	s_delay_alu instid0(VALU_DEP_2) | instskip(SKIP_1) | instid1(SALU_CYCLE_1)
	v_cmp_ne_u32_e32 vcc_lo, 0x7c, v3
                                        ; implicit-def: $vgpr3
	s_and_saveexec_b32 s10, vcc_lo
	s_xor_b32 s10, exec_lo, s10
	s_cbranch_execz .LBB6_2064
; %bb.2061:                             ;   in Loop: Header=BB6_130 Depth=2
	v_bfe_u32 v3, v7, 2, 5
	s_mov_b32 s41, exec_lo
	s_delay_alu instid0(VALU_DEP_1)
	v_cmpx_eq_u32_e32 0, v3
; %bb.2062:                             ;   in Loop: Header=BB6_130 Depth=2
	v_clz_i32_u32_e32 v3, v4
	s_delay_alu instid0(VALU_DEP_1) | instskip(NEXT) | instid1(VALU_DEP_1)
	v_min_u32_e32 v3, 32, v3
	v_subrev_nc_u32_e32 v4, 29, v3
	s_delay_alu instid0(VALU_DEP_1) | instskip(NEXT) | instid1(VALU_DEP_1)
	v_lshlrev_b64_e32 v[4:5], v4, v[0:1]
	v_dual_sub_nc_u32 v3, 30, v3 :: v_dual_bitop2_b32 v4, 3, v4 bitop3:0x40
; %bb.2063:                             ;   in Loop: Header=BB6_130 Depth=2
	s_or_b32 exec_lo, exec_lo, s41
	v_lshlrev_b32_e32 v5, 24, v7
                                        ; implicit-def: $vgpr7
	s_delay_alu instid0(VALU_DEP_1) | instskip(NEXT) | instid1(VALU_DEP_1)
	v_and_b32_e32 v5, 0x80000000, v5
	v_lshl_add_u32 v3, v3, 23, v5
	s_delay_alu instid0(VALU_DEP_1) | instskip(NEXT) | instid1(VALU_DEP_1)
	v_lshl_or_b32 v3, v4, 21, v3
                                        ; implicit-def: $vgpr4
	v_add_nc_u32_e32 v3, 0x38000000, v3
.LBB6_2064:                             ;   in Loop: Header=BB6_130 Depth=2
	s_and_not1_saveexec_b32 s41, s10
; %bb.2065:                             ;   in Loop: Header=BB6_130 Depth=2
	v_and_b32_e32 v3, 0x80, v7
	v_cmp_eq_u32_e32 vcc_lo, 0, v4
	s_delay_alu instid0(VALU_DEP_2) | instskip(SKIP_1) | instid1(VALU_DEP_1)
	v_cmp_eq_u32_e64 s10, 0, v3
	v_mov_b32_e32 v3, 0x7f800000
	v_cndmask_b32_e64 v3, 0xff800000, v3, s10
	s_delay_alu instid0(VALU_DEP_1)
	v_cndmask_b32_e32 v3, 0x7f800001, v3, vcc_lo
; %bb.2066:                             ;   in Loop: Header=BB6_130 Depth=2
	s_or_b32 exec_lo, exec_lo, s41
.LBB6_2067:                             ;   in Loop: Header=BB6_130 Depth=2
	s_delay_alu instid0(SALU_CYCLE_1)
	s_or_b32 exec_lo, exec_lo, s40
.LBB6_2068:                             ;   in Loop: Header=BB6_130 Depth=2
	s_delay_alu instid0(SALU_CYCLE_1) | instskip(SKIP_3) | instid1(VALU_DEP_1)
	s_or_b32 exec_lo, exec_lo, s29
	s_wait_loadcnt 0x3
	v_and_b32_e32 v4, 0xff, v22
	s_mov_b32 s29, exec_lo
	v_cmpx_ne_u16_e32 0, v4
	s_cbranch_execz .LBB6_2078
; %bb.2069:                             ;   in Loop: Header=BB6_130 Depth=2
	v_bfe_i32 v5, v22, 0, 8
	v_bfrev_b32_e32 v2, 1
	s_mov_b32 s40, exec_lo
	s_delay_alu instid0(VALU_DEP_2)
	v_cmpx_ne_u16_e32 0xff80, v5
	s_cbranch_execz .LBB6_2077
; %bb.2070:                             ;   in Loop: Header=BB6_130 Depth=2
	v_and_b32_e32 v2, 0x7c, v22
	v_and_b32_e32 v4, 3, v22
	s_delay_alu instid0(VALU_DEP_2) | instskip(SKIP_1) | instid1(SALU_CYCLE_1)
	v_cmp_ne_u32_e32 vcc_lo, 0x7c, v2
                                        ; implicit-def: $vgpr2
	s_and_saveexec_b32 s10, vcc_lo
	s_xor_b32 s10, exec_lo, s10
	s_cbranch_execz .LBB6_2074
; %bb.2071:                             ;   in Loop: Header=BB6_130 Depth=2
	v_bfe_u32 v2, v22, 2, 5
	s_mov_b32 s41, exec_lo
	s_delay_alu instid0(VALU_DEP_1)
	v_cmpx_eq_u32_e32 0, v2
; %bb.2072:                             ;   in Loop: Header=BB6_130 Depth=2
	v_clz_i32_u32_e32 v2, v4
	s_delay_alu instid0(VALU_DEP_1) | instskip(NEXT) | instid1(VALU_DEP_1)
	v_min_u32_e32 v2, 32, v2
	v_subrev_nc_u32_e32 v4, 29, v2
	s_delay_alu instid0(VALU_DEP_1) | instskip(NEXT) | instid1(VALU_DEP_1)
	v_lshlrev_b64_e32 v[4:5], v4, v[22:23]
	v_dual_sub_nc_u32 v2, 30, v2 :: v_dual_bitop2_b32 v4, 3, v4 bitop3:0x40
; %bb.2073:                             ;   in Loop: Header=BB6_130 Depth=2
	s_or_b32 exec_lo, exec_lo, s41
	v_lshlrev_b32_e32 v5, 24, v22
	s_delay_alu instid0(VALU_DEP_1) | instskip(NEXT) | instid1(VALU_DEP_1)
	v_and_b32_e32 v5, 0x80000000, v5
	v_lshl_add_u32 v2, v2, 23, v5
                                        ; implicit-def: $vgpr5
	s_delay_alu instid0(VALU_DEP_1) | instskip(NEXT) | instid1(VALU_DEP_1)
	v_lshl_or_b32 v2, v4, 21, v2
                                        ; implicit-def: $vgpr4
	v_add_nc_u32_e32 v2, 0x38000000, v2
.LBB6_2074:                             ;   in Loop: Header=BB6_130 Depth=2
	s_and_not1_saveexec_b32 s41, s10
; %bb.2075:                             ;   in Loop: Header=BB6_130 Depth=2
	v_cmp_lt_i16_e64 s10, -1, v5
	v_mov_b32_e32 v2, 0x7f800000
	v_cmp_eq_u32_e32 vcc_lo, 0, v4
	s_delay_alu instid0(VALU_DEP_2) | instskip(NEXT) | instid1(VALU_DEP_1)
	v_cndmask_b32_e64 v2, 0xff800000, v2, s10
	v_cndmask_b32_e32 v2, 0x7f800001, v2, vcc_lo
; %bb.2076:                             ;   in Loop: Header=BB6_130 Depth=2
	s_or_b32 exec_lo, exec_lo, s41
.LBB6_2077:                             ;   in Loop: Header=BB6_130 Depth=2
	s_delay_alu instid0(SALU_CYCLE_1)
	s_or_b32 exec_lo, exec_lo, s40
.LBB6_2078:                             ;   in Loop: Header=BB6_130 Depth=2
	s_delay_alu instid0(SALU_CYCLE_1) | instskip(NEXT) | instid1(VALU_DEP_1)
	s_or_b32 exec_lo, exec_lo, s29
	v_dual_add_f32 v4, v3, v2 :: v_dual_mov_b32 v75, v1
	v_mov_b32_e32 v3, v1
                                        ; implicit-def: $vgpr7
	s_mov_b32 s10, exec_lo
	s_delay_alu instid0(VALU_DEP_2) | instskip(SKIP_2) | instid1(VALU_DEP_3)
	v_and_b32_e32 v74, 0x7f800000, v4
	v_and_b32_e32 v2, 0x7fffff, v4
	v_lshrrev_b32_e32 v5, 24, v4
	v_cmpx_ne_u64_e32 0x7f800000, v[74:75]
	s_xor_b32 s29, exec_lo, s10
	s_cbranch_execz .LBB6_2092
; %bb.2079:                             ;   in Loop: Header=BB6_130 Depth=2
	v_and_b32_e32 v74, 0x7fffffff, v4
	v_mov_b32_e32 v75, v1
	v_and_b32_e32 v28, 0x80, v5
                                        ; implicit-def: $vgpr7
	s_mov_b32 s10, exec_lo
	s_delay_alu instid0(VALU_DEP_2)
	v_cmpx_gt_u64_e32 0x47600001, v[74:75]
	s_xor_b32 s40, exec_lo, s10
	s_cbranch_execz .LBB6_2089
; %bb.2080:                             ;   in Loop: Header=BB6_130 Depth=2
	v_mov_b32_e32 v7, 0
	s_mov_b32 s41, exec_lo
	v_cmpx_ne_u32_e32 0, v4
	s_cbranch_execz .LBB6_2088
; %bb.2081:                             ;   in Loop: Header=BB6_130 Depth=2
	v_bfe_u32 v7, v4, 23, 8
	v_or_b32_e32 v5, 0x800000, v2
	s_delay_alu instid0(VALU_DEP_2) | instskip(SKIP_2) | instid1(VALU_DEP_2)
	v_cmp_gt_u32_e64 s10, 0x72, v7
	v_sub_nc_u32_e32 v4, 0x71, v7
	v_cmp_eq_u32_e32 vcc_lo, 0, v7
	v_dual_cndmask_b32 v4, 0, v4, s10 :: v_dual_cndmask_b32 v2, v5, v2, vcc_lo
	s_delay_alu instid0(VALU_DEP_1) | instskip(NEXT) | instid1(VALU_DEP_1)
	v_cndmask_b32_e64 v32, v4, 0x70, vcc_lo
	v_dual_add_nc_u32 v4, 21, v32 :: v_dual_add_nc_u32 v73, 20, v32
	s_delay_alu instid0(VALU_DEP_1) | instskip(NEXT) | instid1(VALU_DEP_2)
	v_lshlrev_b64_e64 v[4:5], v4, -1
	v_lshlrev_b64_e64 v[74:75], v73, 1
	s_delay_alu instid0(VALU_DEP_2) | instskip(SKIP_1) | instid1(VALU_DEP_4)
	v_bfi_b32 v4, v4, 0, v2
	v_lshrrev_b64 v[2:3], v32, v[2:3]
	v_bfi_b32 v5, v5, 0, 0
	s_delay_alu instid0(VALU_DEP_1) | instskip(NEXT) | instid1(VALU_DEP_3)
	v_cmp_eq_u64_e64 s10, v[4:5], v[74:75]
	v_mov_b64_e32 v[4:5], v[2:3]
	s_and_saveexec_b32 s42, s10
; %bb.2082:                             ;   in Loop: Header=BB6_130 Depth=2
	v_bfe_u32 v4, v2, 21, 1
	v_mov_b32_e32 v5, v1
	s_delay_alu instid0(VALU_DEP_1) | instskip(NEXT) | instid1(VALU_DEP_1)
	v_add_nc_u64_e32 v[4:5], v[2:3], v[4:5]
	v_add_nc_u64_e32 v[4:5], -1, v[4:5]
; %bb.2083:                             ;   in Loop: Header=BB6_130 Depth=2
	s_or_b32 exec_lo, exec_lo, s42
	v_add_nc_u32_e32 v3, 0xffffff81, v7
	v_lshrrev_b32_e32 v5, 23, v2
	s_mov_b32 s10, exec_lo
	s_delay_alu instid0(VALU_DEP_2) | instskip(NEXT) | instid1(VALU_DEP_1)
	v_cndmask_b32_e64 v3, v3, 0xffffff82, vcc_lo
	v_add3_u32 v7, v32, v3, v5
	v_and_b32_e32 v3, 0x1fffff, v4
                                        ; implicit-def: $vgpr4
	s_delay_alu instid0(VALU_DEP_1) | instskip(SKIP_1) | instid1(VALU_DEP_2)
	v_dual_add_nc_u32 v5, 14, v7 :: v_dual_add_nc_u32 v2, v3, v2
	v_mov_b32_e32 v3, v1
	v_cmpx_ne_u32_e32 0, v5
	s_xor_b32 s10, exec_lo, s10
; %bb.2084:                             ;   in Loop: Header=BB6_130 Depth=2
	s_delay_alu instid0(VALU_DEP_2) | instskip(SKIP_1) | instid1(VALU_DEP_1)
	v_cmp_lt_u64_e32 vcc_lo, 0xffffff, v[2:3]
	v_add_nc_u32_e32 v4, 15, v7
	v_cndmask_b32_e32 v4, v5, v4, vcc_lo
	v_cndmask_b32_e64 v5, 0, 1, vcc_lo
	s_delay_alu instid0(VALU_DEP_1)
	v_lshrrev_b64 v[2:3], v5, v[2:3]
; %bb.2085:                             ;   in Loop: Header=BB6_130 Depth=2
	s_and_not1_saveexec_b32 s10, s10
; %bb.2086:                             ;   in Loop: Header=BB6_130 Depth=2
	s_delay_alu instid0(VALU_DEP_1)
	v_bfe_u32 v4, v2, 23, 1
; %bb.2087:                             ;   in Loop: Header=BB6_130 Depth=2
	s_or_b32 exec_lo, exec_lo, s10
	s_delay_alu instid0(VALU_DEP_2) | instskip(NEXT) | instid1(VALU_DEP_2)
	v_lshrrev_b64 v[2:3], 21, v[2:3]
	v_cmp_gt_i32_e32 vcc_lo, 32, v4
	v_min_i32_e32 v5, 31, v4
	v_cmp_eq_u32_e64 s10, 0, v4
	s_delay_alu instid0(VALU_DEP_2) | instskip(SKIP_1) | instid1(VALU_DEP_2)
	v_dual_cndmask_b32 v3, 0, v3, vcc_lo :: v_dual_lshlrev_b32 v5, 2, v5
	v_cndmask_b32_e32 v2, 3, v2, vcc_lo
	v_and_b32_e32 v5, 0xfc, v5
	s_delay_alu instid0(VALU_DEP_2) | instskip(NEXT) | instid1(VALU_DEP_2)
	v_cmp_eq_u64_e32 vcc_lo, 0, v[2:3]
	v_and_or_b32 v2, v2, 3, v5
	s_and_b32 s10, s10, vcc_lo
	s_delay_alu instid0(VALU_DEP_1) | instid1(SALU_CYCLE_1)
	v_cndmask_b32_e64 v2, v2, 0, s10
	s_delay_alu instid0(VALU_DEP_1)
	v_or_b32_e32 v7, v2, v28
.LBB6_2088:                             ;   in Loop: Header=BB6_130 Depth=2
	s_or_b32 exec_lo, exec_lo, s41
                                        ; implicit-def: $vgpr28
.LBB6_2089:                             ;   in Loop: Header=BB6_130 Depth=2
	s_and_not1_saveexec_b32 s10, s40
; %bb.2090:                             ;   in Loop: Header=BB6_130 Depth=2
	v_or_b32_e32 v7, 0x7b, v28
; %bb.2091:                             ;   in Loop: Header=BB6_130 Depth=2
	s_or_b32 exec_lo, exec_lo, s10
                                        ; implicit-def: $vgpr4
                                        ; implicit-def: $vgpr2_vgpr3
                                        ; implicit-def: $vgpr5
.LBB6_2092:                             ;   in Loop: Header=BB6_130 Depth=2
	s_and_not1_saveexec_b32 s10, s29
	s_cbranch_execz .LBB6_2098
; %bb.2093:                             ;   in Loop: Header=BB6_130 Depth=2
	s_mov_b32 s29, exec_lo
                                        ; implicit-def: $vgpr7
	v_cmpx_ne_u64_e32 0, v[2:3]
	s_xor_b32 s29, exec_lo, s29
; %bb.2094:                             ;   in Loop: Header=BB6_130 Depth=2
	v_or_b32_e32 v7, 0x7f, v5
                                        ; implicit-def: $vgpr4
; %bb.2095:                             ;   in Loop: Header=BB6_130 Depth=2
	s_and_not1_saveexec_b32 s29, s29
; %bb.2096:                             ;   in Loop: Header=BB6_130 Depth=2
	v_cmp_lt_i32_e32 vcc_lo, -1, v4
	v_mov_b32_e32 v2, 0x7c
	s_delay_alu instid0(VALU_DEP_1)
	v_cndmask_b32_e32 v7, 0xfc, v2, vcc_lo
; %bb.2097:                             ;   in Loop: Header=BB6_130 Depth=2
	s_or_b32 exec_lo, exec_lo, s29
.LBB6_2098:                             ;   in Loop: Header=BB6_130 Depth=2
	s_delay_alu instid0(SALU_CYCLE_1) | instskip(SKIP_3) | instid1(VALU_DEP_2)
	s_or_b32 exec_lo, exec_lo, s10
	v_lshrrev_b16 v2, 8, v9
	v_dual_mov_b32 v4, 0 :: v_dual_mov_b32 v5, 0
	s_mov_b32 s29, exec_lo
	v_cmpx_ne_u16_e32 0, v2
	s_cbranch_execz .LBB6_2108
; %bb.2099:                             ;   in Loop: Header=BB6_130 Depth=2
	v_bfrev_b32_e32 v5, 1
	s_mov_b32 s40, exec_lo
	v_cmpx_ne_u16_e32 0x80, v2
	s_cbranch_execz .LBB6_2107
; %bb.2100:                             ;   in Loop: Header=BB6_130 Depth=2
	v_and_b32_e32 v28, 0xffff, v2
	s_delay_alu instid0(VALU_DEP_1) | instskip(SKIP_1) | instid1(VALU_DEP_2)
	v_and_b32_e32 v5, 0x7c, v28
	v_and_b32_e32 v3, 3, v28
	v_cmp_ne_u32_e32 vcc_lo, 0x7c, v5
                                        ; implicit-def: $vgpr5
	s_and_saveexec_b32 s10, vcc_lo
	s_delay_alu instid0(SALU_CYCLE_1)
	s_xor_b32 s10, exec_lo, s10
	s_cbranch_execz .LBB6_2104
; %bb.2101:                             ;   in Loop: Header=BB6_130 Depth=2
	v_bfe_u32 v5, v28, 2, 5
	s_mov_b32 s41, exec_lo
	s_delay_alu instid0(VALU_DEP_1)
	v_cmpx_eq_u32_e32 0, v5
	s_cbranch_execz .LBB6_2103
; %bb.2102:                             ;   in Loop: Header=BB6_130 Depth=2
	v_clz_i32_u32_e32 v3, v3
	s_delay_alu instid0(VALU_DEP_1) | instskip(SKIP_1) | instid1(VALU_DEP_2)
	v_min_u32_e32 v5, 32, v3
	v_mov_b32_e32 v3, v1
	v_subrev_nc_u32_e32 v28, 29, v5
	v_sub_nc_u32_e32 v5, 30, v5
	s_delay_alu instid0(VALU_DEP_2) | instskip(NEXT) | instid1(VALU_DEP_1)
	v_lshlrev_b64_e32 v[2:3], v28, v[2:3]
	v_and_b32_e32 v3, 3, v2
.LBB6_2103:                             ;   in Loop: Header=BB6_130 Depth=2
	s_or_b32 exec_lo, exec_lo, s41
	v_lshlrev_b32_e32 v2, 16, v9
                                        ; implicit-def: $vgpr9
	s_delay_alu instid0(VALU_DEP_1) | instskip(NEXT) | instid1(VALU_DEP_1)
	v_and_b32_e32 v2, 0x80000000, v2
	v_lshl_add_u32 v2, v5, 23, v2
	s_delay_alu instid0(VALU_DEP_1) | instskip(NEXT) | instid1(VALU_DEP_1)
	v_lshl_or_b32 v2, v3, 21, v2
                                        ; implicit-def: $vgpr3
	v_add_nc_u32_e32 v5, 0x38000000, v2
.LBB6_2104:                             ;   in Loop: Header=BB6_130 Depth=2
	s_and_not1_saveexec_b32 s41, s10
; %bb.2105:                             ;   in Loop: Header=BB6_130 Depth=2
	v_cmp_lt_i16_e64 s10, -1, v9
	v_mov_b32_e32 v2, 0x7f800000
	v_cmp_eq_u32_e32 vcc_lo, 0, v3
	s_delay_alu instid0(VALU_DEP_2) | instskip(NEXT) | instid1(VALU_DEP_1)
	v_cndmask_b32_e64 v2, 0xff800000, v2, s10
	v_cndmask_b32_e32 v5, 0x7f800001, v2, vcc_lo
; %bb.2106:                             ;   in Loop: Header=BB6_130 Depth=2
	s_or_b32 exec_lo, exec_lo, s41
.LBB6_2107:                             ;   in Loop: Header=BB6_130 Depth=2
	s_delay_alu instid0(SALU_CYCLE_1)
	s_or_b32 exec_lo, exec_lo, s40
.LBB6_2108:                             ;   in Loop: Header=BB6_130 Depth=2
	s_delay_alu instid0(SALU_CYCLE_1) | instskip(SKIP_2) | instid1(VALU_DEP_1)
	s_or_b32 exec_lo, exec_lo, s29
	v_lshrrev_b16 v2, 8, v22
	s_mov_b32 s29, exec_lo
	v_cmpx_ne_u16_e32 0, v2
	s_cbranch_execz .LBB6_2118
; %bb.2109:                             ;   in Loop: Header=BB6_130 Depth=2
	v_bfrev_b32_e32 v4, 1
	s_mov_b32 s40, exec_lo
	v_cmpx_ne_u16_e32 0x80, v2
	s_cbranch_execz .LBB6_2117
; %bb.2110:                             ;   in Loop: Header=BB6_130 Depth=2
	v_and_b32_e32 v9, 0xffff, v2
	s_delay_alu instid0(VALU_DEP_1) | instskip(SKIP_1) | instid1(VALU_DEP_2)
	v_and_b32_e32 v4, 0x7c, v9
	v_and_b32_e32 v3, 3, v9
	v_cmp_ne_u32_e32 vcc_lo, 0x7c, v4
                                        ; implicit-def: $vgpr4
	s_and_saveexec_b32 s10, vcc_lo
	s_delay_alu instid0(SALU_CYCLE_1)
	s_xor_b32 s10, exec_lo, s10
	s_cbranch_execz .LBB6_2114
; %bb.2111:                             ;   in Loop: Header=BB6_130 Depth=2
	v_bfe_u32 v4, v9, 2, 5
	s_mov_b32 s41, exec_lo
	s_delay_alu instid0(VALU_DEP_1)
	v_cmpx_eq_u32_e32 0, v4
	s_cbranch_execz .LBB6_2113
; %bb.2112:                             ;   in Loop: Header=BB6_130 Depth=2
	v_clz_i32_u32_e32 v3, v3
	s_delay_alu instid0(VALU_DEP_1) | instskip(SKIP_1) | instid1(VALU_DEP_2)
	v_min_u32_e32 v4, 32, v3
	v_mov_b32_e32 v3, v1
	v_subrev_nc_u32_e32 v9, 29, v4
	v_sub_nc_u32_e32 v4, 30, v4
	s_delay_alu instid0(VALU_DEP_2) | instskip(NEXT) | instid1(VALU_DEP_1)
	v_lshlrev_b64_e32 v[2:3], v9, v[2:3]
	v_and_b32_e32 v3, 3, v2
.LBB6_2113:                             ;   in Loop: Header=BB6_130 Depth=2
	s_or_b32 exec_lo, exec_lo, s41
	v_lshlrev_b32_e32 v2, 16, v22
	s_delay_alu instid0(VALU_DEP_1) | instskip(NEXT) | instid1(VALU_DEP_1)
	v_and_b32_e32 v2, 0x80000000, v2
	v_lshl_add_u32 v2, v4, 23, v2
	s_delay_alu instid0(VALU_DEP_1) | instskip(NEXT) | instid1(VALU_DEP_1)
	v_lshl_or_b32 v2, v3, 21, v2
                                        ; implicit-def: $vgpr3
	v_add_nc_u32_e32 v4, 0x38000000, v2
.LBB6_2114:                             ;   in Loop: Header=BB6_130 Depth=2
	s_and_not1_saveexec_b32 s41, s10
; %bb.2115:                             ;   in Loop: Header=BB6_130 Depth=2
	v_cmp_lt_i16_e64 s10, -1, v22
	v_mov_b32_e32 v2, 0x7f800000
	v_cmp_eq_u32_e32 vcc_lo, 0, v3
	s_delay_alu instid0(VALU_DEP_2) | instskip(NEXT) | instid1(VALU_DEP_1)
	v_cndmask_b32_e64 v2, 0xff800000, v2, s10
	v_cndmask_b32_e32 v4, 0x7f800001, v2, vcc_lo
; %bb.2116:                             ;   in Loop: Header=BB6_130 Depth=2
	s_or_b32 exec_lo, exec_lo, s41
.LBB6_2117:                             ;   in Loop: Header=BB6_130 Depth=2
	s_delay_alu instid0(SALU_CYCLE_1)
	s_or_b32 exec_lo, exec_lo, s40
.LBB6_2118:                             ;   in Loop: Header=BB6_130 Depth=2
	s_delay_alu instid0(SALU_CYCLE_1) | instskip(NEXT) | instid1(VALU_DEP_1)
	s_or_b32 exec_lo, exec_lo, s29
	v_add_f32_e32 v4, v5, v4
	v_dual_mov_b32 v75, v1 :: v_dual_mov_b32 v3, v1
                                        ; implicit-def: $vgpr9
	s_mov_b32 s10, exec_lo
	s_delay_alu instid0(VALU_DEP_2) | instskip(SKIP_2) | instid1(VALU_DEP_3)
	v_and_b32_e32 v74, 0x7f800000, v4
	v_and_b32_e32 v2, 0x7fffff, v4
	v_lshrrev_b32_e32 v5, 24, v4
	v_cmpx_ne_u64_e32 0x7f800000, v[74:75]
	s_xor_b32 s29, exec_lo, s10
	s_cbranch_execz .LBB6_2132
; %bb.2119:                             ;   in Loop: Header=BB6_130 Depth=2
	v_and_b32_e32 v74, 0x7fffffff, v4
	v_mov_b32_e32 v75, v1
	v_and_b32_e32 v28, 0x80, v5
                                        ; implicit-def: $vgpr9
	s_mov_b32 s10, exec_lo
	s_delay_alu instid0(VALU_DEP_2)
	v_cmpx_gt_u64_e32 0x47600001, v[74:75]
	s_xor_b32 s40, exec_lo, s10
	s_cbranch_execz .LBB6_2129
; %bb.2120:                             ;   in Loop: Header=BB6_130 Depth=2
	v_mov_b32_e32 v9, 0
	s_mov_b32 s41, exec_lo
	v_cmpx_ne_u32_e32 0, v4
	s_cbranch_execz .LBB6_2128
; %bb.2121:                             ;   in Loop: Header=BB6_130 Depth=2
	v_bfe_u32 v9, v4, 23, 8
	v_or_b32_e32 v5, 0x800000, v2
	s_delay_alu instid0(VALU_DEP_2) | instskip(SKIP_2) | instid1(VALU_DEP_2)
	v_cmp_gt_u32_e64 s10, 0x72, v9
	v_sub_nc_u32_e32 v4, 0x71, v9
	v_cmp_eq_u32_e32 vcc_lo, 0, v9
	v_dual_cndmask_b32 v4, 0, v4, s10 :: v_dual_cndmask_b32 v2, v5, v2, vcc_lo
	s_delay_alu instid0(VALU_DEP_1) | instskip(NEXT) | instid1(VALU_DEP_1)
	v_cndmask_b32_e64 v32, v4, 0x70, vcc_lo
	v_dual_add_nc_u32 v4, 21, v32 :: v_dual_add_nc_u32 v73, 20, v32
	s_delay_alu instid0(VALU_DEP_1) | instskip(NEXT) | instid1(VALU_DEP_2)
	v_lshlrev_b64_e64 v[4:5], v4, -1
	v_lshlrev_b64_e64 v[74:75], v73, 1
	s_delay_alu instid0(VALU_DEP_2) | instskip(SKIP_1) | instid1(VALU_DEP_4)
	v_bfi_b32 v4, v4, 0, v2
	v_lshrrev_b64 v[2:3], v32, v[2:3]
	v_bfi_b32 v5, v5, 0, 0
	s_delay_alu instid0(VALU_DEP_1) | instskip(NEXT) | instid1(VALU_DEP_3)
	v_cmp_eq_u64_e64 s10, v[4:5], v[74:75]
	v_mov_b64_e32 v[4:5], v[2:3]
	s_and_saveexec_b32 s42, s10
; %bb.2122:                             ;   in Loop: Header=BB6_130 Depth=2
	v_bfe_u32 v4, v2, 21, 1
	v_mov_b32_e32 v5, v1
	s_delay_alu instid0(VALU_DEP_1) | instskip(NEXT) | instid1(VALU_DEP_1)
	v_add_nc_u64_e32 v[4:5], v[2:3], v[4:5]
	v_add_nc_u64_e32 v[4:5], -1, v[4:5]
; %bb.2123:                             ;   in Loop: Header=BB6_130 Depth=2
	s_or_b32 exec_lo, exec_lo, s42
	v_add_nc_u32_e32 v3, 0xffffff81, v9
	v_lshrrev_b32_e32 v5, 23, v2
	s_mov_b32 s10, exec_lo
	s_delay_alu instid0(VALU_DEP_2) | instskip(NEXT) | instid1(VALU_DEP_1)
	v_cndmask_b32_e64 v3, v3, 0xffffff82, vcc_lo
	v_add3_u32 v9, v32, v3, v5
	v_and_b32_e32 v3, 0x1fffff, v4
                                        ; implicit-def: $vgpr4
	s_delay_alu instid0(VALU_DEP_1) | instskip(SKIP_1) | instid1(VALU_DEP_2)
	v_dual_add_nc_u32 v5, 14, v9 :: v_dual_add_nc_u32 v2, v3, v2
	v_mov_b32_e32 v3, v1
	v_cmpx_ne_u32_e32 0, v5
	s_xor_b32 s10, exec_lo, s10
; %bb.2124:                             ;   in Loop: Header=BB6_130 Depth=2
	s_delay_alu instid0(VALU_DEP_2) | instskip(SKIP_1) | instid1(VALU_DEP_1)
	v_cmp_lt_u64_e32 vcc_lo, 0xffffff, v[2:3]
	v_add_nc_u32_e32 v4, 15, v9
	v_cndmask_b32_e32 v4, v5, v4, vcc_lo
	v_cndmask_b32_e64 v5, 0, 1, vcc_lo
	s_delay_alu instid0(VALU_DEP_1)
	v_lshrrev_b64 v[2:3], v5, v[2:3]
; %bb.2125:                             ;   in Loop: Header=BB6_130 Depth=2
	s_and_not1_saveexec_b32 s10, s10
; %bb.2126:                             ;   in Loop: Header=BB6_130 Depth=2
	s_delay_alu instid0(VALU_DEP_1)
	v_bfe_u32 v4, v2, 23, 1
; %bb.2127:                             ;   in Loop: Header=BB6_130 Depth=2
	s_or_b32 exec_lo, exec_lo, s10
	s_delay_alu instid0(VALU_DEP_2) | instskip(NEXT) | instid1(VALU_DEP_2)
	v_lshrrev_b64 v[2:3], 21, v[2:3]
	v_cmp_gt_i32_e32 vcc_lo, 32, v4
	v_min_i32_e32 v5, 31, v4
	v_cmp_eq_u32_e64 s10, 0, v4
	s_delay_alu instid0(VALU_DEP_2) | instskip(SKIP_1) | instid1(VALU_DEP_2)
	v_dual_cndmask_b32 v3, 0, v3, vcc_lo :: v_dual_lshlrev_b32 v5, 2, v5
	v_cndmask_b32_e32 v2, 3, v2, vcc_lo
	v_and_b32_e32 v5, 0xfc, v5
	s_delay_alu instid0(VALU_DEP_2) | instskip(NEXT) | instid1(VALU_DEP_2)
	v_cmp_eq_u64_e32 vcc_lo, 0, v[2:3]
	v_and_or_b32 v2, v2, 3, v5
	s_and_b32 s10, s10, vcc_lo
	s_delay_alu instid0(VALU_DEP_1) | instid1(SALU_CYCLE_1)
	v_cndmask_b32_e64 v2, v2, 0, s10
	s_delay_alu instid0(VALU_DEP_1)
	v_or_b32_e32 v9, v2, v28
.LBB6_2128:                             ;   in Loop: Header=BB6_130 Depth=2
	s_or_b32 exec_lo, exec_lo, s41
                                        ; implicit-def: $vgpr28
.LBB6_2129:                             ;   in Loop: Header=BB6_130 Depth=2
	s_and_not1_saveexec_b32 s10, s40
; %bb.2130:                             ;   in Loop: Header=BB6_130 Depth=2
	v_or_b32_e32 v9, 0x7b, v28
; %bb.2131:                             ;   in Loop: Header=BB6_130 Depth=2
	s_or_b32 exec_lo, exec_lo, s10
                                        ; implicit-def: $vgpr4
                                        ; implicit-def: $vgpr2_vgpr3
                                        ; implicit-def: $vgpr5
.LBB6_2132:                             ;   in Loop: Header=BB6_130 Depth=2
	s_and_not1_saveexec_b32 s10, s29
	s_cbranch_execz .LBB6_2138
; %bb.2133:                             ;   in Loop: Header=BB6_130 Depth=2
	s_mov_b32 s29, exec_lo
                                        ; implicit-def: $vgpr9
	v_cmpx_ne_u64_e32 0, v[2:3]
	s_xor_b32 s29, exec_lo, s29
; %bb.2134:                             ;   in Loop: Header=BB6_130 Depth=2
	v_or_b32_e32 v9, 0x7f, v5
                                        ; implicit-def: $vgpr4
; %bb.2135:                             ;   in Loop: Header=BB6_130 Depth=2
	s_and_not1_saveexec_b32 s29, s29
; %bb.2136:                             ;   in Loop: Header=BB6_130 Depth=2
	v_cmp_lt_i32_e32 vcc_lo, -1, v4
	v_mov_b32_e32 v2, 0x7c
	s_delay_alu instid0(VALU_DEP_1)
	v_cndmask_b32_e32 v9, 0xfc, v2, vcc_lo
; %bb.2137:                             ;   in Loop: Header=BB6_130 Depth=2
	s_or_b32 exec_lo, exec_lo, s29
.LBB6_2138:                             ;   in Loop: Header=BB6_130 Depth=2
	s_delay_alu instid0(SALU_CYCLE_1) | instskip(SKIP_3) | instid1(VALU_DEP_2)
	s_or_b32 exec_lo, exec_lo, s10
	v_dual_mov_b32 v3, 0 :: v_dual_lshrrev_b32 v2, 16, v0
	v_mov_b32_e32 v4, 0
	s_mov_b32 s29, exec_lo
	v_and_b32_e32 v5, 0xff, v2
	s_delay_alu instid0(VALU_DEP_1)
	v_cmpx_ne_u16_e32 0, v5
	s_cbranch_execz .LBB6_2148
; %bb.2139:                             ;   in Loop: Header=BB6_130 Depth=2
	v_bfrev_b32_e32 v4, 1
	s_mov_b32 s40, exec_lo
	v_cmpx_ne_u16_e32 0x80, v5
	s_cbranch_execz .LBB6_2147
; %bb.2140:                             ;   in Loop: Header=BB6_130 Depth=2
	v_and_b32_e32 v4, 0x7c0000, v0
	v_bfe_u32 v5, v0, 16, 2
	s_delay_alu instid0(VALU_DEP_2) | instskip(SKIP_1) | instid1(SALU_CYCLE_1)
	v_cmp_ne_u32_e32 vcc_lo, 0x7c0000, v4
                                        ; implicit-def: $vgpr4
	s_and_saveexec_b32 s10, vcc_lo
	s_xor_b32 s10, exec_lo, s10
	s_cbranch_execz .LBB6_2144
; %bb.2141:                             ;   in Loop: Header=BB6_130 Depth=2
	v_bfe_u32 v4, v0, 18, 5
	s_mov_b32 s41, exec_lo
	s_delay_alu instid0(VALU_DEP_1)
	v_cmpx_eq_u32_e32 0, v4
; %bb.2142:                             ;   in Loop: Header=BB6_130 Depth=2
	v_clz_i32_u32_e32 v4, v5
	s_delay_alu instid0(VALU_DEP_1) | instskip(NEXT) | instid1(VALU_DEP_1)
	v_min_u32_e32 v4, 32, v4
	v_subrev_nc_u32_e32 v5, 29, v4
	s_delay_alu instid0(VALU_DEP_1) | instskip(NEXT) | instid1(VALU_DEP_1)
	v_lshlrev_b64_e32 v[74:75], v5, v[2:3]
	v_dual_sub_nc_u32 v4, 30, v4 :: v_dual_bitop2_b32 v5, 3, v74 bitop3:0x40
; %bb.2143:                             ;   in Loop: Header=BB6_130 Depth=2
	s_or_b32 exec_lo, exec_lo, s41
	v_lshlrev_b32_e32 v2, 24, v2
	s_delay_alu instid0(VALU_DEP_1) | instskip(NEXT) | instid1(VALU_DEP_1)
	v_and_b32_e32 v2, 0x80000000, v2
	v_lshl_add_u32 v2, v4, 23, v2
	s_delay_alu instid0(VALU_DEP_1) | instskip(NEXT) | instid1(VALU_DEP_1)
	v_lshl_or_b32 v2, v5, 21, v2
                                        ; implicit-def: $vgpr5
	v_add_nc_u32_e32 v4, 0x38000000, v2
                                        ; implicit-def: $vgpr2
.LBB6_2144:                             ;   in Loop: Header=BB6_130 Depth=2
	s_and_not1_saveexec_b32 s41, s10
; %bb.2145:                             ;   in Loop: Header=BB6_130 Depth=2
	v_bfe_i32 v2, v2, 0, 8
	v_cmp_eq_u32_e32 vcc_lo, 0, v5
	s_delay_alu instid0(VALU_DEP_2) | instskip(SKIP_1) | instid1(VALU_DEP_1)
	v_cmp_lt_i16_e64 s10, -1, v2
	v_mov_b32_e32 v2, 0x7f800000
	v_cndmask_b32_e64 v2, 0xff800000, v2, s10
	s_delay_alu instid0(VALU_DEP_1)
	v_cndmask_b32_e32 v4, 0x7f800001, v2, vcc_lo
; %bb.2146:                             ;   in Loop: Header=BB6_130 Depth=2
	s_or_b32 exec_lo, exec_lo, s41
.LBB6_2147:                             ;   in Loop: Header=BB6_130 Depth=2
	s_delay_alu instid0(SALU_CYCLE_1)
	s_or_b32 exec_lo, exec_lo, s40
.LBB6_2148:                             ;   in Loop: Header=BB6_130 Depth=2
	s_delay_alu instid0(SALU_CYCLE_1) | instskip(SKIP_2) | instid1(VALU_DEP_1)
	s_or_b32 exec_lo, exec_lo, s29
	v_lshrrev_b32_e32 v2, 16, v22
	s_mov_b32 s29, exec_lo
	v_and_b32_e32 v5, 0xff, v2
	s_delay_alu instid0(VALU_DEP_1)
	v_cmpx_ne_u16_e32 0, v5
	s_cbranch_execz .LBB6_2158
; %bb.2149:                             ;   in Loop: Header=BB6_130 Depth=2
	v_bfrev_b32_e32 v3, 1
	s_mov_b32 s40, exec_lo
	v_cmpx_ne_u16_e32 0x80, v5
	s_cbranch_execz .LBB6_2157
; %bb.2150:                             ;   in Loop: Header=BB6_130 Depth=2
	v_and_b32_e32 v3, 0x7c0000, v22
	v_bfe_u32 v5, v22, 16, 2
	s_delay_alu instid0(VALU_DEP_2) | instskip(SKIP_1) | instid1(SALU_CYCLE_1)
	v_cmp_ne_u32_e32 vcc_lo, 0x7c0000, v3
                                        ; implicit-def: $vgpr3
	s_and_saveexec_b32 s10, vcc_lo
	s_xor_b32 s10, exec_lo, s10
	s_cbranch_execz .LBB6_2154
; %bb.2151:                             ;   in Loop: Header=BB6_130 Depth=2
	v_bfe_u32 v3, v22, 18, 5
	s_mov_b32 s41, exec_lo
	s_delay_alu instid0(VALU_DEP_1)
	v_cmpx_eq_u32_e32 0, v3
; %bb.2152:                             ;   in Loop: Header=BB6_130 Depth=2
	v_clz_i32_u32_e32 v3, v5
	s_delay_alu instid0(VALU_DEP_1) | instskip(NEXT) | instid1(VALU_DEP_1)
	v_min_u32_e32 v3, 32, v3
	v_subrev_nc_u32_e32 v5, 29, v3
	s_delay_alu instid0(VALU_DEP_1) | instskip(NEXT) | instid1(VALU_DEP_1)
	v_lshlrev_b64_e32 v[74:75], v5, v[2:3]
	v_dual_sub_nc_u32 v3, 30, v3 :: v_dual_bitop2_b32 v5, 3, v74 bitop3:0x40
; %bb.2153:                             ;   in Loop: Header=BB6_130 Depth=2
	s_or_b32 exec_lo, exec_lo, s41
	v_lshlrev_b32_e32 v2, 24, v2
	s_delay_alu instid0(VALU_DEP_1) | instskip(NEXT) | instid1(VALU_DEP_1)
	v_and_b32_e32 v2, 0x80000000, v2
	v_lshl_add_u32 v2, v3, 23, v2
	s_delay_alu instid0(VALU_DEP_1) | instskip(NEXT) | instid1(VALU_DEP_1)
	v_lshl_or_b32 v2, v5, 21, v2
                                        ; implicit-def: $vgpr5
	v_add_nc_u32_e32 v3, 0x38000000, v2
                                        ; implicit-def: $vgpr2
.LBB6_2154:                             ;   in Loop: Header=BB6_130 Depth=2
	s_and_not1_saveexec_b32 s41, s10
; %bb.2155:                             ;   in Loop: Header=BB6_130 Depth=2
	v_bfe_i32 v2, v2, 0, 8
	v_cmp_eq_u32_e32 vcc_lo, 0, v5
	s_delay_alu instid0(VALU_DEP_2) | instskip(SKIP_1) | instid1(VALU_DEP_1)
	v_cmp_lt_i16_e64 s10, -1, v2
	v_mov_b32_e32 v2, 0x7f800000
	v_cndmask_b32_e64 v2, 0xff800000, v2, s10
	s_delay_alu instid0(VALU_DEP_1)
	v_cndmask_b32_e32 v3, 0x7f800001, v2, vcc_lo
; %bb.2156:                             ;   in Loop: Header=BB6_130 Depth=2
	s_or_b32 exec_lo, exec_lo, s41
.LBB6_2157:                             ;   in Loop: Header=BB6_130 Depth=2
	s_delay_alu instid0(SALU_CYCLE_1)
	s_or_b32 exec_lo, exec_lo, s40
.LBB6_2158:                             ;   in Loop: Header=BB6_130 Depth=2
	s_delay_alu instid0(SALU_CYCLE_1) | instskip(NEXT) | instid1(VALU_DEP_1)
	s_or_b32 exec_lo, exec_lo, s29
	v_dual_add_f32 v4, v4, v3 :: v_dual_mov_b32 v75, v1
	v_mov_b32_e32 v3, v1
                                        ; implicit-def: $vgpr28
	s_mov_b32 s10, exec_lo
	s_delay_alu instid0(VALU_DEP_2) | instskip(SKIP_2) | instid1(VALU_DEP_3)
	v_and_b32_e32 v74, 0x7f800000, v4
	v_and_b32_e32 v2, 0x7fffff, v4
	v_lshrrev_b32_e32 v5, 24, v4
	v_cmpx_ne_u64_e32 0x7f800000, v[74:75]
	s_xor_b32 s29, exec_lo, s10
	s_cbranch_execz .LBB6_2172
; %bb.2159:                             ;   in Loop: Header=BB6_130 Depth=2
	v_and_b32_e32 v74, 0x7fffffff, v4
	v_mov_b32_e32 v75, v1
	v_and_b32_e32 v32, 0x80, v5
                                        ; implicit-def: $vgpr28
	s_mov_b32 s10, exec_lo
	s_delay_alu instid0(VALU_DEP_2)
	v_cmpx_gt_u64_e32 0x47600001, v[74:75]
	s_xor_b32 s40, exec_lo, s10
	s_cbranch_execz .LBB6_2169
; %bb.2160:                             ;   in Loop: Header=BB6_130 Depth=2
	v_mov_b32_e32 v28, 0
	s_mov_b32 s41, exec_lo
	v_cmpx_ne_u32_e32 0, v4
	s_cbranch_execz .LBB6_2168
; %bb.2161:                             ;   in Loop: Header=BB6_130 Depth=2
	v_bfe_u32 v28, v4, 23, 8
	v_or_b32_e32 v5, 0x800000, v2
	s_delay_alu instid0(VALU_DEP_2) | instskip(SKIP_2) | instid1(VALU_DEP_2)
	v_cmp_gt_u32_e64 s10, 0x72, v28
	v_sub_nc_u32_e32 v4, 0x71, v28
	v_cmp_eq_u32_e32 vcc_lo, 0, v28
	v_dual_cndmask_b32 v4, 0, v4, s10 :: v_dual_cndmask_b32 v2, v5, v2, vcc_lo
	s_delay_alu instid0(VALU_DEP_1) | instskip(NEXT) | instid1(VALU_DEP_1)
	v_cndmask_b32_e64 v73, v4, 0x70, vcc_lo
	v_dual_add_nc_u32 v4, 21, v73 :: v_dual_add_nc_u32 v74, 20, v73
	s_delay_alu instid0(VALU_DEP_1) | instskip(NEXT) | instid1(VALU_DEP_2)
	v_lshlrev_b64_e64 v[4:5], v4, -1
	v_lshlrev_b64_e64 v[74:75], v74, 1
	s_delay_alu instid0(VALU_DEP_2) | instskip(SKIP_1) | instid1(VALU_DEP_4)
	v_bfi_b32 v4, v4, 0, v2
	v_lshrrev_b64 v[2:3], v73, v[2:3]
	v_bfi_b32 v5, v5, 0, 0
	s_delay_alu instid0(VALU_DEP_1) | instskip(NEXT) | instid1(VALU_DEP_3)
	v_cmp_eq_u64_e64 s10, v[4:5], v[74:75]
	v_mov_b64_e32 v[4:5], v[2:3]
	s_and_saveexec_b32 s42, s10
; %bb.2162:                             ;   in Loop: Header=BB6_130 Depth=2
	v_bfe_u32 v4, v2, 21, 1
	v_mov_b32_e32 v5, v1
	s_delay_alu instid0(VALU_DEP_1) | instskip(NEXT) | instid1(VALU_DEP_1)
	v_add_nc_u64_e32 v[4:5], v[2:3], v[4:5]
	v_add_nc_u64_e32 v[4:5], -1, v[4:5]
; %bb.2163:                             ;   in Loop: Header=BB6_130 Depth=2
	s_or_b32 exec_lo, exec_lo, s42
	v_add_nc_u32_e32 v3, 0xffffff81, v28
	v_lshrrev_b32_e32 v5, 23, v2
	s_mov_b32 s10, exec_lo
	s_delay_alu instid0(VALU_DEP_2) | instskip(NEXT) | instid1(VALU_DEP_1)
	v_cndmask_b32_e64 v3, v3, 0xffffff82, vcc_lo
	v_add3_u32 v28, v73, v3, v5
	v_and_b32_e32 v3, 0x1fffff, v4
                                        ; implicit-def: $vgpr4
	s_delay_alu instid0(VALU_DEP_1) | instskip(SKIP_1) | instid1(VALU_DEP_2)
	v_dual_add_nc_u32 v5, 14, v28 :: v_dual_add_nc_u32 v2, v3, v2
	v_mov_b32_e32 v3, v1
	v_cmpx_ne_u32_e32 0, v5
	s_xor_b32 s10, exec_lo, s10
; %bb.2164:                             ;   in Loop: Header=BB6_130 Depth=2
	s_delay_alu instid0(VALU_DEP_2) | instskip(SKIP_1) | instid1(VALU_DEP_1)
	v_cmp_lt_u64_e32 vcc_lo, 0xffffff, v[2:3]
	v_add_nc_u32_e32 v4, 15, v28
	v_cndmask_b32_e32 v4, v5, v4, vcc_lo
	v_cndmask_b32_e64 v5, 0, 1, vcc_lo
	s_delay_alu instid0(VALU_DEP_1)
	v_lshrrev_b64 v[2:3], v5, v[2:3]
; %bb.2165:                             ;   in Loop: Header=BB6_130 Depth=2
	s_and_not1_saveexec_b32 s10, s10
; %bb.2166:                             ;   in Loop: Header=BB6_130 Depth=2
	s_delay_alu instid0(VALU_DEP_1)
	v_bfe_u32 v4, v2, 23, 1
; %bb.2167:                             ;   in Loop: Header=BB6_130 Depth=2
	s_or_b32 exec_lo, exec_lo, s10
	s_delay_alu instid0(VALU_DEP_2) | instskip(NEXT) | instid1(VALU_DEP_2)
	v_lshrrev_b64 v[2:3], 21, v[2:3]
	v_cmp_gt_i32_e32 vcc_lo, 32, v4
	v_min_i32_e32 v5, 31, v4
	v_cmp_eq_u32_e64 s10, 0, v4
	s_delay_alu instid0(VALU_DEP_2) | instskip(SKIP_1) | instid1(VALU_DEP_2)
	v_dual_cndmask_b32 v3, 0, v3, vcc_lo :: v_dual_lshlrev_b32 v5, 2, v5
	v_cndmask_b32_e32 v2, 3, v2, vcc_lo
	v_and_b32_e32 v5, 0xfc, v5
	s_delay_alu instid0(VALU_DEP_2) | instskip(NEXT) | instid1(VALU_DEP_2)
	v_cmp_eq_u64_e32 vcc_lo, 0, v[2:3]
	v_and_or_b32 v2, v2, 3, v5
	s_and_b32 s10, s10, vcc_lo
	s_delay_alu instid0(VALU_DEP_1) | instid1(SALU_CYCLE_1)
	v_cndmask_b32_e64 v2, v2, 0, s10
	s_delay_alu instid0(VALU_DEP_1)
	v_or_b32_e32 v28, v2, v32
.LBB6_2168:                             ;   in Loop: Header=BB6_130 Depth=2
	s_or_b32 exec_lo, exec_lo, s41
                                        ; implicit-def: $vgpr32
.LBB6_2169:                             ;   in Loop: Header=BB6_130 Depth=2
	s_and_not1_saveexec_b32 s10, s40
; %bb.2170:                             ;   in Loop: Header=BB6_130 Depth=2
	v_or_b32_e32 v28, 0x7b, v32
; %bb.2171:                             ;   in Loop: Header=BB6_130 Depth=2
	s_or_b32 exec_lo, exec_lo, s10
                                        ; implicit-def: $vgpr4
                                        ; implicit-def: $vgpr2_vgpr3
                                        ; implicit-def: $vgpr5
.LBB6_2172:                             ;   in Loop: Header=BB6_130 Depth=2
	s_and_not1_saveexec_b32 s10, s29
	s_cbranch_execz .LBB6_2178
; %bb.2173:                             ;   in Loop: Header=BB6_130 Depth=2
	s_mov_b32 s29, exec_lo
                                        ; implicit-def: $vgpr28
	v_cmpx_ne_u64_e32 0, v[2:3]
	s_xor_b32 s29, exec_lo, s29
; %bb.2174:                             ;   in Loop: Header=BB6_130 Depth=2
	v_or_b32_e32 v28, 0x7f, v5
                                        ; implicit-def: $vgpr4
; %bb.2175:                             ;   in Loop: Header=BB6_130 Depth=2
	s_and_not1_saveexec_b32 s29, s29
; %bb.2176:                             ;   in Loop: Header=BB6_130 Depth=2
	v_cmp_lt_i32_e32 vcc_lo, -1, v4
	v_mov_b32_e32 v2, 0x7c
	s_delay_alu instid0(VALU_DEP_1)
	v_cndmask_b32_e32 v28, 0xfc, v2, vcc_lo
; %bb.2177:                             ;   in Loop: Header=BB6_130 Depth=2
	s_or_b32 exec_lo, exec_lo, s29
.LBB6_2178:                             ;   in Loop: Header=BB6_130 Depth=2
	s_delay_alu instid0(SALU_CYCLE_1)
	s_or_b32 exec_lo, exec_lo, s10
	v_dual_mov_b32 v3, 0 :: v_dual_mov_b32 v4, 0
	s_mov_b32 s29, exec_lo
	v_cmpx_lt_u32_e32 0xffffff, v0
	s_cbranch_execz .LBB6_2188
; %bb.2179:                             ;   in Loop: Header=BB6_130 Depth=2
	v_lshrrev_b32_e32 v2, 24, v0
	v_bfrev_b32_e32 v4, 1
	s_mov_b32 s40, exec_lo
	s_delay_alu instid0(VALU_DEP_2)
	v_cmpx_ne_u32_e32 0x80, v2
	s_cbranch_execz .LBB6_2187
; %bb.2180:                             ;   in Loop: Header=BB6_130 Depth=2
	v_and_b32_e32 v4, 0x7c000000, v0
	v_bfe_u32 v5, v0, 24, 2
	s_delay_alu instid0(VALU_DEP_2) | instskip(SKIP_1) | instid1(SALU_CYCLE_1)
	v_cmp_ne_u32_e32 vcc_lo, 0x7c000000, v4
                                        ; implicit-def: $vgpr4
	s_and_saveexec_b32 s10, vcc_lo
	s_xor_b32 s10, exec_lo, s10
	s_cbranch_execz .LBB6_2184
; %bb.2181:                             ;   in Loop: Header=BB6_130 Depth=2
	v_bfe_u32 v4, v0, 26, 5
	s_mov_b32 s41, exec_lo
	s_delay_alu instid0(VALU_DEP_1)
	v_cmpx_eq_u32_e32 0, v4
; %bb.2182:                             ;   in Loop: Header=BB6_130 Depth=2
	v_clz_i32_u32_e32 v4, v5
	s_delay_alu instid0(VALU_DEP_1) | instskip(NEXT) | instid1(VALU_DEP_1)
	v_min_u32_e32 v4, 32, v4
	v_subrev_nc_u32_e32 v5, 29, v4
	s_delay_alu instid0(VALU_DEP_1) | instskip(NEXT) | instid1(VALU_DEP_1)
	v_lshlrev_b64_e32 v[74:75], v5, v[2:3]
	v_dual_sub_nc_u32 v4, 30, v4 :: v_dual_bitop2_b32 v5, 3, v74 bitop3:0x40
; %bb.2183:                             ;   in Loop: Header=BB6_130 Depth=2
	s_or_b32 exec_lo, exec_lo, s41
	v_and_b32_e32 v0, 0x80000000, v0
	s_delay_alu instid0(VALU_DEP_1) | instskip(NEXT) | instid1(VALU_DEP_1)
	v_lshl_add_u32 v0, v4, 23, v0
	v_lshl_or_b32 v0, v5, 21, v0
                                        ; implicit-def: $vgpr5
	s_delay_alu instid0(VALU_DEP_1)
	v_add_nc_u32_e32 v4, 0x38000000, v0
.LBB6_2184:                             ;   in Loop: Header=BB6_130 Depth=2
	s_and_not1_saveexec_b32 s41, s10
; %bb.2185:                             ;   in Loop: Header=BB6_130 Depth=2
	v_cmp_lt_i32_e64 s10, -1, v0
	v_mov_b32_e32 v0, 0x7f800000
	v_cmp_eq_u32_e32 vcc_lo, 0, v5
	s_delay_alu instid0(VALU_DEP_2) | instskip(NEXT) | instid1(VALU_DEP_1)
	v_cndmask_b32_e64 v0, 0xff800000, v0, s10
	v_cndmask_b32_e32 v4, 0x7f800001, v0, vcc_lo
; %bb.2186:                             ;   in Loop: Header=BB6_130 Depth=2
	s_or_b32 exec_lo, exec_lo, s41
.LBB6_2187:                             ;   in Loop: Header=BB6_130 Depth=2
	s_delay_alu instid0(SALU_CYCLE_1)
	s_or_b32 exec_lo, exec_lo, s40
.LBB6_2188:                             ;   in Loop: Header=BB6_130 Depth=2
	s_delay_alu instid0(SALU_CYCLE_1) | instskip(NEXT) | instid1(SALU_CYCLE_1)
	s_or_b32 exec_lo, exec_lo, s29
	s_mov_b32 s29, exec_lo
	v_cmpx_lt_u32_e32 0xffffff, v22
	s_cbranch_execz .LBB6_2198
; %bb.2189:                             ;   in Loop: Header=BB6_130 Depth=2
	v_lshrrev_b32_e32 v0, 24, v22
	v_bfrev_b32_e32 v3, 1
	s_mov_b32 s40, exec_lo
	s_delay_alu instid0(VALU_DEP_2)
	v_cmpx_ne_u32_e32 0x80, v0
	s_cbranch_execz .LBB6_2197
; %bb.2190:                             ;   in Loop: Header=BB6_130 Depth=2
	v_and_b32_e32 v3, 0x7c000000, v22
	v_bfe_u32 v2, v22, 24, 2
	s_delay_alu instid0(VALU_DEP_2) | instskip(SKIP_1) | instid1(SALU_CYCLE_1)
	v_cmp_ne_u32_e32 vcc_lo, 0x7c000000, v3
                                        ; implicit-def: $vgpr3
	s_and_saveexec_b32 s10, vcc_lo
	s_xor_b32 s10, exec_lo, s10
	s_cbranch_execz .LBB6_2194
; %bb.2191:                             ;   in Loop: Header=BB6_130 Depth=2
	v_bfe_u32 v3, v22, 26, 5
	s_mov_b32 s41, exec_lo
	s_delay_alu instid0(VALU_DEP_1)
	v_cmpx_eq_u32_e32 0, v3
; %bb.2192:                             ;   in Loop: Header=BB6_130 Depth=2
	v_clz_i32_u32_e32 v2, v2
	s_delay_alu instid0(VALU_DEP_1) | instskip(NEXT) | instid1(VALU_DEP_1)
	v_min_u32_e32 v5, 32, v2
	v_subrev_nc_u32_e32 v2, 29, v5
	s_delay_alu instid0(VALU_DEP_1) | instskip(NEXT) | instid1(VALU_DEP_1)
	v_lshlrev_b64_e32 v[2:3], v2, v[0:1]
	v_dual_sub_nc_u32 v3, 30, v5 :: v_dual_bitop2_b32 v2, 3, v2 bitop3:0x40
; %bb.2193:                             ;   in Loop: Header=BB6_130 Depth=2
	s_or_b32 exec_lo, exec_lo, s41
	v_and_b32_e32 v0, 0x80000000, v22
	s_delay_alu instid0(VALU_DEP_1) | instskip(NEXT) | instid1(VALU_DEP_1)
	v_lshl_add_u32 v0, v3, 23, v0
	v_lshl_or_b32 v0, v2, 21, v0
                                        ; implicit-def: $vgpr2
	s_delay_alu instid0(VALU_DEP_1)
	v_add_nc_u32_e32 v3, 0x38000000, v0
.LBB6_2194:                             ;   in Loop: Header=BB6_130 Depth=2
	s_and_not1_saveexec_b32 s41, s10
; %bb.2195:                             ;   in Loop: Header=BB6_130 Depth=2
	v_cmp_lt_i32_e64 s10, -1, v22
	v_mov_b32_e32 v0, 0x7f800000
	v_cmp_eq_u32_e32 vcc_lo, 0, v2
	s_delay_alu instid0(VALU_DEP_2) | instskip(NEXT) | instid1(VALU_DEP_1)
	v_cndmask_b32_e64 v0, 0xff800000, v0, s10
	v_cndmask_b32_e32 v3, 0x7f800001, v0, vcc_lo
; %bb.2196:                             ;   in Loop: Header=BB6_130 Depth=2
	s_or_b32 exec_lo, exec_lo, s41
.LBB6_2197:                             ;   in Loop: Header=BB6_130 Depth=2
	s_delay_alu instid0(SALU_CYCLE_1)
	s_or_b32 exec_lo, exec_lo, s40
.LBB6_2198:                             ;   in Loop: Header=BB6_130 Depth=2
	s_delay_alu instid0(SALU_CYCLE_1) | instskip(NEXT) | instid1(VALU_DEP_1)
	s_or_b32 exec_lo, exec_lo, s29
	v_dual_add_f32 v2, v4, v3 :: v_dual_mov_b32 v5, v1
                                        ; implicit-def: $vgpr32
	s_mov_b32 s10, exec_lo
	s_delay_alu instid0(VALU_DEP_1) | instskip(SKIP_2) | instid1(VALU_DEP_3)
	v_and_b32_e32 v4, 0x7f800000, v2
	v_and_b32_e32 v0, 0x7fffff, v2
	v_lshrrev_b32_e32 v3, 24, v2
	v_cmpx_ne_u64_e32 0x7f800000, v[4:5]
	s_xor_b32 s29, exec_lo, s10
	s_cbranch_execz .LBB6_2212
; %bb.2199:                             ;   in Loop: Header=BB6_130 Depth=2
	v_and_b32_e32 v4, 0x7fffffff, v2
	v_mov_b32_e32 v5, v1
	v_and_b32_e32 v73, 0x80, v3
                                        ; implicit-def: $vgpr32
	s_mov_b32 s10, exec_lo
	s_delay_alu instid0(VALU_DEP_2)
	v_cmpx_gt_u64_e32 0x47600001, v[4:5]
	s_xor_b32 s40, exec_lo, s10
	s_cbranch_execz .LBB6_2209
; %bb.2200:                             ;   in Loop: Header=BB6_130 Depth=2
	v_mov_b32_e32 v32, 0
	s_mov_b32 s41, exec_lo
	v_cmpx_ne_u32_e32 0, v2
	s_cbranch_execz .LBB6_2208
; %bb.2201:                             ;   in Loop: Header=BB6_130 Depth=2
	v_bfe_u32 v32, v2, 23, 8
	v_or_b32_e32 v3, 0x800000, v0
	s_delay_alu instid0(VALU_DEP_2) | instskip(SKIP_2) | instid1(VALU_DEP_2)
	v_cmp_gt_u32_e64 s10, 0x72, v32
	v_sub_nc_u32_e32 v2, 0x71, v32
	v_cmp_eq_u32_e32 vcc_lo, 0, v32
	v_cndmask_b32_e64 v2, 0, v2, s10
	s_delay_alu instid0(VALU_DEP_1) | instskip(SKIP_1) | instid1(VALU_DEP_2)
	v_cndmask_b32_e64 v74, v2, 0x70, vcc_lo
	v_dual_cndmask_b32 v2, v3, v0 :: v_dual_mov_b32 v3, v1
	v_add_nc_u32_e32 v0, 21, v74
	s_delay_alu instid0(VALU_DEP_1) | instskip(SKIP_1) | instid1(VALU_DEP_1)
	v_lshlrev_b64_e64 v[4:5], v0, -1
	v_add_nc_u32_e32 v0, 20, v74
	v_lshlrev_b64_e64 v[76:77], v0, 1
	s_delay_alu instid0(VALU_DEP_3) | instskip(SKIP_2) | instid1(VALU_DEP_1)
	v_bfi_b32 v4, v4, 0, v2
	v_lshrrev_b64 v[2:3], v74, v[2:3]
	v_bfi_b32 v5, v5, 0, 0
	v_cmp_eq_u64_e64 s10, v[4:5], v[76:77]
	s_delay_alu instid0(VALU_DEP_3)
	v_mov_b64_e32 v[4:5], v[2:3]
	s_and_saveexec_b32 s42, s10
; %bb.2202:                             ;   in Loop: Header=BB6_130 Depth=2
	v_bfe_u32 v4, v2, 21, 1
	v_mov_b32_e32 v5, v1
	s_delay_alu instid0(VALU_DEP_1) | instskip(NEXT) | instid1(VALU_DEP_1)
	v_add_nc_u64_e32 v[4:5], v[2:3], v[4:5]
	v_add_nc_u64_e32 v[4:5], -1, v[4:5]
; %bb.2203:                             ;   in Loop: Header=BB6_130 Depth=2
	s_or_b32 exec_lo, exec_lo, s42
	v_add_nc_u32_e32 v0, 0xffffff81, v32
	v_lshrrev_b32_e32 v3, 23, v2
	s_mov_b32 s10, exec_lo
	s_delay_alu instid0(VALU_DEP_2) | instskip(NEXT) | instid1(VALU_DEP_1)
	v_cndmask_b32_e64 v0, v0, 0xffffff82, vcc_lo
	v_add3_u32 v32, v74, v0, v3
	v_and_b32_e32 v0, 0x1fffff, v4
                                        ; implicit-def: $vgpr4
	s_delay_alu instid0(VALU_DEP_1) | instskip(NEXT) | instid1(VALU_DEP_1)
	v_dual_add_nc_u32 v5, 14, v32 :: v_dual_add_nc_u32 v0, v0, v2
                                        ; implicit-def: $vgpr2_vgpr3
	v_cmpx_ne_u32_e32 0, v5
	s_xor_b32 s10, exec_lo, s10
; %bb.2204:                             ;   in Loop: Header=BB6_130 Depth=2
	s_delay_alu instid0(VALU_DEP_2) | instskip(SKIP_1) | instid1(VALU_DEP_1)
	v_cmp_lt_u64_e32 vcc_lo, 0xffffff, v[0:1]
	v_add_nc_u32_e32 v2, 15, v32
	v_cndmask_b32_e32 v4, v5, v2, vcc_lo
	v_cndmask_b32_e64 v2, 0, 1, vcc_lo
	s_delay_alu instid0(VALU_DEP_1)
	v_lshrrev_b64 v[2:3], v2, v[0:1]
; %bb.2205:                             ;   in Loop: Header=BB6_130 Depth=2
	s_and_not1_saveexec_b32 s10, s10
; %bb.2206:                             ;   in Loop: Header=BB6_130 Depth=2
	v_mov_b64_e32 v[2:3], v[0:1]
	v_bfe_u32 v4, v0, 23, 1
; %bb.2207:                             ;   in Loop: Header=BB6_130 Depth=2
	s_or_b32 exec_lo, exec_lo, s10
	s_delay_alu instid0(VALU_DEP_2) | instskip(NEXT) | instid1(VALU_DEP_2)
	v_lshrrev_b64 v[2:3], 21, v[2:3]
	v_cmp_gt_i32_e32 vcc_lo, 32, v4
	v_min_i32_e32 v0, 31, v4
	v_cmp_eq_u32_e64 s10, 0, v4
	s_delay_alu instid0(VALU_DEP_2) | instskip(SKIP_1) | instid1(VALU_DEP_2)
	v_dual_cndmask_b32 v3, 0, v3 :: v_dual_lshlrev_b32 v0, 2, v0
	v_cndmask_b32_e32 v2, 3, v2, vcc_lo
	v_and_b32_e32 v0, 0xfc, v0
	s_delay_alu instid0(VALU_DEP_2) | instskip(NEXT) | instid1(VALU_DEP_2)
	v_cmp_eq_u64_e32 vcc_lo, 0, v[2:3]
	v_and_or_b32 v0, v2, 3, v0
	s_and_b32 s10, s10, vcc_lo
	s_delay_alu instid0(VALU_DEP_1) | instid1(SALU_CYCLE_1)
	v_cndmask_b32_e64 v0, v0, 0, s10
	s_delay_alu instid0(VALU_DEP_1)
	v_or_b32_e32 v32, v0, v73
.LBB6_2208:                             ;   in Loop: Header=BB6_130 Depth=2
	s_or_b32 exec_lo, exec_lo, s41
                                        ; implicit-def: $vgpr73
.LBB6_2209:                             ;   in Loop: Header=BB6_130 Depth=2
	s_and_not1_saveexec_b32 s10, s40
; %bb.2210:                             ;   in Loop: Header=BB6_130 Depth=2
	v_or_b32_e32 v32, 0x7b, v73
; %bb.2211:                             ;   in Loop: Header=BB6_130 Depth=2
	s_or_b32 exec_lo, exec_lo, s10
                                        ; implicit-def: $vgpr2
                                        ; implicit-def: $vgpr3
.LBB6_2212:                             ;   in Loop: Header=BB6_130 Depth=2
	s_and_not1_saveexec_b32 s10, s29
	s_cbranch_execz .LBB6_2218
; %bb.2213:                             ;   in Loop: Header=BB6_130 Depth=2
	s_mov_b32 s29, exec_lo
                                        ; implicit-def: $vgpr32
	v_cmpx_ne_u64_e32 0, v[0:1]
	s_xor_b32 s29, exec_lo, s29
; %bb.2214:                             ;   in Loop: Header=BB6_130 Depth=2
	v_or_b32_e32 v32, 0x7f, v3
                                        ; implicit-def: $vgpr2
; %bb.2215:                             ;   in Loop: Header=BB6_130 Depth=2
	s_and_not1_saveexec_b32 s29, s29
; %bb.2216:                             ;   in Loop: Header=BB6_130 Depth=2
	v_cmp_lt_i32_e32 vcc_lo, -1, v2
	v_mov_b32_e32 v0, 0x7c
	s_delay_alu instid0(VALU_DEP_1)
	v_cndmask_b32_e32 v32, 0xfc, v0, vcc_lo
; %bb.2217:                             ;   in Loop: Header=BB6_130 Depth=2
	s_or_b32 exec_lo, exec_lo, s29
.LBB6_2218:                             ;   in Loop: Header=BB6_130 Depth=2
	s_delay_alu instid0(SALU_CYCLE_1) | instskip(SKIP_4) | instid1(VALU_DEP_2)
	s_or_b32 exec_lo, exec_lo, s10
	v_lshl_or_b32 v53, v53, 8, v48
	v_dual_lshlrev_b32 v0, 16, v65 :: v_dual_lshlrev_b32 v2, 24, v72
	s_mov_b32 s29, exec_lo
	v_mov_b32_e32 v3, 0
	v_or3_b32 v0, v0, v2, v53
	v_mov_b32_e32 v2, 0
	v_cmpx_ne_u32_e32 0, v48
	s_cbranch_execz .LBB6_2228
; %bb.2219:                             ;   in Loop: Header=BB6_130 Depth=2
	v_bfrev_b32_e32 v3, 1
	s_mov_b32 s40, exec_lo
	v_cmpx_ne_u32_e32 0x80, v48
	s_cbranch_execz .LBB6_2227
; %bb.2220:                             ;   in Loop: Header=BB6_130 Depth=2
	v_and_b32_e32 v3, 0x7c, v48
	v_and_b32_e32 v4, 3, v48
	s_delay_alu instid0(VALU_DEP_2) | instskip(SKIP_1) | instid1(SALU_CYCLE_1)
	v_cmp_ne_u32_e32 vcc_lo, 0x7c, v3
                                        ; implicit-def: $vgpr3
	s_and_saveexec_b32 s10, vcc_lo
	s_xor_b32 s10, exec_lo, s10
	s_cbranch_execz .LBB6_2224
; %bb.2221:                             ;   in Loop: Header=BB6_130 Depth=2
	v_bfe_u32 v3, v48, 2, 5
	s_mov_b32 s41, exec_lo
	s_delay_alu instid0(VALU_DEP_1)
	v_cmpx_eq_u32_e32 0, v3
; %bb.2222:                             ;   in Loop: Header=BB6_130 Depth=2
	v_clz_i32_u32_e32 v3, v4
	s_delay_alu instid0(VALU_DEP_1) | instskip(NEXT) | instid1(VALU_DEP_1)
	v_min_u32_e32 v3, 32, v3
	v_subrev_nc_u32_e32 v4, 29, v3
	s_delay_alu instid0(VALU_DEP_1) | instskip(NEXT) | instid1(VALU_DEP_1)
	v_lshlrev_b64_e32 v[4:5], v4, v[0:1]
	v_dual_sub_nc_u32 v3, 30, v3 :: v_dual_bitop2_b32 v4, 3, v4 bitop3:0x40
; %bb.2223:                             ;   in Loop: Header=BB6_130 Depth=2
	s_or_b32 exec_lo, exec_lo, s41
	v_lshlrev_b32_e32 v5, 24, v48
                                        ; implicit-def: $vgpr48
	s_delay_alu instid0(VALU_DEP_1) | instskip(NEXT) | instid1(VALU_DEP_1)
	v_and_b32_e32 v5, 0x80000000, v5
	v_lshl_add_u32 v3, v3, 23, v5
	s_delay_alu instid0(VALU_DEP_1) | instskip(NEXT) | instid1(VALU_DEP_1)
	v_lshl_or_b32 v3, v4, 21, v3
                                        ; implicit-def: $vgpr4
	v_add_nc_u32_e32 v3, 0x38000000, v3
.LBB6_2224:                             ;   in Loop: Header=BB6_130 Depth=2
	s_and_not1_saveexec_b32 s41, s10
; %bb.2225:                             ;   in Loop: Header=BB6_130 Depth=2
	v_and_b32_e32 v3, 0x80, v48
	v_cmp_eq_u32_e32 vcc_lo, 0, v4
	s_delay_alu instid0(VALU_DEP_2) | instskip(SKIP_1) | instid1(VALU_DEP_1)
	v_cmp_eq_u32_e64 s10, 0, v3
	v_mov_b32_e32 v3, 0x7f800000
	v_cndmask_b32_e64 v3, 0xff800000, v3, s10
	s_delay_alu instid0(VALU_DEP_1)
	v_cndmask_b32_e32 v3, 0x7f800001, v3, vcc_lo
; %bb.2226:                             ;   in Loop: Header=BB6_130 Depth=2
	s_or_b32 exec_lo, exec_lo, s41
.LBB6_2227:                             ;   in Loop: Header=BB6_130 Depth=2
	s_delay_alu instid0(SALU_CYCLE_1)
	s_or_b32 exec_lo, exec_lo, s40
.LBB6_2228:                             ;   in Loop: Header=BB6_130 Depth=2
	s_delay_alu instid0(SALU_CYCLE_1) | instskip(SKIP_2) | instid1(VALU_DEP_1)
	s_or_b32 exec_lo, exec_lo, s29
	v_and_b32_e32 v4, 0xff, v23
	s_mov_b32 s29, exec_lo
	v_cmpx_ne_u16_e32 0, v4
	s_cbranch_execz .LBB6_2238
; %bb.2229:                             ;   in Loop: Header=BB6_130 Depth=2
	v_bfrev_b32_e32 v2, 1
	s_mov_b32 s40, exec_lo
	v_cmpx_ne_u16_e32 0x80, v4
	s_cbranch_execz .LBB6_2237
; %bb.2230:                             ;   in Loop: Header=BB6_130 Depth=2
	v_and_b32_e32 v2, 0x7c, v23
	v_and_b32_e32 v4, 3, v23
	s_delay_alu instid0(VALU_DEP_2) | instskip(SKIP_1) | instid1(SALU_CYCLE_1)
	v_cmp_ne_u32_e32 vcc_lo, 0x7c, v2
                                        ; implicit-def: $vgpr2
	s_and_saveexec_b32 s10, vcc_lo
	s_xor_b32 s10, exec_lo, s10
	s_cbranch_execz .LBB6_2234
; %bb.2231:                             ;   in Loop: Header=BB6_130 Depth=2
	v_bfe_u32 v2, v23, 2, 5
	s_mov_b32 s41, exec_lo
	s_delay_alu instid0(VALU_DEP_1)
	v_cmpx_eq_u32_e32 0, v2
; %bb.2232:                             ;   in Loop: Header=BB6_130 Depth=2
	v_clz_i32_u32_e32 v2, v4
	v_dual_mov_b32 v4, v23 :: v_dual_mov_b32 v5, v1
	s_delay_alu instid0(VALU_DEP_2) | instskip(NEXT) | instid1(VALU_DEP_1)
	v_min_u32_e32 v2, 32, v2
	v_subrev_nc_u32_e32 v48, 29, v2
	s_delay_alu instid0(VALU_DEP_1) | instskip(NEXT) | instid1(VALU_DEP_1)
	v_lshlrev_b64_e32 v[4:5], v48, v[4:5]
	v_dual_sub_nc_u32 v2, 30, v2 :: v_dual_bitop2_b32 v4, 3, v4 bitop3:0x40
; %bb.2233:                             ;   in Loop: Header=BB6_130 Depth=2
	s_or_b32 exec_lo, exec_lo, s41
	v_lshlrev_b32_e32 v5, 24, v23
	s_delay_alu instid0(VALU_DEP_1) | instskip(NEXT) | instid1(VALU_DEP_1)
	v_and_b32_e32 v5, 0x80000000, v5
	v_lshl_add_u32 v2, v2, 23, v5
	s_delay_alu instid0(VALU_DEP_1) | instskip(NEXT) | instid1(VALU_DEP_1)
	v_lshl_or_b32 v2, v4, 21, v2
                                        ; implicit-def: $vgpr4
	v_add_nc_u32_e32 v2, 0x38000000, v2
.LBB6_2234:                             ;   in Loop: Header=BB6_130 Depth=2
	s_and_not1_saveexec_b32 s41, s10
; %bb.2235:                             ;   in Loop: Header=BB6_130 Depth=2
	v_bfe_i32 v2, v23, 0, 8
	v_cmp_eq_u32_e32 vcc_lo, 0, v4
	s_delay_alu instid0(VALU_DEP_2) | instskip(SKIP_1) | instid1(VALU_DEP_1)
	v_cmp_lt_i16_e64 s10, -1, v2
	v_mov_b32_e32 v2, 0x7f800000
	v_cndmask_b32_e64 v2, 0xff800000, v2, s10
	s_delay_alu instid0(VALU_DEP_1)
	v_cndmask_b32_e32 v2, 0x7f800001, v2, vcc_lo
; %bb.2236:                             ;   in Loop: Header=BB6_130 Depth=2
	s_or_b32 exec_lo, exec_lo, s41
.LBB6_2237:                             ;   in Loop: Header=BB6_130 Depth=2
	s_delay_alu instid0(SALU_CYCLE_1)
	s_or_b32 exec_lo, exec_lo, s40
.LBB6_2238:                             ;   in Loop: Header=BB6_130 Depth=2
	s_delay_alu instid0(SALU_CYCLE_1) | instskip(NEXT) | instid1(VALU_DEP_1)
	s_or_b32 exec_lo, exec_lo, s29
	v_dual_add_f32 v4, v3, v2 :: v_dual_mov_b32 v73, v1
	v_mov_b32_e32 v3, v1
                                        ; implicit-def: $vgpr48
	s_mov_b32 s10, exec_lo
	s_delay_alu instid0(VALU_DEP_2) | instskip(SKIP_2) | instid1(VALU_DEP_3)
	v_and_b32_e32 v72, 0x7f800000, v4
	v_and_b32_e32 v2, 0x7fffff, v4
	v_lshrrev_b32_e32 v5, 24, v4
	v_cmpx_ne_u64_e32 0x7f800000, v[72:73]
	s_xor_b32 s29, exec_lo, s10
	s_cbranch_execz .LBB6_2252
; %bb.2239:                             ;   in Loop: Header=BB6_130 Depth=2
	v_and_b32_e32 v72, 0x7fffffff, v4
	v_mov_b32_e32 v73, v1
	v_and_b32_e32 v65, 0x80, v5
                                        ; implicit-def: $vgpr48
	s_mov_b32 s10, exec_lo
	s_delay_alu instid0(VALU_DEP_2)
	v_cmpx_gt_u64_e32 0x47600001, v[72:73]
	s_xor_b32 s40, exec_lo, s10
	s_cbranch_execz .LBB6_2249
; %bb.2240:                             ;   in Loop: Header=BB6_130 Depth=2
	v_mov_b32_e32 v48, 0
	s_mov_b32 s41, exec_lo
	v_cmpx_ne_u32_e32 0, v4
	s_cbranch_execz .LBB6_2248
; %bb.2241:                             ;   in Loop: Header=BB6_130 Depth=2
	v_bfe_u32 v48, v4, 23, 8
	v_or_b32_e32 v5, 0x800000, v2
	s_delay_alu instid0(VALU_DEP_2) | instskip(SKIP_2) | instid1(VALU_DEP_2)
	v_cmp_gt_u32_e64 s10, 0x72, v48
	v_sub_nc_u32_e32 v4, 0x71, v48
	v_cmp_eq_u32_e32 vcc_lo, 0, v48
	v_dual_cndmask_b32 v4, 0, v4, s10 :: v_dual_cndmask_b32 v2, v5, v2, vcc_lo
	s_delay_alu instid0(VALU_DEP_1) | instskip(NEXT) | instid1(VALU_DEP_1)
	v_cndmask_b32_e64 v72, v4, 0x70, vcc_lo
	v_dual_add_nc_u32 v4, 21, v72 :: v_dual_add_nc_u32 v73, 20, v72
	s_delay_alu instid0(VALU_DEP_1) | instskip(NEXT) | instid1(VALU_DEP_2)
	v_lshlrev_b64_e64 v[4:5], v4, -1
	v_lshlrev_b64_e64 v[74:75], v73, 1
	s_delay_alu instid0(VALU_DEP_2) | instskip(SKIP_1) | instid1(VALU_DEP_4)
	v_bfi_b32 v4, v4, 0, v2
	v_lshrrev_b64 v[2:3], v72, v[2:3]
	v_bfi_b32 v5, v5, 0, 0
	s_delay_alu instid0(VALU_DEP_1) | instskip(NEXT) | instid1(VALU_DEP_3)
	v_cmp_eq_u64_e64 s10, v[4:5], v[74:75]
	v_mov_b64_e32 v[4:5], v[2:3]
	s_and_saveexec_b32 s42, s10
; %bb.2242:                             ;   in Loop: Header=BB6_130 Depth=2
	v_bfe_u32 v4, v2, 21, 1
	v_mov_b32_e32 v5, v1
	s_delay_alu instid0(VALU_DEP_1) | instskip(NEXT) | instid1(VALU_DEP_1)
	v_add_nc_u64_e32 v[4:5], v[2:3], v[4:5]
	v_add_nc_u64_e32 v[4:5], -1, v[4:5]
; %bb.2243:                             ;   in Loop: Header=BB6_130 Depth=2
	s_or_b32 exec_lo, exec_lo, s42
	v_add_nc_u32_e32 v3, 0xffffff81, v48
	v_lshrrev_b32_e32 v5, 23, v2
	s_mov_b32 s10, exec_lo
	s_delay_alu instid0(VALU_DEP_2) | instskip(NEXT) | instid1(VALU_DEP_1)
	v_cndmask_b32_e64 v3, v3, 0xffffff82, vcc_lo
	v_add3_u32 v48, v72, v3, v5
	v_and_b32_e32 v3, 0x1fffff, v4
                                        ; implicit-def: $vgpr4
	s_delay_alu instid0(VALU_DEP_1) | instskip(SKIP_1) | instid1(VALU_DEP_2)
	v_dual_add_nc_u32 v5, 14, v48 :: v_dual_add_nc_u32 v2, v3, v2
	v_mov_b32_e32 v3, v1
	v_cmpx_ne_u32_e32 0, v5
	s_xor_b32 s10, exec_lo, s10
; %bb.2244:                             ;   in Loop: Header=BB6_130 Depth=2
	s_delay_alu instid0(VALU_DEP_2) | instskip(SKIP_1) | instid1(VALU_DEP_1)
	v_cmp_lt_u64_e32 vcc_lo, 0xffffff, v[2:3]
	v_add_nc_u32_e32 v4, 15, v48
	v_cndmask_b32_e32 v4, v5, v4, vcc_lo
	v_cndmask_b32_e64 v5, 0, 1, vcc_lo
	s_delay_alu instid0(VALU_DEP_1)
	v_lshrrev_b64 v[2:3], v5, v[2:3]
; %bb.2245:                             ;   in Loop: Header=BB6_130 Depth=2
	s_and_not1_saveexec_b32 s10, s10
; %bb.2246:                             ;   in Loop: Header=BB6_130 Depth=2
	s_delay_alu instid0(VALU_DEP_1)
	v_bfe_u32 v4, v2, 23, 1
; %bb.2247:                             ;   in Loop: Header=BB6_130 Depth=2
	s_or_b32 exec_lo, exec_lo, s10
	s_delay_alu instid0(VALU_DEP_2) | instskip(NEXT) | instid1(VALU_DEP_2)
	v_lshrrev_b64 v[2:3], 21, v[2:3]
	v_cmp_gt_i32_e32 vcc_lo, 32, v4
	v_min_i32_e32 v5, 31, v4
	v_cmp_eq_u32_e64 s10, 0, v4
	s_delay_alu instid0(VALU_DEP_2) | instskip(SKIP_1) | instid1(VALU_DEP_2)
	v_dual_cndmask_b32 v3, 0, v3, vcc_lo :: v_dual_lshlrev_b32 v5, 2, v5
	v_cndmask_b32_e32 v2, 3, v2, vcc_lo
	v_and_b32_e32 v5, 0xfc, v5
	s_delay_alu instid0(VALU_DEP_2) | instskip(NEXT) | instid1(VALU_DEP_2)
	v_cmp_eq_u64_e32 vcc_lo, 0, v[2:3]
	v_and_or_b32 v2, v2, 3, v5
	s_and_b32 s10, s10, vcc_lo
	s_delay_alu instid0(VALU_DEP_1) | instid1(SALU_CYCLE_1)
	v_cndmask_b32_e64 v2, v2, 0, s10
	s_delay_alu instid0(VALU_DEP_1)
	v_or_b32_e32 v48, v2, v65
.LBB6_2248:                             ;   in Loop: Header=BB6_130 Depth=2
	s_or_b32 exec_lo, exec_lo, s41
                                        ; implicit-def: $vgpr65
.LBB6_2249:                             ;   in Loop: Header=BB6_130 Depth=2
	s_and_not1_saveexec_b32 s10, s40
; %bb.2250:                             ;   in Loop: Header=BB6_130 Depth=2
	v_or_b32_e32 v48, 0x7b, v65
; %bb.2251:                             ;   in Loop: Header=BB6_130 Depth=2
	s_or_b32 exec_lo, exec_lo, s10
                                        ; implicit-def: $vgpr4
                                        ; implicit-def: $vgpr2_vgpr3
                                        ; implicit-def: $vgpr5
.LBB6_2252:                             ;   in Loop: Header=BB6_130 Depth=2
	s_and_not1_saveexec_b32 s10, s29
	s_cbranch_execz .LBB6_2258
; %bb.2253:                             ;   in Loop: Header=BB6_130 Depth=2
	s_mov_b32 s29, exec_lo
                                        ; implicit-def: $vgpr48
	v_cmpx_ne_u64_e32 0, v[2:3]
	s_xor_b32 s29, exec_lo, s29
; %bb.2254:                             ;   in Loop: Header=BB6_130 Depth=2
	v_or_b32_e32 v48, 0x7f, v5
                                        ; implicit-def: $vgpr4
; %bb.2255:                             ;   in Loop: Header=BB6_130 Depth=2
	s_and_not1_saveexec_b32 s29, s29
; %bb.2256:                             ;   in Loop: Header=BB6_130 Depth=2
	v_cmp_lt_i32_e32 vcc_lo, -1, v4
	v_mov_b32_e32 v2, 0x7c
	s_delay_alu instid0(VALU_DEP_1)
	v_cndmask_b32_e32 v48, 0xfc, v2, vcc_lo
; %bb.2257:                             ;   in Loop: Header=BB6_130 Depth=2
	s_or_b32 exec_lo, exec_lo, s29
.LBB6_2258:                             ;   in Loop: Header=BB6_130 Depth=2
	s_delay_alu instid0(SALU_CYCLE_1) | instskip(SKIP_3) | instid1(VALU_DEP_2)
	s_or_b32 exec_lo, exec_lo, s10
	v_lshrrev_b16 v2, 8, v53
	v_dual_mov_b32 v4, 0 :: v_dual_mov_b32 v5, 0
	s_mov_b32 s29, exec_lo
	v_cmpx_ne_u16_e32 0, v2
	s_cbranch_execz .LBB6_2268
; %bb.2259:                             ;   in Loop: Header=BB6_130 Depth=2
	v_bfrev_b32_e32 v5, 1
	s_mov_b32 s40, exec_lo
	v_cmpx_ne_u16_e32 0x80, v2
	s_cbranch_execz .LBB6_2267
; %bb.2260:                             ;   in Loop: Header=BB6_130 Depth=2
	v_and_b32_e32 v65, 0xffff, v2
	s_delay_alu instid0(VALU_DEP_1) | instskip(SKIP_1) | instid1(VALU_DEP_2)
	v_and_b32_e32 v5, 0x7c, v65
	v_and_b32_e32 v3, 3, v65
	v_cmp_ne_u32_e32 vcc_lo, 0x7c, v5
                                        ; implicit-def: $vgpr5
	s_and_saveexec_b32 s10, vcc_lo
	s_delay_alu instid0(SALU_CYCLE_1)
	s_xor_b32 s10, exec_lo, s10
	s_cbranch_execz .LBB6_2264
; %bb.2261:                             ;   in Loop: Header=BB6_130 Depth=2
	v_bfe_u32 v5, v65, 2, 5
	s_mov_b32 s41, exec_lo
	s_delay_alu instid0(VALU_DEP_1)
	v_cmpx_eq_u32_e32 0, v5
	s_cbranch_execz .LBB6_2263
; %bb.2262:                             ;   in Loop: Header=BB6_130 Depth=2
	v_clz_i32_u32_e32 v3, v3
	s_delay_alu instid0(VALU_DEP_1) | instskip(SKIP_1) | instid1(VALU_DEP_2)
	v_min_u32_e32 v5, 32, v3
	v_mov_b32_e32 v3, v1
	v_subrev_nc_u32_e32 v65, 29, v5
	v_sub_nc_u32_e32 v5, 30, v5
	s_delay_alu instid0(VALU_DEP_2) | instskip(NEXT) | instid1(VALU_DEP_1)
	v_lshlrev_b64_e32 v[2:3], v65, v[2:3]
	v_and_b32_e32 v3, 3, v2
.LBB6_2263:                             ;   in Loop: Header=BB6_130 Depth=2
	s_or_b32 exec_lo, exec_lo, s41
	v_lshlrev_b32_e32 v2, 16, v53
                                        ; implicit-def: $vgpr53
	s_delay_alu instid0(VALU_DEP_1) | instskip(NEXT) | instid1(VALU_DEP_1)
	v_and_b32_e32 v2, 0x80000000, v2
	v_lshl_add_u32 v2, v5, 23, v2
	s_delay_alu instid0(VALU_DEP_1) | instskip(NEXT) | instid1(VALU_DEP_1)
	v_lshl_or_b32 v2, v3, 21, v2
                                        ; implicit-def: $vgpr3
	v_add_nc_u32_e32 v5, 0x38000000, v2
.LBB6_2264:                             ;   in Loop: Header=BB6_130 Depth=2
	s_and_not1_saveexec_b32 s41, s10
; %bb.2265:                             ;   in Loop: Header=BB6_130 Depth=2
	v_cmp_lt_i16_e64 s10, -1, v53
	v_mov_b32_e32 v2, 0x7f800000
	v_cmp_eq_u32_e32 vcc_lo, 0, v3
	s_delay_alu instid0(VALU_DEP_2) | instskip(NEXT) | instid1(VALU_DEP_1)
	v_cndmask_b32_e64 v2, 0xff800000, v2, s10
	v_cndmask_b32_e32 v5, 0x7f800001, v2, vcc_lo
; %bb.2266:                             ;   in Loop: Header=BB6_130 Depth=2
	s_or_b32 exec_lo, exec_lo, s41
.LBB6_2267:                             ;   in Loop: Header=BB6_130 Depth=2
	s_delay_alu instid0(SALU_CYCLE_1)
	s_or_b32 exec_lo, exec_lo, s40
.LBB6_2268:                             ;   in Loop: Header=BB6_130 Depth=2
	s_delay_alu instid0(SALU_CYCLE_1) | instskip(SKIP_2) | instid1(VALU_DEP_1)
	s_or_b32 exec_lo, exec_lo, s29
	v_lshrrev_b16 v2, 8, v23
	s_mov_b32 s29, exec_lo
	v_cmpx_ne_u16_e32 0, v2
	s_cbranch_execz .LBB6_2278
; %bb.2269:                             ;   in Loop: Header=BB6_130 Depth=2
	v_bfrev_b32_e32 v4, 1
	s_mov_b32 s40, exec_lo
	v_cmpx_ne_u16_e32 0x80, v2
	s_cbranch_execz .LBB6_2277
; %bb.2270:                             ;   in Loop: Header=BB6_130 Depth=2
	v_and_b32_e32 v53, 0xffff, v2
	s_delay_alu instid0(VALU_DEP_1) | instskip(SKIP_1) | instid1(VALU_DEP_2)
	v_and_b32_e32 v4, 0x7c, v53
	v_and_b32_e32 v3, 3, v53
	v_cmp_ne_u32_e32 vcc_lo, 0x7c, v4
                                        ; implicit-def: $vgpr4
	s_and_saveexec_b32 s10, vcc_lo
	s_delay_alu instid0(SALU_CYCLE_1)
	s_xor_b32 s10, exec_lo, s10
	s_cbranch_execz .LBB6_2274
; %bb.2271:                             ;   in Loop: Header=BB6_130 Depth=2
	v_bfe_u32 v4, v53, 2, 5
	s_mov_b32 s41, exec_lo
	s_delay_alu instid0(VALU_DEP_1)
	v_cmpx_eq_u32_e32 0, v4
	s_cbranch_execz .LBB6_2273
; %bb.2272:                             ;   in Loop: Header=BB6_130 Depth=2
	v_clz_i32_u32_e32 v3, v3
	s_delay_alu instid0(VALU_DEP_1) | instskip(SKIP_1) | instid1(VALU_DEP_2)
	v_min_u32_e32 v4, 32, v3
	v_mov_b32_e32 v3, v1
	v_subrev_nc_u32_e32 v53, 29, v4
	v_sub_nc_u32_e32 v4, 30, v4
	s_delay_alu instid0(VALU_DEP_2) | instskip(NEXT) | instid1(VALU_DEP_1)
	v_lshlrev_b64_e32 v[2:3], v53, v[2:3]
	v_and_b32_e32 v3, 3, v2
.LBB6_2273:                             ;   in Loop: Header=BB6_130 Depth=2
	s_or_b32 exec_lo, exec_lo, s41
	v_lshlrev_b32_e32 v2, 16, v23
	s_delay_alu instid0(VALU_DEP_1) | instskip(NEXT) | instid1(VALU_DEP_1)
	v_and_b32_e32 v2, 0x80000000, v2
	v_lshl_add_u32 v2, v4, 23, v2
	s_delay_alu instid0(VALU_DEP_1) | instskip(NEXT) | instid1(VALU_DEP_1)
	v_lshl_or_b32 v2, v3, 21, v2
                                        ; implicit-def: $vgpr3
	v_add_nc_u32_e32 v4, 0x38000000, v2
.LBB6_2274:                             ;   in Loop: Header=BB6_130 Depth=2
	s_and_not1_saveexec_b32 s41, s10
; %bb.2275:                             ;   in Loop: Header=BB6_130 Depth=2
	v_cmp_lt_i16_e64 s10, -1, v23
	v_mov_b32_e32 v2, 0x7f800000
	v_cmp_eq_u32_e32 vcc_lo, 0, v3
	s_delay_alu instid0(VALU_DEP_2) | instskip(NEXT) | instid1(VALU_DEP_1)
	v_cndmask_b32_e64 v2, 0xff800000, v2, s10
	v_cndmask_b32_e32 v4, 0x7f800001, v2, vcc_lo
; %bb.2276:                             ;   in Loop: Header=BB6_130 Depth=2
	s_or_b32 exec_lo, exec_lo, s41
.LBB6_2277:                             ;   in Loop: Header=BB6_130 Depth=2
	s_delay_alu instid0(SALU_CYCLE_1)
	s_or_b32 exec_lo, exec_lo, s40
.LBB6_2278:                             ;   in Loop: Header=BB6_130 Depth=2
	s_delay_alu instid0(SALU_CYCLE_1) | instskip(NEXT) | instid1(VALU_DEP_1)
	s_or_b32 exec_lo, exec_lo, s29
	v_add_f32_e32 v4, v5, v4
	v_dual_mov_b32 v73, v1 :: v_dual_mov_b32 v3, v1
                                        ; implicit-def: $vgpr53
	s_mov_b32 s10, exec_lo
	s_delay_alu instid0(VALU_DEP_2) | instskip(SKIP_2) | instid1(VALU_DEP_3)
	v_and_b32_e32 v72, 0x7f800000, v4
	v_and_b32_e32 v2, 0x7fffff, v4
	v_lshrrev_b32_e32 v5, 24, v4
	v_cmpx_ne_u64_e32 0x7f800000, v[72:73]
	s_xor_b32 s29, exec_lo, s10
	s_cbranch_execz .LBB6_2292
; %bb.2279:                             ;   in Loop: Header=BB6_130 Depth=2
	v_and_b32_e32 v72, 0x7fffffff, v4
	v_mov_b32_e32 v73, v1
	v_and_b32_e32 v65, 0x80, v5
                                        ; implicit-def: $vgpr53
	s_mov_b32 s10, exec_lo
	s_delay_alu instid0(VALU_DEP_2)
	v_cmpx_gt_u64_e32 0x47600001, v[72:73]
	s_xor_b32 s40, exec_lo, s10
	s_cbranch_execz .LBB6_2289
; %bb.2280:                             ;   in Loop: Header=BB6_130 Depth=2
	v_mov_b32_e32 v53, 0
	s_mov_b32 s41, exec_lo
	v_cmpx_ne_u32_e32 0, v4
	s_cbranch_execz .LBB6_2288
; %bb.2281:                             ;   in Loop: Header=BB6_130 Depth=2
	v_bfe_u32 v53, v4, 23, 8
	v_or_b32_e32 v5, 0x800000, v2
	s_delay_alu instid0(VALU_DEP_2) | instskip(SKIP_2) | instid1(VALU_DEP_2)
	v_cmp_gt_u32_e64 s10, 0x72, v53
	v_sub_nc_u32_e32 v4, 0x71, v53
	v_cmp_eq_u32_e32 vcc_lo, 0, v53
	v_dual_cndmask_b32 v4, 0, v4, s10 :: v_dual_cndmask_b32 v2, v5, v2, vcc_lo
	s_delay_alu instid0(VALU_DEP_1) | instskip(NEXT) | instid1(VALU_DEP_1)
	v_cndmask_b32_e64 v72, v4, 0x70, vcc_lo
	v_dual_add_nc_u32 v4, 21, v72 :: v_dual_add_nc_u32 v73, 20, v72
	s_delay_alu instid0(VALU_DEP_1) | instskip(NEXT) | instid1(VALU_DEP_2)
	v_lshlrev_b64_e64 v[4:5], v4, -1
	v_lshlrev_b64_e64 v[74:75], v73, 1
	s_delay_alu instid0(VALU_DEP_2) | instskip(SKIP_1) | instid1(VALU_DEP_4)
	v_bfi_b32 v4, v4, 0, v2
	v_lshrrev_b64 v[2:3], v72, v[2:3]
	v_bfi_b32 v5, v5, 0, 0
	s_delay_alu instid0(VALU_DEP_1) | instskip(NEXT) | instid1(VALU_DEP_3)
	v_cmp_eq_u64_e64 s10, v[4:5], v[74:75]
	v_mov_b64_e32 v[4:5], v[2:3]
	s_and_saveexec_b32 s42, s10
; %bb.2282:                             ;   in Loop: Header=BB6_130 Depth=2
	v_bfe_u32 v4, v2, 21, 1
	v_mov_b32_e32 v5, v1
	s_delay_alu instid0(VALU_DEP_1) | instskip(NEXT) | instid1(VALU_DEP_1)
	v_add_nc_u64_e32 v[4:5], v[2:3], v[4:5]
	v_add_nc_u64_e32 v[4:5], -1, v[4:5]
; %bb.2283:                             ;   in Loop: Header=BB6_130 Depth=2
	s_or_b32 exec_lo, exec_lo, s42
	v_add_nc_u32_e32 v3, 0xffffff81, v53
	v_lshrrev_b32_e32 v5, 23, v2
	s_mov_b32 s10, exec_lo
	s_delay_alu instid0(VALU_DEP_2) | instskip(NEXT) | instid1(VALU_DEP_1)
	v_cndmask_b32_e64 v3, v3, 0xffffff82, vcc_lo
	v_add3_u32 v53, v72, v3, v5
	v_and_b32_e32 v3, 0x1fffff, v4
                                        ; implicit-def: $vgpr4
	s_delay_alu instid0(VALU_DEP_1) | instskip(SKIP_1) | instid1(VALU_DEP_2)
	v_dual_add_nc_u32 v5, 14, v53 :: v_dual_add_nc_u32 v2, v3, v2
	v_mov_b32_e32 v3, v1
	v_cmpx_ne_u32_e32 0, v5
	s_xor_b32 s10, exec_lo, s10
; %bb.2284:                             ;   in Loop: Header=BB6_130 Depth=2
	s_delay_alu instid0(VALU_DEP_2) | instskip(SKIP_1) | instid1(VALU_DEP_1)
	v_cmp_lt_u64_e32 vcc_lo, 0xffffff, v[2:3]
	v_add_nc_u32_e32 v4, 15, v53
	v_cndmask_b32_e32 v4, v5, v4, vcc_lo
	v_cndmask_b32_e64 v5, 0, 1, vcc_lo
	s_delay_alu instid0(VALU_DEP_1)
	v_lshrrev_b64 v[2:3], v5, v[2:3]
; %bb.2285:                             ;   in Loop: Header=BB6_130 Depth=2
	s_and_not1_saveexec_b32 s10, s10
; %bb.2286:                             ;   in Loop: Header=BB6_130 Depth=2
	s_delay_alu instid0(VALU_DEP_1)
	v_bfe_u32 v4, v2, 23, 1
; %bb.2287:                             ;   in Loop: Header=BB6_130 Depth=2
	s_or_b32 exec_lo, exec_lo, s10
	s_delay_alu instid0(VALU_DEP_2) | instskip(NEXT) | instid1(VALU_DEP_2)
	v_lshrrev_b64 v[2:3], 21, v[2:3]
	v_cmp_gt_i32_e32 vcc_lo, 32, v4
	v_min_i32_e32 v5, 31, v4
	v_cmp_eq_u32_e64 s10, 0, v4
	s_delay_alu instid0(VALU_DEP_2) | instskip(SKIP_1) | instid1(VALU_DEP_2)
	v_dual_cndmask_b32 v3, 0, v3, vcc_lo :: v_dual_lshlrev_b32 v5, 2, v5
	v_cndmask_b32_e32 v2, 3, v2, vcc_lo
	v_and_b32_e32 v5, 0xfc, v5
	s_delay_alu instid0(VALU_DEP_2) | instskip(NEXT) | instid1(VALU_DEP_2)
	v_cmp_eq_u64_e32 vcc_lo, 0, v[2:3]
	v_and_or_b32 v2, v2, 3, v5
	s_and_b32 s10, s10, vcc_lo
	s_delay_alu instid0(VALU_DEP_1) | instid1(SALU_CYCLE_1)
	v_cndmask_b32_e64 v2, v2, 0, s10
	s_delay_alu instid0(VALU_DEP_1)
	v_or_b32_e32 v53, v2, v65
.LBB6_2288:                             ;   in Loop: Header=BB6_130 Depth=2
	s_or_b32 exec_lo, exec_lo, s41
                                        ; implicit-def: $vgpr65
.LBB6_2289:                             ;   in Loop: Header=BB6_130 Depth=2
	s_and_not1_saveexec_b32 s10, s40
; %bb.2290:                             ;   in Loop: Header=BB6_130 Depth=2
	v_or_b32_e32 v53, 0x7b, v65
; %bb.2291:                             ;   in Loop: Header=BB6_130 Depth=2
	s_or_b32 exec_lo, exec_lo, s10
                                        ; implicit-def: $vgpr4
                                        ; implicit-def: $vgpr2_vgpr3
                                        ; implicit-def: $vgpr5
.LBB6_2292:                             ;   in Loop: Header=BB6_130 Depth=2
	s_and_not1_saveexec_b32 s10, s29
	s_cbranch_execz .LBB6_2298
; %bb.2293:                             ;   in Loop: Header=BB6_130 Depth=2
	s_mov_b32 s29, exec_lo
                                        ; implicit-def: $vgpr53
	v_cmpx_ne_u64_e32 0, v[2:3]
	s_xor_b32 s29, exec_lo, s29
; %bb.2294:                             ;   in Loop: Header=BB6_130 Depth=2
	v_or_b32_e32 v53, 0x7f, v5
                                        ; implicit-def: $vgpr4
; %bb.2295:                             ;   in Loop: Header=BB6_130 Depth=2
	s_and_not1_saveexec_b32 s29, s29
; %bb.2296:                             ;   in Loop: Header=BB6_130 Depth=2
	v_cmp_lt_i32_e32 vcc_lo, -1, v4
	v_mov_b32_e32 v2, 0x7c
	s_delay_alu instid0(VALU_DEP_1)
	v_cndmask_b32_e32 v53, 0xfc, v2, vcc_lo
; %bb.2297:                             ;   in Loop: Header=BB6_130 Depth=2
	s_or_b32 exec_lo, exec_lo, s29
.LBB6_2298:                             ;   in Loop: Header=BB6_130 Depth=2
	s_delay_alu instid0(SALU_CYCLE_1) | instskip(SKIP_3) | instid1(VALU_DEP_2)
	s_or_b32 exec_lo, exec_lo, s10
	v_dual_mov_b32 v3, 0 :: v_dual_lshrrev_b32 v2, 16, v0
	v_mov_b32_e32 v4, 0
	s_mov_b32 s29, exec_lo
	v_and_b32_e32 v5, 0xff, v2
	s_delay_alu instid0(VALU_DEP_1)
	v_cmpx_ne_u16_e32 0, v5
	s_cbranch_execz .LBB6_2308
; %bb.2299:                             ;   in Loop: Header=BB6_130 Depth=2
	v_bfrev_b32_e32 v4, 1
	s_mov_b32 s40, exec_lo
	v_cmpx_ne_u16_e32 0x80, v5
	s_cbranch_execz .LBB6_2307
; %bb.2300:                             ;   in Loop: Header=BB6_130 Depth=2
	v_and_b32_e32 v4, 0x7c0000, v0
	v_bfe_u32 v5, v0, 16, 2
	s_delay_alu instid0(VALU_DEP_2) | instskip(SKIP_1) | instid1(SALU_CYCLE_1)
	v_cmp_ne_u32_e32 vcc_lo, 0x7c0000, v4
                                        ; implicit-def: $vgpr4
	s_and_saveexec_b32 s10, vcc_lo
	s_xor_b32 s10, exec_lo, s10
	s_cbranch_execz .LBB6_2304
; %bb.2301:                             ;   in Loop: Header=BB6_130 Depth=2
	v_bfe_u32 v4, v0, 18, 5
	s_mov_b32 s41, exec_lo
	s_delay_alu instid0(VALU_DEP_1)
	v_cmpx_eq_u32_e32 0, v4
; %bb.2302:                             ;   in Loop: Header=BB6_130 Depth=2
	v_clz_i32_u32_e32 v4, v5
	s_delay_alu instid0(VALU_DEP_1) | instskip(NEXT) | instid1(VALU_DEP_1)
	v_min_u32_e32 v4, 32, v4
	v_subrev_nc_u32_e32 v5, 29, v4
	v_sub_nc_u32_e32 v4, 30, v4
	s_delay_alu instid0(VALU_DEP_2) | instskip(NEXT) | instid1(VALU_DEP_1)
	v_lshlrev_b64_e32 v[72:73], v5, v[2:3]
	v_and_b32_e32 v5, 3, v72
; %bb.2303:                             ;   in Loop: Header=BB6_130 Depth=2
	s_or_b32 exec_lo, exec_lo, s41
	v_lshlrev_b32_e32 v2, 24, v2
	s_delay_alu instid0(VALU_DEP_1) | instskip(NEXT) | instid1(VALU_DEP_1)
	v_and_b32_e32 v2, 0x80000000, v2
	v_lshl_add_u32 v2, v4, 23, v2
	s_delay_alu instid0(VALU_DEP_1) | instskip(NEXT) | instid1(VALU_DEP_1)
	v_lshl_or_b32 v2, v5, 21, v2
                                        ; implicit-def: $vgpr5
	v_add_nc_u32_e32 v4, 0x38000000, v2
                                        ; implicit-def: $vgpr2
.LBB6_2304:                             ;   in Loop: Header=BB6_130 Depth=2
	s_and_not1_saveexec_b32 s41, s10
; %bb.2305:                             ;   in Loop: Header=BB6_130 Depth=2
	v_bfe_i32 v2, v2, 0, 8
	v_cmp_eq_u32_e32 vcc_lo, 0, v5
	s_delay_alu instid0(VALU_DEP_2) | instskip(SKIP_1) | instid1(VALU_DEP_1)
	v_cmp_lt_i16_e64 s10, -1, v2
	v_mov_b32_e32 v2, 0x7f800000
	v_cndmask_b32_e64 v2, 0xff800000, v2, s10
	s_delay_alu instid0(VALU_DEP_1)
	v_cndmask_b32_e32 v4, 0x7f800001, v2, vcc_lo
; %bb.2306:                             ;   in Loop: Header=BB6_130 Depth=2
	s_or_b32 exec_lo, exec_lo, s41
.LBB6_2307:                             ;   in Loop: Header=BB6_130 Depth=2
	s_delay_alu instid0(SALU_CYCLE_1)
	s_or_b32 exec_lo, exec_lo, s40
.LBB6_2308:                             ;   in Loop: Header=BB6_130 Depth=2
	s_delay_alu instid0(SALU_CYCLE_1) | instskip(SKIP_2) | instid1(VALU_DEP_1)
	s_or_b32 exec_lo, exec_lo, s29
	v_lshrrev_b32_e32 v2, 16, v23
	s_mov_b32 s29, exec_lo
	v_and_b32_e32 v5, 0xff, v2
	s_delay_alu instid0(VALU_DEP_1)
	v_cmpx_ne_u16_e32 0, v5
	s_cbranch_execz .LBB6_2318
; %bb.2309:                             ;   in Loop: Header=BB6_130 Depth=2
	v_bfrev_b32_e32 v3, 1
	s_mov_b32 s40, exec_lo
	v_cmpx_ne_u16_e32 0x80, v5
	s_cbranch_execz .LBB6_2317
; %bb.2310:                             ;   in Loop: Header=BB6_130 Depth=2
	v_and_b32_e32 v3, 0x7c0000, v23
	v_bfe_u32 v5, v23, 16, 2
	s_delay_alu instid0(VALU_DEP_2) | instskip(SKIP_1) | instid1(SALU_CYCLE_1)
	v_cmp_ne_u32_e32 vcc_lo, 0x7c0000, v3
                                        ; implicit-def: $vgpr3
	s_and_saveexec_b32 s10, vcc_lo
	s_xor_b32 s10, exec_lo, s10
	s_cbranch_execz .LBB6_2314
; %bb.2311:                             ;   in Loop: Header=BB6_130 Depth=2
	v_bfe_u32 v3, v23, 18, 5
	s_mov_b32 s41, exec_lo
	s_delay_alu instid0(VALU_DEP_1)
	v_cmpx_eq_u32_e32 0, v3
; %bb.2312:                             ;   in Loop: Header=BB6_130 Depth=2
	v_clz_i32_u32_e32 v3, v5
	s_delay_alu instid0(VALU_DEP_1) | instskip(NEXT) | instid1(VALU_DEP_1)
	v_min_u32_e32 v3, 32, v3
	v_subrev_nc_u32_e32 v5, 29, v3
	s_delay_alu instid0(VALU_DEP_1) | instskip(NEXT) | instid1(VALU_DEP_1)
	v_lshlrev_b64_e32 v[72:73], v5, v[2:3]
	v_dual_sub_nc_u32 v3, 30, v3 :: v_dual_bitop2_b32 v5, 3, v72 bitop3:0x40
; %bb.2313:                             ;   in Loop: Header=BB6_130 Depth=2
	s_or_b32 exec_lo, exec_lo, s41
	v_lshlrev_b32_e32 v2, 24, v2
	s_delay_alu instid0(VALU_DEP_1) | instskip(NEXT) | instid1(VALU_DEP_1)
	v_and_b32_e32 v2, 0x80000000, v2
	v_lshl_add_u32 v2, v3, 23, v2
	s_delay_alu instid0(VALU_DEP_1) | instskip(NEXT) | instid1(VALU_DEP_1)
	v_lshl_or_b32 v2, v5, 21, v2
                                        ; implicit-def: $vgpr5
	v_add_nc_u32_e32 v3, 0x38000000, v2
                                        ; implicit-def: $vgpr2
.LBB6_2314:                             ;   in Loop: Header=BB6_130 Depth=2
	s_and_not1_saveexec_b32 s41, s10
; %bb.2315:                             ;   in Loop: Header=BB6_130 Depth=2
	v_bfe_i32 v2, v2, 0, 8
	v_cmp_eq_u32_e32 vcc_lo, 0, v5
	s_delay_alu instid0(VALU_DEP_2) | instskip(SKIP_1) | instid1(VALU_DEP_1)
	v_cmp_lt_i16_e64 s10, -1, v2
	v_mov_b32_e32 v2, 0x7f800000
	v_cndmask_b32_e64 v2, 0xff800000, v2, s10
	s_delay_alu instid0(VALU_DEP_1)
	v_cndmask_b32_e32 v3, 0x7f800001, v2, vcc_lo
; %bb.2316:                             ;   in Loop: Header=BB6_130 Depth=2
	s_or_b32 exec_lo, exec_lo, s41
.LBB6_2317:                             ;   in Loop: Header=BB6_130 Depth=2
	s_delay_alu instid0(SALU_CYCLE_1)
	s_or_b32 exec_lo, exec_lo, s40
.LBB6_2318:                             ;   in Loop: Header=BB6_130 Depth=2
	s_delay_alu instid0(SALU_CYCLE_1) | instskip(NEXT) | instid1(VALU_DEP_1)
	s_or_b32 exec_lo, exec_lo, s29
	v_dual_add_f32 v4, v4, v3 :: v_dual_mov_b32 v73, v1
	v_mov_b32_e32 v3, v1
                                        ; implicit-def: $vgpr65
	s_mov_b32 s10, exec_lo
	s_delay_alu instid0(VALU_DEP_2) | instskip(SKIP_2) | instid1(VALU_DEP_3)
	v_and_b32_e32 v72, 0x7f800000, v4
	v_and_b32_e32 v2, 0x7fffff, v4
	v_lshrrev_b32_e32 v5, 24, v4
	v_cmpx_ne_u64_e32 0x7f800000, v[72:73]
	s_xor_b32 s29, exec_lo, s10
	s_cbranch_execz .LBB6_2332
; %bb.2319:                             ;   in Loop: Header=BB6_130 Depth=2
	v_and_b32_e32 v72, 0x7fffffff, v4
	v_mov_b32_e32 v73, v1
                                        ; implicit-def: $vgpr65
	s_delay_alu instid0(VALU_DEP_1) | instskip(SKIP_2) | instid1(SALU_CYCLE_1)
	v_cmp_gt_u64_e32 vcc_lo, 0x47600001, v[72:73]
	v_and_b32_e32 v72, 0x80, v5
	s_and_saveexec_b32 s10, vcc_lo
	s_xor_b32 s40, exec_lo, s10
	s_cbranch_execz .LBB6_2329
; %bb.2320:                             ;   in Loop: Header=BB6_130 Depth=2
	v_mov_b32_e32 v65, 0
	s_mov_b32 s41, exec_lo
	v_cmpx_ne_u32_e32 0, v4
	s_cbranch_execz .LBB6_2328
; %bb.2321:                             ;   in Loop: Header=BB6_130 Depth=2
	v_bfe_u32 v65, v4, 23, 8
	v_or_b32_e32 v5, 0x800000, v2
	s_delay_alu instid0(VALU_DEP_2) | instskip(SKIP_2) | instid1(VALU_DEP_2)
	v_cmp_gt_u32_e64 s10, 0x72, v65
	v_sub_nc_u32_e32 v4, 0x71, v65
	v_cmp_eq_u32_e32 vcc_lo, 0, v65
	v_dual_cndmask_b32 v4, 0, v4, s10 :: v_dual_cndmask_b32 v2, v5, v2, vcc_lo
	s_delay_alu instid0(VALU_DEP_1) | instskip(NEXT) | instid1(VALU_DEP_1)
	v_cndmask_b32_e64 v73, v4, 0x70, vcc_lo
	v_dual_add_nc_u32 v4, 21, v73 :: v_dual_add_nc_u32 v74, 20, v73
	s_delay_alu instid0(VALU_DEP_1) | instskip(NEXT) | instid1(VALU_DEP_2)
	v_lshlrev_b64_e64 v[4:5], v4, -1
	v_lshlrev_b64_e64 v[74:75], v74, 1
	s_delay_alu instid0(VALU_DEP_2) | instskip(SKIP_1) | instid1(VALU_DEP_4)
	v_bfi_b32 v4, v4, 0, v2
	v_lshrrev_b64 v[2:3], v73, v[2:3]
	v_bfi_b32 v5, v5, 0, 0
	s_delay_alu instid0(VALU_DEP_1) | instskip(NEXT) | instid1(VALU_DEP_3)
	v_cmp_eq_u64_e64 s10, v[4:5], v[74:75]
	v_mov_b64_e32 v[4:5], v[2:3]
	s_and_saveexec_b32 s42, s10
; %bb.2322:                             ;   in Loop: Header=BB6_130 Depth=2
	v_bfe_u32 v4, v2, 21, 1
	v_mov_b32_e32 v5, v1
	s_delay_alu instid0(VALU_DEP_1) | instskip(NEXT) | instid1(VALU_DEP_1)
	v_add_nc_u64_e32 v[4:5], v[2:3], v[4:5]
	v_add_nc_u64_e32 v[4:5], -1, v[4:5]
; %bb.2323:                             ;   in Loop: Header=BB6_130 Depth=2
	s_or_b32 exec_lo, exec_lo, s42
	v_add_nc_u32_e32 v3, 0xffffff81, v65
	v_lshrrev_b32_e32 v5, 23, v2
	s_mov_b32 s10, exec_lo
	s_delay_alu instid0(VALU_DEP_2) | instskip(NEXT) | instid1(VALU_DEP_1)
	v_cndmask_b32_e64 v3, v3, 0xffffff82, vcc_lo
	v_add3_u32 v65, v73, v3, v5
	v_and_b32_e32 v3, 0x1fffff, v4
                                        ; implicit-def: $vgpr4
	s_delay_alu instid0(VALU_DEP_1) | instskip(SKIP_1) | instid1(VALU_DEP_2)
	v_dual_add_nc_u32 v5, 14, v65 :: v_dual_add_nc_u32 v2, v3, v2
	v_mov_b32_e32 v3, v1
	v_cmpx_ne_u32_e32 0, v5
	s_xor_b32 s10, exec_lo, s10
; %bb.2324:                             ;   in Loop: Header=BB6_130 Depth=2
	s_delay_alu instid0(VALU_DEP_2) | instskip(SKIP_1) | instid1(VALU_DEP_1)
	v_cmp_lt_u64_e32 vcc_lo, 0xffffff, v[2:3]
	v_add_nc_u32_e32 v4, 15, v65
	v_cndmask_b32_e32 v4, v5, v4, vcc_lo
	v_cndmask_b32_e64 v5, 0, 1, vcc_lo
	s_delay_alu instid0(VALU_DEP_1)
	v_lshrrev_b64 v[2:3], v5, v[2:3]
; %bb.2325:                             ;   in Loop: Header=BB6_130 Depth=2
	s_and_not1_saveexec_b32 s10, s10
; %bb.2326:                             ;   in Loop: Header=BB6_130 Depth=2
	s_delay_alu instid0(VALU_DEP_1)
	v_bfe_u32 v4, v2, 23, 1
; %bb.2327:                             ;   in Loop: Header=BB6_130 Depth=2
	s_or_b32 exec_lo, exec_lo, s10
	s_delay_alu instid0(VALU_DEP_2) | instskip(NEXT) | instid1(VALU_DEP_2)
	v_lshrrev_b64 v[2:3], 21, v[2:3]
	v_cmp_gt_i32_e32 vcc_lo, 32, v4
	v_min_i32_e32 v5, 31, v4
	v_cmp_eq_u32_e64 s10, 0, v4
	s_delay_alu instid0(VALU_DEP_2) | instskip(SKIP_1) | instid1(VALU_DEP_2)
	v_dual_cndmask_b32 v3, 0, v3, vcc_lo :: v_dual_lshlrev_b32 v5, 2, v5
	v_cndmask_b32_e32 v2, 3, v2, vcc_lo
	v_and_b32_e32 v5, 0xfc, v5
	s_delay_alu instid0(VALU_DEP_2) | instskip(NEXT) | instid1(VALU_DEP_2)
	v_cmp_eq_u64_e32 vcc_lo, 0, v[2:3]
	v_and_or_b32 v2, v2, 3, v5
	s_and_b32 s10, s10, vcc_lo
	s_delay_alu instid0(VALU_DEP_1) | instid1(SALU_CYCLE_1)
	v_cndmask_b32_e64 v2, v2, 0, s10
	s_delay_alu instid0(VALU_DEP_1)
	v_or_b32_e32 v65, v2, v72
.LBB6_2328:                             ;   in Loop: Header=BB6_130 Depth=2
	s_or_b32 exec_lo, exec_lo, s41
                                        ; implicit-def: $vgpr72
.LBB6_2329:                             ;   in Loop: Header=BB6_130 Depth=2
	s_and_not1_saveexec_b32 s10, s40
; %bb.2330:                             ;   in Loop: Header=BB6_130 Depth=2
	v_or_b32_e32 v65, 0x7b, v72
; %bb.2331:                             ;   in Loop: Header=BB6_130 Depth=2
	s_or_b32 exec_lo, exec_lo, s10
                                        ; implicit-def: $vgpr4
                                        ; implicit-def: $vgpr2_vgpr3
                                        ; implicit-def: $vgpr5
.LBB6_2332:                             ;   in Loop: Header=BB6_130 Depth=2
	s_and_not1_saveexec_b32 s10, s29
	s_cbranch_execz .LBB6_2338
; %bb.2333:                             ;   in Loop: Header=BB6_130 Depth=2
	s_mov_b32 s29, exec_lo
                                        ; implicit-def: $vgpr65
	v_cmpx_ne_u64_e32 0, v[2:3]
	s_xor_b32 s29, exec_lo, s29
; %bb.2334:                             ;   in Loop: Header=BB6_130 Depth=2
	v_or_b32_e32 v65, 0x7f, v5
                                        ; implicit-def: $vgpr4
; %bb.2335:                             ;   in Loop: Header=BB6_130 Depth=2
	s_and_not1_saveexec_b32 s29, s29
; %bb.2336:                             ;   in Loop: Header=BB6_130 Depth=2
	v_cmp_lt_i32_e32 vcc_lo, -1, v4
	v_mov_b32_e32 v2, 0x7c
	s_delay_alu instid0(VALU_DEP_1)
	v_cndmask_b32_e32 v65, 0xfc, v2, vcc_lo
; %bb.2337:                             ;   in Loop: Header=BB6_130 Depth=2
	s_or_b32 exec_lo, exec_lo, s29
.LBB6_2338:                             ;   in Loop: Header=BB6_130 Depth=2
	s_delay_alu instid0(SALU_CYCLE_1)
	s_or_b32 exec_lo, exec_lo, s10
	v_dual_mov_b32 v3, 0 :: v_dual_mov_b32 v4, 0
	s_mov_b32 s29, exec_lo
	v_cmpx_lt_u32_e32 0xffffff, v0
	s_cbranch_execz .LBB6_2348
; %bb.2339:                             ;   in Loop: Header=BB6_130 Depth=2
	v_lshrrev_b32_e32 v2, 24, v0
	v_bfrev_b32_e32 v4, 1
	s_mov_b32 s40, exec_lo
	s_delay_alu instid0(VALU_DEP_2)
	v_cmpx_ne_u32_e32 0x80, v2
	s_cbranch_execz .LBB6_2347
; %bb.2340:                             ;   in Loop: Header=BB6_130 Depth=2
	v_and_b32_e32 v4, 0x7c000000, v0
	v_bfe_u32 v5, v0, 24, 2
	s_delay_alu instid0(VALU_DEP_2) | instskip(SKIP_1) | instid1(SALU_CYCLE_1)
	v_cmp_ne_u32_e32 vcc_lo, 0x7c000000, v4
                                        ; implicit-def: $vgpr4
	s_and_saveexec_b32 s10, vcc_lo
	s_xor_b32 s10, exec_lo, s10
	s_cbranch_execz .LBB6_2344
; %bb.2341:                             ;   in Loop: Header=BB6_130 Depth=2
	v_bfe_u32 v4, v0, 26, 5
	s_mov_b32 s41, exec_lo
	s_delay_alu instid0(VALU_DEP_1)
	v_cmpx_eq_u32_e32 0, v4
; %bb.2342:                             ;   in Loop: Header=BB6_130 Depth=2
	v_clz_i32_u32_e32 v4, v5
	s_delay_alu instid0(VALU_DEP_1) | instskip(NEXT) | instid1(VALU_DEP_1)
	v_min_u32_e32 v4, 32, v4
	v_subrev_nc_u32_e32 v5, 29, v4
	v_sub_nc_u32_e32 v4, 30, v4
	s_delay_alu instid0(VALU_DEP_2) | instskip(NEXT) | instid1(VALU_DEP_1)
	v_lshlrev_b64_e32 v[72:73], v5, v[2:3]
	v_and_b32_e32 v5, 3, v72
; %bb.2343:                             ;   in Loop: Header=BB6_130 Depth=2
	s_or_b32 exec_lo, exec_lo, s41
	v_and_b32_e32 v0, 0x80000000, v0
	s_delay_alu instid0(VALU_DEP_1) | instskip(NEXT) | instid1(VALU_DEP_1)
	v_lshl_add_u32 v0, v4, 23, v0
	v_lshl_or_b32 v0, v5, 21, v0
                                        ; implicit-def: $vgpr5
	s_delay_alu instid0(VALU_DEP_1)
	v_add_nc_u32_e32 v4, 0x38000000, v0
.LBB6_2344:                             ;   in Loop: Header=BB6_130 Depth=2
	s_and_not1_saveexec_b32 s41, s10
; %bb.2345:                             ;   in Loop: Header=BB6_130 Depth=2
	v_cmp_lt_i32_e64 s10, -1, v0
	v_mov_b32_e32 v0, 0x7f800000
	v_cmp_eq_u32_e32 vcc_lo, 0, v5
	s_delay_alu instid0(VALU_DEP_2) | instskip(NEXT) | instid1(VALU_DEP_1)
	v_cndmask_b32_e64 v0, 0xff800000, v0, s10
	v_cndmask_b32_e32 v4, 0x7f800001, v0, vcc_lo
; %bb.2346:                             ;   in Loop: Header=BB6_130 Depth=2
	s_or_b32 exec_lo, exec_lo, s41
.LBB6_2347:                             ;   in Loop: Header=BB6_130 Depth=2
	s_delay_alu instid0(SALU_CYCLE_1)
	s_or_b32 exec_lo, exec_lo, s40
.LBB6_2348:                             ;   in Loop: Header=BB6_130 Depth=2
	s_delay_alu instid0(SALU_CYCLE_1) | instskip(NEXT) | instid1(SALU_CYCLE_1)
	s_or_b32 exec_lo, exec_lo, s29
	s_mov_b32 s29, exec_lo
	v_cmpx_lt_u64_e64 s[12:13], v[22:23]
	s_cbranch_execz .LBB6_2358
; %bb.2349:                             ;   in Loop: Header=BB6_130 Depth=2
	v_lshrrev_b32_e32 v0, 24, v23
	v_bfrev_b32_e32 v3, 1
	s_mov_b32 s40, exec_lo
	s_delay_alu instid0(VALU_DEP_2)
	v_cmpx_ne_u32_e32 0x80, v0
	s_cbranch_execz .LBB6_2357
; %bb.2350:                             ;   in Loop: Header=BB6_130 Depth=2
	v_and_b32_e32 v3, 0x7c000000, v23
	v_bfe_u32 v2, v23, 24, 2
	s_delay_alu instid0(VALU_DEP_2) | instskip(SKIP_1) | instid1(SALU_CYCLE_1)
	v_cmp_ne_u32_e32 vcc_lo, 0x7c000000, v3
                                        ; implicit-def: $vgpr3
	s_and_saveexec_b32 s10, vcc_lo
	s_xor_b32 s10, exec_lo, s10
	s_cbranch_execz .LBB6_2354
; %bb.2351:                             ;   in Loop: Header=BB6_130 Depth=2
	v_bfe_u32 v3, v23, 26, 5
	s_mov_b32 s41, exec_lo
	s_delay_alu instid0(VALU_DEP_1)
	v_cmpx_eq_u32_e32 0, v3
; %bb.2352:                             ;   in Loop: Header=BB6_130 Depth=2
	v_clz_i32_u32_e32 v2, v2
	s_delay_alu instid0(VALU_DEP_1) | instskip(NEXT) | instid1(VALU_DEP_1)
	v_min_u32_e32 v5, 32, v2
	v_subrev_nc_u32_e32 v2, 29, v5
	s_delay_alu instid0(VALU_DEP_1) | instskip(NEXT) | instid1(VALU_DEP_1)
	v_lshlrev_b64_e32 v[2:3], v2, v[0:1]
	v_dual_sub_nc_u32 v3, 30, v5 :: v_dual_bitop2_b32 v2, 3, v2 bitop3:0x40
; %bb.2353:                             ;   in Loop: Header=BB6_130 Depth=2
	s_or_b32 exec_lo, exec_lo, s41
	v_and_b32_e32 v0, 0x80000000, v23
	s_delay_alu instid0(VALU_DEP_1) | instskip(NEXT) | instid1(VALU_DEP_1)
	v_lshl_add_u32 v0, v3, 23, v0
	v_lshl_or_b32 v0, v2, 21, v0
                                        ; implicit-def: $vgpr2
	s_delay_alu instid0(VALU_DEP_1)
	v_add_nc_u32_e32 v3, 0x38000000, v0
.LBB6_2354:                             ;   in Loop: Header=BB6_130 Depth=2
	s_and_not1_saveexec_b32 s41, s10
; %bb.2355:                             ;   in Loop: Header=BB6_130 Depth=2
	v_cmp_lt_i64_e64 s10, -1, v[22:23]
	v_mov_b32_e32 v0, 0x7f800000
	v_cmp_eq_u32_e32 vcc_lo, 0, v2
	s_delay_alu instid0(VALU_DEP_2) | instskip(NEXT) | instid1(VALU_DEP_1)
	v_cndmask_b32_e64 v0, 0xff800000, v0, s10
	v_cndmask_b32_e32 v3, 0x7f800001, v0, vcc_lo
; %bb.2356:                             ;   in Loop: Header=BB6_130 Depth=2
	s_or_b32 exec_lo, exec_lo, s41
.LBB6_2357:                             ;   in Loop: Header=BB6_130 Depth=2
	s_delay_alu instid0(SALU_CYCLE_1)
	s_or_b32 exec_lo, exec_lo, s40
.LBB6_2358:                             ;   in Loop: Header=BB6_130 Depth=2
	s_delay_alu instid0(SALU_CYCLE_1) | instskip(NEXT) | instid1(VALU_DEP_1)
	s_or_b32 exec_lo, exec_lo, s29
	v_dual_add_f32 v2, v4, v3 :: v_dual_mov_b32 v5, v1
                                        ; implicit-def: $vgpr22
	s_mov_b32 s10, exec_lo
	s_delay_alu instid0(VALU_DEP_1) | instskip(SKIP_2) | instid1(VALU_DEP_3)
	v_and_b32_e32 v4, 0x7f800000, v2
	v_and_b32_e32 v0, 0x7fffff, v2
	v_lshrrev_b32_e32 v3, 24, v2
	v_cmpx_ne_u64_e32 0x7f800000, v[4:5]
	s_xor_b32 s29, exec_lo, s10
	s_cbranch_execz .LBB6_2372
; %bb.2359:                             ;   in Loop: Header=BB6_130 Depth=2
	v_and_b32_e32 v4, 0x7fffffff, v2
	v_mov_b32_e32 v5, v1
	v_and_b32_e32 v23, 0x80, v3
                                        ; implicit-def: $vgpr22
	s_mov_b32 s10, exec_lo
	s_delay_alu instid0(VALU_DEP_2)
	v_cmpx_gt_u64_e32 0x47600001, v[4:5]
	s_xor_b32 s40, exec_lo, s10
	s_cbranch_execz .LBB6_2369
; %bb.2360:                             ;   in Loop: Header=BB6_130 Depth=2
	v_mov_b32_e32 v22, 0
	s_mov_b32 s41, exec_lo
	v_cmpx_ne_u32_e32 0, v2
	s_cbranch_execz .LBB6_2368
; %bb.2361:                             ;   in Loop: Header=BB6_130 Depth=2
	v_bfe_u32 v22, v2, 23, 8
	v_or_b32_e32 v3, 0x800000, v0
	s_delay_alu instid0(VALU_DEP_2) | instskip(SKIP_2) | instid1(VALU_DEP_2)
	v_cmp_gt_u32_e64 s10, 0x72, v22
	v_sub_nc_u32_e32 v2, 0x71, v22
	v_cmp_eq_u32_e32 vcc_lo, 0, v22
	v_cndmask_b32_e64 v2, 0, v2, s10
	s_delay_alu instid0(VALU_DEP_1) | instskip(SKIP_1) | instid1(VALU_DEP_2)
	v_cndmask_b32_e64 v72, v2, 0x70, vcc_lo
	v_dual_cndmask_b32 v2, v3, v0 :: v_dual_mov_b32 v3, v1
	v_add_nc_u32_e32 v0, 21, v72
	s_delay_alu instid0(VALU_DEP_1) | instskip(SKIP_1) | instid1(VALU_DEP_1)
	v_lshlrev_b64_e64 v[4:5], v0, -1
	v_add_nc_u32_e32 v0, 20, v72
	v_lshlrev_b64_e64 v[74:75], v0, 1
	s_delay_alu instid0(VALU_DEP_3) | instskip(SKIP_2) | instid1(VALU_DEP_1)
	v_bfi_b32 v4, v4, 0, v2
	v_lshrrev_b64 v[2:3], v72, v[2:3]
	v_bfi_b32 v5, v5, 0, 0
	v_cmp_eq_u64_e64 s10, v[4:5], v[74:75]
	s_delay_alu instid0(VALU_DEP_3)
	v_mov_b64_e32 v[4:5], v[2:3]
	s_and_saveexec_b32 s42, s10
; %bb.2362:                             ;   in Loop: Header=BB6_130 Depth=2
	v_bfe_u32 v4, v2, 21, 1
	v_mov_b32_e32 v5, v1
	s_delay_alu instid0(VALU_DEP_1) | instskip(NEXT) | instid1(VALU_DEP_1)
	v_add_nc_u64_e32 v[4:5], v[2:3], v[4:5]
	v_add_nc_u64_e32 v[4:5], -1, v[4:5]
; %bb.2363:                             ;   in Loop: Header=BB6_130 Depth=2
	s_or_b32 exec_lo, exec_lo, s42
	v_add_nc_u32_e32 v0, 0xffffff81, v22
	v_lshrrev_b32_e32 v3, 23, v2
	s_mov_b32 s10, exec_lo
	s_delay_alu instid0(VALU_DEP_2) | instskip(NEXT) | instid1(VALU_DEP_1)
	v_cndmask_b32_e64 v0, v0, 0xffffff82, vcc_lo
	v_add3_u32 v22, v72, v0, v3
	v_and_b32_e32 v0, 0x1fffff, v4
                                        ; implicit-def: $vgpr4
	s_delay_alu instid0(VALU_DEP_2) | instskip(NEXT) | instid1(VALU_DEP_2)
	v_add_nc_u32_e32 v5, 14, v22
	v_add_nc_u32_e32 v0, v0, v2
                                        ; implicit-def: $vgpr2_vgpr3
	s_delay_alu instid0(VALU_DEP_2)
	v_cmpx_ne_u32_e32 0, v5
	s_xor_b32 s10, exec_lo, s10
; %bb.2364:                             ;   in Loop: Header=BB6_130 Depth=2
	s_delay_alu instid0(VALU_DEP_2) | instskip(SKIP_1) | instid1(VALU_DEP_1)
	v_cmp_lt_u64_e32 vcc_lo, 0xffffff, v[0:1]
	v_add_nc_u32_e32 v2, 15, v22
	v_cndmask_b32_e32 v4, v5, v2, vcc_lo
	v_cndmask_b32_e64 v2, 0, 1, vcc_lo
	s_delay_alu instid0(VALU_DEP_1)
	v_lshrrev_b64 v[2:3], v2, v[0:1]
; %bb.2365:                             ;   in Loop: Header=BB6_130 Depth=2
	s_and_not1_saveexec_b32 s10, s10
; %bb.2366:                             ;   in Loop: Header=BB6_130 Depth=2
	v_mov_b64_e32 v[2:3], v[0:1]
	v_bfe_u32 v4, v0, 23, 1
; %bb.2367:                             ;   in Loop: Header=BB6_130 Depth=2
	s_or_b32 exec_lo, exec_lo, s10
	s_delay_alu instid0(VALU_DEP_2) | instskip(NEXT) | instid1(VALU_DEP_2)
	v_lshrrev_b64 v[2:3], 21, v[2:3]
	v_cmp_gt_i32_e32 vcc_lo, 32, v4
	v_min_i32_e32 v0, 31, v4
	v_cmp_eq_u32_e64 s10, 0, v4
	s_delay_alu instid0(VALU_DEP_2) | instskip(SKIP_1) | instid1(VALU_DEP_2)
	v_dual_cndmask_b32 v3, 0, v3 :: v_dual_lshlrev_b32 v0, 2, v0
	v_cndmask_b32_e32 v2, 3, v2, vcc_lo
	v_and_b32_e32 v0, 0xfc, v0
	s_delay_alu instid0(VALU_DEP_2) | instskip(NEXT) | instid1(VALU_DEP_2)
	v_cmp_eq_u64_e32 vcc_lo, 0, v[2:3]
	v_and_or_b32 v0, v2, 3, v0
	s_and_b32 s10, s10, vcc_lo
	s_delay_alu instid0(VALU_DEP_1) | instid1(SALU_CYCLE_1)
	v_cndmask_b32_e64 v0, v0, 0, s10
	s_delay_alu instid0(VALU_DEP_1)
	v_or_b32_e32 v22, v0, v23
.LBB6_2368:                             ;   in Loop: Header=BB6_130 Depth=2
	s_or_b32 exec_lo, exec_lo, s41
                                        ; implicit-def: $vgpr23
.LBB6_2369:                             ;   in Loop: Header=BB6_130 Depth=2
	s_and_not1_saveexec_b32 s10, s40
; %bb.2370:                             ;   in Loop: Header=BB6_130 Depth=2
	v_or_b32_e32 v22, 0x7b, v23
; %bb.2371:                             ;   in Loop: Header=BB6_130 Depth=2
	s_or_b32 exec_lo, exec_lo, s10
                                        ; implicit-def: $vgpr2
                                        ; implicit-def: $vgpr3
.LBB6_2372:                             ;   in Loop: Header=BB6_130 Depth=2
	s_and_not1_saveexec_b32 s10, s29
	s_cbranch_execz .LBB6_2378
; %bb.2373:                             ;   in Loop: Header=BB6_130 Depth=2
	s_mov_b32 s29, exec_lo
                                        ; implicit-def: $vgpr22
	v_cmpx_ne_u64_e32 0, v[0:1]
	s_xor_b32 s29, exec_lo, s29
; %bb.2374:                             ;   in Loop: Header=BB6_130 Depth=2
	v_or_b32_e32 v22, 0x7f, v3
                                        ; implicit-def: $vgpr2
; %bb.2375:                             ;   in Loop: Header=BB6_130 Depth=2
	s_and_not1_saveexec_b32 s29, s29
; %bb.2376:                             ;   in Loop: Header=BB6_130 Depth=2
	v_cmp_lt_i32_e32 vcc_lo, -1, v2
	v_mov_b32_e32 v0, 0x7c
	s_delay_alu instid0(VALU_DEP_1)
	v_cndmask_b32_e32 v22, 0xfc, v0, vcc_lo
; %bb.2377:                             ;   in Loop: Header=BB6_130 Depth=2
	s_or_b32 exec_lo, exec_lo, s29
.LBB6_2378:                             ;   in Loop: Header=BB6_130 Depth=2
	s_delay_alu instid0(SALU_CYCLE_1) | instskip(SKIP_4) | instid1(VALU_DEP_2)
	s_or_b32 exec_lo, exec_lo, s10
	v_lshl_or_b32 v87, v87, 8, v84
	v_dual_lshlrev_b32 v0, 16, v118 :: v_dual_lshlrev_b32 v2, 24, v63
	s_mov_b32 s29, exec_lo
	v_mov_b32_e32 v3, 0
	v_or3_b32 v0, v0, v2, v87
	v_mov_b32_e32 v2, 0
	v_cmpx_ne_u32_e32 0, v84
	s_cbranch_execz .LBB6_2388
; %bb.2379:                             ;   in Loop: Header=BB6_130 Depth=2
	v_bfrev_b32_e32 v3, 1
	s_mov_b32 s40, exec_lo
	v_cmpx_ne_u32_e32 0x80, v84
	s_cbranch_execz .LBB6_2387
; %bb.2380:                             ;   in Loop: Header=BB6_130 Depth=2
	v_and_b32_e32 v3, 0x7c, v84
	v_and_b32_e32 v4, 3, v84
	s_delay_alu instid0(VALU_DEP_2) | instskip(SKIP_1) | instid1(SALU_CYCLE_1)
	v_cmp_ne_u32_e32 vcc_lo, 0x7c, v3
                                        ; implicit-def: $vgpr3
	s_and_saveexec_b32 s10, vcc_lo
	s_xor_b32 s10, exec_lo, s10
	s_cbranch_execz .LBB6_2384
; %bb.2381:                             ;   in Loop: Header=BB6_130 Depth=2
	v_bfe_u32 v3, v84, 2, 5
	s_mov_b32 s41, exec_lo
	s_delay_alu instid0(VALU_DEP_1)
	v_cmpx_eq_u32_e32 0, v3
; %bb.2382:                             ;   in Loop: Header=BB6_130 Depth=2
	v_clz_i32_u32_e32 v3, v4
	s_delay_alu instid0(VALU_DEP_1) | instskip(NEXT) | instid1(VALU_DEP_1)
	v_min_u32_e32 v3, 32, v3
	v_subrev_nc_u32_e32 v4, 29, v3
	s_delay_alu instid0(VALU_DEP_1) | instskip(NEXT) | instid1(VALU_DEP_1)
	v_lshlrev_b64_e32 v[4:5], v4, v[0:1]
	v_dual_sub_nc_u32 v3, 30, v3 :: v_dual_bitop2_b32 v4, 3, v4 bitop3:0x40
; %bb.2383:                             ;   in Loop: Header=BB6_130 Depth=2
	s_or_b32 exec_lo, exec_lo, s41
	v_lshlrev_b32_e32 v5, 24, v84
                                        ; implicit-def: $vgpr84
	s_delay_alu instid0(VALU_DEP_1) | instskip(NEXT) | instid1(VALU_DEP_1)
	v_and_b32_e32 v5, 0x80000000, v5
	v_lshl_add_u32 v3, v3, 23, v5
	s_delay_alu instid0(VALU_DEP_1) | instskip(NEXT) | instid1(VALU_DEP_1)
	v_lshl_or_b32 v3, v4, 21, v3
                                        ; implicit-def: $vgpr4
	v_add_nc_u32_e32 v3, 0x38000000, v3
.LBB6_2384:                             ;   in Loop: Header=BB6_130 Depth=2
	s_and_not1_saveexec_b32 s41, s10
; %bb.2385:                             ;   in Loop: Header=BB6_130 Depth=2
	v_and_b32_e32 v3, 0x80, v84
	v_cmp_eq_u32_e32 vcc_lo, 0, v4
	s_delay_alu instid0(VALU_DEP_2) | instskip(SKIP_1) | instid1(VALU_DEP_1)
	v_cmp_eq_u32_e64 s10, 0, v3
	v_mov_b32_e32 v3, 0x7f800000
	v_cndmask_b32_e64 v3, 0xff800000, v3, s10
	s_delay_alu instid0(VALU_DEP_1)
	v_cndmask_b32_e32 v3, 0x7f800001, v3, vcc_lo
; %bb.2386:                             ;   in Loop: Header=BB6_130 Depth=2
	s_or_b32 exec_lo, exec_lo, s41
.LBB6_2387:                             ;   in Loop: Header=BB6_130 Depth=2
	s_delay_alu instid0(SALU_CYCLE_1)
	s_or_b32 exec_lo, exec_lo, s40
.LBB6_2388:                             ;   in Loop: Header=BB6_130 Depth=2
	s_delay_alu instid0(SALU_CYCLE_1) | instskip(SKIP_2) | instid1(VALU_DEP_1)
	s_or_b32 exec_lo, exec_lo, s29
	v_and_b32_e32 v4, 0xff, v24
	s_mov_b32 s29, exec_lo
	v_cmpx_ne_u16_e32 0, v4
	s_cbranch_execz .LBB6_2398
; %bb.2389:                             ;   in Loop: Header=BB6_130 Depth=2
	v_bfe_i32 v5, v24, 0, 8
	v_bfrev_b32_e32 v2, 1
	s_mov_b32 s40, exec_lo
	s_delay_alu instid0(VALU_DEP_2)
	v_cmpx_ne_u16_e32 0xff80, v5
	s_cbranch_execz .LBB6_2397
; %bb.2390:                             ;   in Loop: Header=BB6_130 Depth=2
	v_and_b32_e32 v2, 0x7c, v24
	v_and_b32_e32 v4, 3, v24
	s_delay_alu instid0(VALU_DEP_2) | instskip(SKIP_1) | instid1(SALU_CYCLE_1)
	v_cmp_ne_u32_e32 vcc_lo, 0x7c, v2
                                        ; implicit-def: $vgpr2
	s_and_saveexec_b32 s10, vcc_lo
	s_xor_b32 s10, exec_lo, s10
	s_cbranch_execz .LBB6_2394
; %bb.2391:                             ;   in Loop: Header=BB6_130 Depth=2
	v_bfe_u32 v2, v24, 2, 5
	s_mov_b32 s41, exec_lo
	s_delay_alu instid0(VALU_DEP_1)
	v_cmpx_eq_u32_e32 0, v2
; %bb.2392:                             ;   in Loop: Header=BB6_130 Depth=2
	v_clz_i32_u32_e32 v2, v4
	s_delay_alu instid0(VALU_DEP_1) | instskip(NEXT) | instid1(VALU_DEP_1)
	v_min_u32_e32 v2, 32, v2
	v_subrev_nc_u32_e32 v4, 29, v2
	s_delay_alu instid0(VALU_DEP_1) | instskip(NEXT) | instid1(VALU_DEP_1)
	v_lshlrev_b64_e32 v[4:5], v4, v[24:25]
	v_dual_sub_nc_u32 v2, 30, v2 :: v_dual_bitop2_b32 v4, 3, v4 bitop3:0x40
; %bb.2393:                             ;   in Loop: Header=BB6_130 Depth=2
	s_or_b32 exec_lo, exec_lo, s41
	v_lshlrev_b32_e32 v5, 24, v24
	s_delay_alu instid0(VALU_DEP_1) | instskip(NEXT) | instid1(VALU_DEP_1)
	v_and_b32_e32 v5, 0x80000000, v5
	v_lshl_add_u32 v2, v2, 23, v5
                                        ; implicit-def: $vgpr5
	s_delay_alu instid0(VALU_DEP_1) | instskip(NEXT) | instid1(VALU_DEP_1)
	v_lshl_or_b32 v2, v4, 21, v2
                                        ; implicit-def: $vgpr4
	v_add_nc_u32_e32 v2, 0x38000000, v2
.LBB6_2394:                             ;   in Loop: Header=BB6_130 Depth=2
	s_and_not1_saveexec_b32 s41, s10
; %bb.2395:                             ;   in Loop: Header=BB6_130 Depth=2
	v_cmp_lt_i16_e64 s10, -1, v5
	v_mov_b32_e32 v2, 0x7f800000
	v_cmp_eq_u32_e32 vcc_lo, 0, v4
	s_delay_alu instid0(VALU_DEP_2) | instskip(NEXT) | instid1(VALU_DEP_1)
	v_cndmask_b32_e64 v2, 0xff800000, v2, s10
	v_cndmask_b32_e32 v2, 0x7f800001, v2, vcc_lo
; %bb.2396:                             ;   in Loop: Header=BB6_130 Depth=2
	s_or_b32 exec_lo, exec_lo, s41
.LBB6_2397:                             ;   in Loop: Header=BB6_130 Depth=2
	s_delay_alu instid0(SALU_CYCLE_1)
	s_or_b32 exec_lo, exec_lo, s40
.LBB6_2398:                             ;   in Loop: Header=BB6_130 Depth=2
	s_delay_alu instid0(SALU_CYCLE_1) | instskip(NEXT) | instid1(VALU_DEP_1)
	s_or_b32 exec_lo, exec_lo, s29
	v_dual_add_f32 v4, v3, v2 :: v_dual_mov_b32 v73, v1
	v_mov_b32_e32 v3, v1
                                        ; implicit-def: $vgpr23
	s_mov_b32 s10, exec_lo
	s_delay_alu instid0(VALU_DEP_2) | instskip(SKIP_2) | instid1(VALU_DEP_3)
	v_and_b32_e32 v72, 0x7f800000, v4
	v_and_b32_e32 v2, 0x7fffff, v4
	v_lshrrev_b32_e32 v5, 24, v4
	v_cmpx_ne_u64_e32 0x7f800000, v[72:73]
	s_xor_b32 s29, exec_lo, s10
	s_cbranch_execz .LBB6_2412
; %bb.2399:                             ;   in Loop: Header=BB6_130 Depth=2
	v_and_b32_e32 v72, 0x7fffffff, v4
	v_mov_b32_e32 v73, v1
	v_and_b32_e32 v84, 0x80, v5
                                        ; implicit-def: $vgpr23
	s_mov_b32 s10, exec_lo
	s_delay_alu instid0(VALU_DEP_2)
	v_cmpx_gt_u64_e32 0x47600001, v[72:73]
	s_xor_b32 s40, exec_lo, s10
	s_cbranch_execz .LBB6_2409
; %bb.2400:                             ;   in Loop: Header=BB6_130 Depth=2
	v_mov_b32_e32 v23, 0
	s_mov_b32 s41, exec_lo
	v_cmpx_ne_u32_e32 0, v4
	s_cbranch_execz .LBB6_2408
; %bb.2401:                             ;   in Loop: Header=BB6_130 Depth=2
	v_bfe_u32 v23, v4, 23, 8
	v_or_b32_e32 v5, 0x800000, v2
	s_delay_alu instid0(VALU_DEP_2) | instskip(SKIP_2) | instid1(VALU_DEP_2)
	v_cmp_gt_u32_e64 s10, 0x72, v23
	v_sub_nc_u32_e32 v4, 0x71, v23
	v_cmp_eq_u32_e32 vcc_lo, 0, v23
	v_dual_cndmask_b32 v4, 0, v4, s10 :: v_dual_cndmask_b32 v2, v5, v2, vcc_lo
	s_delay_alu instid0(VALU_DEP_1) | instskip(NEXT) | instid1(VALU_DEP_1)
	v_cndmask_b32_e64 v118, v4, 0x70, vcc_lo
	v_dual_add_nc_u32 v4, 21, v118 :: v_dual_add_nc_u32 v63, 20, v118
	s_delay_alu instid0(VALU_DEP_1) | instskip(NEXT) | instid1(VALU_DEP_2)
	v_lshlrev_b64_e64 v[4:5], v4, -1
	v_lshlrev_b64_e64 v[72:73], v63, 1
	s_delay_alu instid0(VALU_DEP_2) | instskip(SKIP_1) | instid1(VALU_DEP_4)
	v_bfi_b32 v4, v4, 0, v2
	v_lshrrev_b64 v[2:3], v118, v[2:3]
	v_bfi_b32 v5, v5, 0, 0
	s_delay_alu instid0(VALU_DEP_1) | instskip(NEXT) | instid1(VALU_DEP_3)
	v_cmp_eq_u64_e64 s10, v[4:5], v[72:73]
	v_mov_b64_e32 v[4:5], v[2:3]
	s_and_saveexec_b32 s42, s10
; %bb.2402:                             ;   in Loop: Header=BB6_130 Depth=2
	v_bfe_u32 v4, v2, 21, 1
	v_mov_b32_e32 v5, v1
	s_delay_alu instid0(VALU_DEP_1) | instskip(NEXT) | instid1(VALU_DEP_1)
	v_add_nc_u64_e32 v[4:5], v[2:3], v[4:5]
	v_add_nc_u64_e32 v[4:5], -1, v[4:5]
; %bb.2403:                             ;   in Loop: Header=BB6_130 Depth=2
	s_or_b32 exec_lo, exec_lo, s42
	v_add_nc_u32_e32 v3, 0xffffff81, v23
	v_lshrrev_b32_e32 v5, 23, v2
	s_mov_b32 s10, exec_lo
	s_delay_alu instid0(VALU_DEP_2) | instskip(NEXT) | instid1(VALU_DEP_1)
	v_cndmask_b32_e64 v3, v3, 0xffffff82, vcc_lo
	v_add3_u32 v23, v118, v3, v5
	v_and_b32_e32 v3, 0x1fffff, v4
                                        ; implicit-def: $vgpr4
	s_delay_alu instid0(VALU_DEP_1) | instskip(SKIP_1) | instid1(VALU_DEP_2)
	v_dual_add_nc_u32 v5, 14, v23 :: v_dual_add_nc_u32 v2, v3, v2
	v_mov_b32_e32 v3, v1
	v_cmpx_ne_u32_e32 0, v5
	s_xor_b32 s10, exec_lo, s10
; %bb.2404:                             ;   in Loop: Header=BB6_130 Depth=2
	s_delay_alu instid0(VALU_DEP_2) | instskip(SKIP_1) | instid1(VALU_DEP_1)
	v_cmp_lt_u64_e32 vcc_lo, 0xffffff, v[2:3]
	v_add_nc_u32_e32 v4, 15, v23
	v_cndmask_b32_e32 v4, v5, v4, vcc_lo
	v_cndmask_b32_e64 v5, 0, 1, vcc_lo
	s_delay_alu instid0(VALU_DEP_1)
	v_lshrrev_b64 v[2:3], v5, v[2:3]
; %bb.2405:                             ;   in Loop: Header=BB6_130 Depth=2
	s_and_not1_saveexec_b32 s10, s10
; %bb.2406:                             ;   in Loop: Header=BB6_130 Depth=2
	s_delay_alu instid0(VALU_DEP_1)
	v_bfe_u32 v4, v2, 23, 1
; %bb.2407:                             ;   in Loop: Header=BB6_130 Depth=2
	s_or_b32 exec_lo, exec_lo, s10
	s_delay_alu instid0(VALU_DEP_2) | instskip(NEXT) | instid1(VALU_DEP_2)
	v_lshrrev_b64 v[2:3], 21, v[2:3]
	v_cmp_gt_i32_e32 vcc_lo, 32, v4
	v_min_i32_e32 v5, 31, v4
	v_cmp_eq_u32_e64 s10, 0, v4
	s_delay_alu instid0(VALU_DEP_2) | instskip(SKIP_1) | instid1(VALU_DEP_2)
	v_dual_cndmask_b32 v3, 0, v3, vcc_lo :: v_dual_lshlrev_b32 v5, 2, v5
	v_cndmask_b32_e32 v2, 3, v2, vcc_lo
	v_and_b32_e32 v5, 0xfc, v5
	s_delay_alu instid0(VALU_DEP_2) | instskip(NEXT) | instid1(VALU_DEP_2)
	v_cmp_eq_u64_e32 vcc_lo, 0, v[2:3]
	v_and_or_b32 v2, v2, 3, v5
	s_and_b32 s10, s10, vcc_lo
	s_delay_alu instid0(VALU_DEP_1) | instid1(SALU_CYCLE_1)
	v_cndmask_b32_e64 v2, v2, 0, s10
	s_delay_alu instid0(VALU_DEP_1)
	v_or_b32_e32 v23, v2, v84
.LBB6_2408:                             ;   in Loop: Header=BB6_130 Depth=2
	s_or_b32 exec_lo, exec_lo, s41
                                        ; implicit-def: $vgpr84
.LBB6_2409:                             ;   in Loop: Header=BB6_130 Depth=2
	s_and_not1_saveexec_b32 s10, s40
; %bb.2410:                             ;   in Loop: Header=BB6_130 Depth=2
	v_or_b32_e32 v23, 0x7b, v84
; %bb.2411:                             ;   in Loop: Header=BB6_130 Depth=2
	s_or_b32 exec_lo, exec_lo, s10
                                        ; implicit-def: $vgpr4
                                        ; implicit-def: $vgpr2_vgpr3
                                        ; implicit-def: $vgpr5
.LBB6_2412:                             ;   in Loop: Header=BB6_130 Depth=2
	s_and_not1_saveexec_b32 s10, s29
	s_cbranch_execz .LBB6_2418
; %bb.2413:                             ;   in Loop: Header=BB6_130 Depth=2
	s_mov_b32 s29, exec_lo
                                        ; implicit-def: $vgpr23
	v_cmpx_ne_u64_e32 0, v[2:3]
	s_xor_b32 s29, exec_lo, s29
; %bb.2414:                             ;   in Loop: Header=BB6_130 Depth=2
	v_or_b32_e32 v23, 0x7f, v5
                                        ; implicit-def: $vgpr4
; %bb.2415:                             ;   in Loop: Header=BB6_130 Depth=2
	s_and_not1_saveexec_b32 s29, s29
; %bb.2416:                             ;   in Loop: Header=BB6_130 Depth=2
	v_cmp_lt_i32_e32 vcc_lo, -1, v4
	v_mov_b32_e32 v2, 0x7c
	s_delay_alu instid0(VALU_DEP_1)
	v_cndmask_b32_e32 v23, 0xfc, v2, vcc_lo
; %bb.2417:                             ;   in Loop: Header=BB6_130 Depth=2
	s_or_b32 exec_lo, exec_lo, s29
.LBB6_2418:                             ;   in Loop: Header=BB6_130 Depth=2
	s_delay_alu instid0(SALU_CYCLE_1) | instskip(SKIP_3) | instid1(VALU_DEP_2)
	s_or_b32 exec_lo, exec_lo, s10
	v_lshrrev_b16 v2, 8, v87
	v_dual_mov_b32 v4, 0 :: v_dual_mov_b32 v5, 0
	s_mov_b32 s29, exec_lo
	v_cmpx_ne_u16_e32 0, v2
	s_cbranch_execz .LBB6_2428
; %bb.2419:                             ;   in Loop: Header=BB6_130 Depth=2
	v_bfrev_b32_e32 v5, 1
	s_mov_b32 s40, exec_lo
	v_cmpx_ne_u16_e32 0x80, v2
	s_cbranch_execz .LBB6_2427
; %bb.2420:                             ;   in Loop: Header=BB6_130 Depth=2
	v_and_b32_e32 v84, 0xffff, v2
	s_delay_alu instid0(VALU_DEP_1) | instskip(SKIP_1) | instid1(VALU_DEP_2)
	v_and_b32_e32 v5, 0x7c, v84
	v_and_b32_e32 v3, 3, v84
	v_cmp_ne_u32_e32 vcc_lo, 0x7c, v5
                                        ; implicit-def: $vgpr5
	s_and_saveexec_b32 s10, vcc_lo
	s_delay_alu instid0(SALU_CYCLE_1)
	s_xor_b32 s10, exec_lo, s10
	s_cbranch_execz .LBB6_2424
; %bb.2421:                             ;   in Loop: Header=BB6_130 Depth=2
	v_bfe_u32 v5, v84, 2, 5
	s_mov_b32 s41, exec_lo
	s_delay_alu instid0(VALU_DEP_1)
	v_cmpx_eq_u32_e32 0, v5
	s_cbranch_execz .LBB6_2423
; %bb.2422:                             ;   in Loop: Header=BB6_130 Depth=2
	v_clz_i32_u32_e32 v3, v3
	s_delay_alu instid0(VALU_DEP_1) | instskip(SKIP_1) | instid1(VALU_DEP_2)
	v_min_u32_e32 v5, 32, v3
	v_mov_b32_e32 v3, v1
	v_subrev_nc_u32_e32 v84, 29, v5
	v_sub_nc_u32_e32 v5, 30, v5
	s_delay_alu instid0(VALU_DEP_2) | instskip(NEXT) | instid1(VALU_DEP_1)
	v_lshlrev_b64_e32 v[2:3], v84, v[2:3]
	v_and_b32_e32 v3, 3, v2
.LBB6_2423:                             ;   in Loop: Header=BB6_130 Depth=2
	s_or_b32 exec_lo, exec_lo, s41
	v_lshlrev_b32_e32 v2, 16, v87
                                        ; implicit-def: $vgpr87
	s_delay_alu instid0(VALU_DEP_1) | instskip(NEXT) | instid1(VALU_DEP_1)
	v_and_b32_e32 v2, 0x80000000, v2
	v_lshl_add_u32 v2, v5, 23, v2
	s_delay_alu instid0(VALU_DEP_1) | instskip(NEXT) | instid1(VALU_DEP_1)
	v_lshl_or_b32 v2, v3, 21, v2
                                        ; implicit-def: $vgpr3
	v_add_nc_u32_e32 v5, 0x38000000, v2
.LBB6_2424:                             ;   in Loop: Header=BB6_130 Depth=2
	s_and_not1_saveexec_b32 s41, s10
; %bb.2425:                             ;   in Loop: Header=BB6_130 Depth=2
	v_cmp_lt_i16_e64 s10, -1, v87
	v_mov_b32_e32 v2, 0x7f800000
	v_cmp_eq_u32_e32 vcc_lo, 0, v3
	s_delay_alu instid0(VALU_DEP_2) | instskip(NEXT) | instid1(VALU_DEP_1)
	v_cndmask_b32_e64 v2, 0xff800000, v2, s10
	v_cndmask_b32_e32 v5, 0x7f800001, v2, vcc_lo
; %bb.2426:                             ;   in Loop: Header=BB6_130 Depth=2
	s_or_b32 exec_lo, exec_lo, s41
.LBB6_2427:                             ;   in Loop: Header=BB6_130 Depth=2
	s_delay_alu instid0(SALU_CYCLE_1)
	s_or_b32 exec_lo, exec_lo, s40
.LBB6_2428:                             ;   in Loop: Header=BB6_130 Depth=2
	s_delay_alu instid0(SALU_CYCLE_1) | instskip(SKIP_2) | instid1(VALU_DEP_1)
	s_or_b32 exec_lo, exec_lo, s29
	v_lshrrev_b16 v2, 8, v24
	s_mov_b32 s29, exec_lo
	v_cmpx_ne_u16_e32 0, v2
	s_cbranch_execz .LBB6_2438
; %bb.2429:                             ;   in Loop: Header=BB6_130 Depth=2
	v_bfrev_b32_e32 v4, 1
	s_mov_b32 s40, exec_lo
	v_cmpx_ne_u16_e32 0x80, v2
	s_cbranch_execz .LBB6_2437
; %bb.2430:                             ;   in Loop: Header=BB6_130 Depth=2
	v_and_b32_e32 v84, 0xffff, v2
	s_delay_alu instid0(VALU_DEP_1) | instskip(SKIP_1) | instid1(VALU_DEP_2)
	v_and_b32_e32 v4, 0x7c, v84
	v_and_b32_e32 v3, 3, v84
	v_cmp_ne_u32_e32 vcc_lo, 0x7c, v4
                                        ; implicit-def: $vgpr4
	s_and_saveexec_b32 s10, vcc_lo
	s_delay_alu instid0(SALU_CYCLE_1)
	s_xor_b32 s10, exec_lo, s10
	s_cbranch_execz .LBB6_2434
; %bb.2431:                             ;   in Loop: Header=BB6_130 Depth=2
	v_bfe_u32 v4, v84, 2, 5
	s_mov_b32 s41, exec_lo
	s_delay_alu instid0(VALU_DEP_1)
	v_cmpx_eq_u32_e32 0, v4
	s_cbranch_execz .LBB6_2433
; %bb.2432:                             ;   in Loop: Header=BB6_130 Depth=2
	v_clz_i32_u32_e32 v3, v3
	s_delay_alu instid0(VALU_DEP_1) | instskip(SKIP_1) | instid1(VALU_DEP_2)
	v_min_u32_e32 v4, 32, v3
	v_mov_b32_e32 v3, v1
	v_subrev_nc_u32_e32 v84, 29, v4
	v_sub_nc_u32_e32 v4, 30, v4
	s_delay_alu instid0(VALU_DEP_2) | instskip(NEXT) | instid1(VALU_DEP_1)
	v_lshlrev_b64_e32 v[2:3], v84, v[2:3]
	v_and_b32_e32 v3, 3, v2
.LBB6_2433:                             ;   in Loop: Header=BB6_130 Depth=2
	s_or_b32 exec_lo, exec_lo, s41
	v_lshlrev_b32_e32 v2, 16, v24
	s_delay_alu instid0(VALU_DEP_1) | instskip(NEXT) | instid1(VALU_DEP_1)
	v_and_b32_e32 v2, 0x80000000, v2
	v_lshl_add_u32 v2, v4, 23, v2
	s_delay_alu instid0(VALU_DEP_1) | instskip(NEXT) | instid1(VALU_DEP_1)
	v_lshl_or_b32 v2, v3, 21, v2
                                        ; implicit-def: $vgpr3
	v_add_nc_u32_e32 v4, 0x38000000, v2
.LBB6_2434:                             ;   in Loop: Header=BB6_130 Depth=2
	s_and_not1_saveexec_b32 s41, s10
; %bb.2435:                             ;   in Loop: Header=BB6_130 Depth=2
	v_cmp_lt_i16_e64 s10, -1, v24
	v_mov_b32_e32 v2, 0x7f800000
	v_cmp_eq_u32_e32 vcc_lo, 0, v3
	s_delay_alu instid0(VALU_DEP_2) | instskip(NEXT) | instid1(VALU_DEP_1)
	v_cndmask_b32_e64 v2, 0xff800000, v2, s10
	v_cndmask_b32_e32 v4, 0x7f800001, v2, vcc_lo
; %bb.2436:                             ;   in Loop: Header=BB6_130 Depth=2
	s_or_b32 exec_lo, exec_lo, s41
.LBB6_2437:                             ;   in Loop: Header=BB6_130 Depth=2
	s_delay_alu instid0(SALU_CYCLE_1)
	s_or_b32 exec_lo, exec_lo, s40
.LBB6_2438:                             ;   in Loop: Header=BB6_130 Depth=2
	s_delay_alu instid0(SALU_CYCLE_1) | instskip(NEXT) | instid1(VALU_DEP_1)
	s_or_b32 exec_lo, exec_lo, s29
	v_add_f32_e32 v4, v5, v4
	v_dual_mov_b32 v73, v1 :: v_dual_mov_b32 v3, v1
                                        ; implicit-def: $vgpr84
	s_mov_b32 s10, exec_lo
	s_delay_alu instid0(VALU_DEP_2) | instskip(SKIP_2) | instid1(VALU_DEP_3)
	v_and_b32_e32 v72, 0x7f800000, v4
	v_and_b32_e32 v2, 0x7fffff, v4
	v_lshrrev_b32_e32 v5, 24, v4
	v_cmpx_ne_u64_e32 0x7f800000, v[72:73]
	s_xor_b32 s29, exec_lo, s10
	s_cbranch_execz .LBB6_2452
; %bb.2439:                             ;   in Loop: Header=BB6_130 Depth=2
	v_and_b32_e32 v72, 0x7fffffff, v4
	v_mov_b32_e32 v73, v1
	v_and_b32_e32 v87, 0x80, v5
                                        ; implicit-def: $vgpr84
	s_mov_b32 s10, exec_lo
	s_delay_alu instid0(VALU_DEP_2)
	v_cmpx_gt_u64_e32 0x47600001, v[72:73]
	s_xor_b32 s40, exec_lo, s10
	s_cbranch_execz .LBB6_2449
; %bb.2440:                             ;   in Loop: Header=BB6_130 Depth=2
	v_mov_b32_e32 v84, 0
	s_mov_b32 s41, exec_lo
	v_cmpx_ne_u32_e32 0, v4
	s_cbranch_execz .LBB6_2448
; %bb.2441:                             ;   in Loop: Header=BB6_130 Depth=2
	v_bfe_u32 v84, v4, 23, 8
	v_or_b32_e32 v5, 0x800000, v2
	s_delay_alu instid0(VALU_DEP_2) | instskip(SKIP_2) | instid1(VALU_DEP_2)
	v_cmp_gt_u32_e64 s10, 0x72, v84
	v_sub_nc_u32_e32 v4, 0x71, v84
	v_cmp_eq_u32_e32 vcc_lo, 0, v84
	v_dual_cndmask_b32 v4, 0, v4, s10 :: v_dual_cndmask_b32 v2, v5, v2, vcc_lo
	s_delay_alu instid0(VALU_DEP_1) | instskip(NEXT) | instid1(VALU_DEP_1)
	v_cndmask_b32_e64 v118, v4, 0x70, vcc_lo
	v_dual_add_nc_u32 v4, 21, v118 :: v_dual_add_nc_u32 v63, 20, v118
	s_delay_alu instid0(VALU_DEP_1) | instskip(NEXT) | instid1(VALU_DEP_2)
	v_lshlrev_b64_e64 v[4:5], v4, -1
	v_lshlrev_b64_e64 v[72:73], v63, 1
	s_delay_alu instid0(VALU_DEP_2) | instskip(SKIP_1) | instid1(VALU_DEP_4)
	v_bfi_b32 v4, v4, 0, v2
	v_lshrrev_b64 v[2:3], v118, v[2:3]
	v_bfi_b32 v5, v5, 0, 0
	s_delay_alu instid0(VALU_DEP_1) | instskip(NEXT) | instid1(VALU_DEP_3)
	v_cmp_eq_u64_e64 s10, v[4:5], v[72:73]
	v_mov_b64_e32 v[4:5], v[2:3]
	s_and_saveexec_b32 s42, s10
; %bb.2442:                             ;   in Loop: Header=BB6_130 Depth=2
	v_bfe_u32 v4, v2, 21, 1
	v_mov_b32_e32 v5, v1
	s_delay_alu instid0(VALU_DEP_1) | instskip(NEXT) | instid1(VALU_DEP_1)
	v_add_nc_u64_e32 v[4:5], v[2:3], v[4:5]
	v_add_nc_u64_e32 v[4:5], -1, v[4:5]
; %bb.2443:                             ;   in Loop: Header=BB6_130 Depth=2
	s_or_b32 exec_lo, exec_lo, s42
	v_add_nc_u32_e32 v3, 0xffffff81, v84
	v_lshrrev_b32_e32 v5, 23, v2
	s_mov_b32 s10, exec_lo
	s_delay_alu instid0(VALU_DEP_2) | instskip(NEXT) | instid1(VALU_DEP_1)
	v_cndmask_b32_e64 v3, v3, 0xffffff82, vcc_lo
	v_add3_u32 v84, v118, v3, v5
	v_and_b32_e32 v3, 0x1fffff, v4
                                        ; implicit-def: $vgpr4
	s_delay_alu instid0(VALU_DEP_1) | instskip(SKIP_1) | instid1(VALU_DEP_2)
	v_dual_add_nc_u32 v5, 14, v84 :: v_dual_add_nc_u32 v2, v3, v2
	v_mov_b32_e32 v3, v1
	v_cmpx_ne_u32_e32 0, v5
	s_xor_b32 s10, exec_lo, s10
; %bb.2444:                             ;   in Loop: Header=BB6_130 Depth=2
	s_delay_alu instid0(VALU_DEP_2) | instskip(SKIP_1) | instid1(VALU_DEP_1)
	v_cmp_lt_u64_e32 vcc_lo, 0xffffff, v[2:3]
	v_add_nc_u32_e32 v4, 15, v84
	v_cndmask_b32_e32 v4, v5, v4, vcc_lo
	v_cndmask_b32_e64 v5, 0, 1, vcc_lo
	s_delay_alu instid0(VALU_DEP_1)
	v_lshrrev_b64 v[2:3], v5, v[2:3]
; %bb.2445:                             ;   in Loop: Header=BB6_130 Depth=2
	s_and_not1_saveexec_b32 s10, s10
; %bb.2446:                             ;   in Loop: Header=BB6_130 Depth=2
	s_delay_alu instid0(VALU_DEP_1)
	v_bfe_u32 v4, v2, 23, 1
; %bb.2447:                             ;   in Loop: Header=BB6_130 Depth=2
	s_or_b32 exec_lo, exec_lo, s10
	s_delay_alu instid0(VALU_DEP_2) | instskip(NEXT) | instid1(VALU_DEP_2)
	v_lshrrev_b64 v[2:3], 21, v[2:3]
	v_cmp_gt_i32_e32 vcc_lo, 32, v4
	v_min_i32_e32 v5, 31, v4
	v_cmp_eq_u32_e64 s10, 0, v4
	s_delay_alu instid0(VALU_DEP_2) | instskip(SKIP_1) | instid1(VALU_DEP_2)
	v_dual_cndmask_b32 v3, 0, v3, vcc_lo :: v_dual_lshlrev_b32 v5, 2, v5
	v_cndmask_b32_e32 v2, 3, v2, vcc_lo
	v_and_b32_e32 v5, 0xfc, v5
	s_delay_alu instid0(VALU_DEP_2) | instskip(NEXT) | instid1(VALU_DEP_2)
	v_cmp_eq_u64_e32 vcc_lo, 0, v[2:3]
	v_and_or_b32 v2, v2, 3, v5
	s_and_b32 s10, s10, vcc_lo
	s_delay_alu instid0(VALU_DEP_1) | instid1(SALU_CYCLE_1)
	v_cndmask_b32_e64 v2, v2, 0, s10
	s_delay_alu instid0(VALU_DEP_1)
	v_or_b32_e32 v84, v2, v87
.LBB6_2448:                             ;   in Loop: Header=BB6_130 Depth=2
	s_or_b32 exec_lo, exec_lo, s41
                                        ; implicit-def: $vgpr87
.LBB6_2449:                             ;   in Loop: Header=BB6_130 Depth=2
	s_and_not1_saveexec_b32 s10, s40
; %bb.2450:                             ;   in Loop: Header=BB6_130 Depth=2
	v_or_b32_e32 v84, 0x7b, v87
; %bb.2451:                             ;   in Loop: Header=BB6_130 Depth=2
	s_or_b32 exec_lo, exec_lo, s10
                                        ; implicit-def: $vgpr4
                                        ; implicit-def: $vgpr2_vgpr3
                                        ; implicit-def: $vgpr5
.LBB6_2452:                             ;   in Loop: Header=BB6_130 Depth=2
	s_and_not1_saveexec_b32 s10, s29
	s_cbranch_execz .LBB6_2458
; %bb.2453:                             ;   in Loop: Header=BB6_130 Depth=2
	s_mov_b32 s29, exec_lo
                                        ; implicit-def: $vgpr84
	v_cmpx_ne_u64_e32 0, v[2:3]
	s_xor_b32 s29, exec_lo, s29
; %bb.2454:                             ;   in Loop: Header=BB6_130 Depth=2
	v_or_b32_e32 v84, 0x7f, v5
                                        ; implicit-def: $vgpr4
; %bb.2455:                             ;   in Loop: Header=BB6_130 Depth=2
	s_and_not1_saveexec_b32 s29, s29
; %bb.2456:                             ;   in Loop: Header=BB6_130 Depth=2
	v_cmp_lt_i32_e32 vcc_lo, -1, v4
	v_mov_b32_e32 v2, 0x7c
	s_delay_alu instid0(VALU_DEP_1)
	v_cndmask_b32_e32 v84, 0xfc, v2, vcc_lo
; %bb.2457:                             ;   in Loop: Header=BB6_130 Depth=2
	s_or_b32 exec_lo, exec_lo, s29
.LBB6_2458:                             ;   in Loop: Header=BB6_130 Depth=2
	s_delay_alu instid0(SALU_CYCLE_1) | instskip(SKIP_3) | instid1(VALU_DEP_2)
	s_or_b32 exec_lo, exec_lo, s10
	v_dual_mov_b32 v3, 0 :: v_dual_lshrrev_b32 v2, 16, v0
	v_mov_b32_e32 v4, 0
	s_mov_b32 s29, exec_lo
	v_and_b32_e32 v5, 0xff, v2
	s_delay_alu instid0(VALU_DEP_1)
	v_cmpx_ne_u16_e32 0, v5
	s_cbranch_execz .LBB6_2468
; %bb.2459:                             ;   in Loop: Header=BB6_130 Depth=2
	v_bfrev_b32_e32 v4, 1
	s_mov_b32 s40, exec_lo
	v_cmpx_ne_u16_e32 0x80, v5
	s_cbranch_execz .LBB6_2467
; %bb.2460:                             ;   in Loop: Header=BB6_130 Depth=2
	v_and_b32_e32 v4, 0x7c0000, v0
	v_bfe_u32 v5, v0, 16, 2
	s_delay_alu instid0(VALU_DEP_2) | instskip(SKIP_1) | instid1(SALU_CYCLE_1)
	v_cmp_ne_u32_e32 vcc_lo, 0x7c0000, v4
                                        ; implicit-def: $vgpr4
	s_and_saveexec_b32 s10, vcc_lo
	s_xor_b32 s10, exec_lo, s10
	s_cbranch_execz .LBB6_2464
; %bb.2461:                             ;   in Loop: Header=BB6_130 Depth=2
	v_bfe_u32 v4, v0, 18, 5
	s_mov_b32 s41, exec_lo
	s_delay_alu instid0(VALU_DEP_1)
	v_cmpx_eq_u32_e32 0, v4
; %bb.2462:                             ;   in Loop: Header=BB6_130 Depth=2
	v_clz_i32_u32_e32 v4, v5
	s_delay_alu instid0(VALU_DEP_1) | instskip(NEXT) | instid1(VALU_DEP_1)
	v_min_u32_e32 v4, 32, v4
	v_subrev_nc_u32_e32 v5, 29, v4
	v_sub_nc_u32_e32 v4, 30, v4
	s_delay_alu instid0(VALU_DEP_2) | instskip(NEXT) | instid1(VALU_DEP_1)
	v_lshlrev_b64_e32 v[72:73], v5, v[2:3]
	v_and_b32_e32 v5, 3, v72
; %bb.2463:                             ;   in Loop: Header=BB6_130 Depth=2
	s_or_b32 exec_lo, exec_lo, s41
	v_lshlrev_b32_e32 v2, 24, v2
	s_delay_alu instid0(VALU_DEP_1) | instskip(NEXT) | instid1(VALU_DEP_1)
	v_and_b32_e32 v2, 0x80000000, v2
	v_lshl_add_u32 v2, v4, 23, v2
	s_delay_alu instid0(VALU_DEP_1) | instskip(NEXT) | instid1(VALU_DEP_1)
	v_lshl_or_b32 v2, v5, 21, v2
                                        ; implicit-def: $vgpr5
	v_add_nc_u32_e32 v4, 0x38000000, v2
                                        ; implicit-def: $vgpr2
.LBB6_2464:                             ;   in Loop: Header=BB6_130 Depth=2
	s_and_not1_saveexec_b32 s41, s10
; %bb.2465:                             ;   in Loop: Header=BB6_130 Depth=2
	v_bfe_i32 v2, v2, 0, 8
	v_cmp_eq_u32_e32 vcc_lo, 0, v5
	s_delay_alu instid0(VALU_DEP_2) | instskip(SKIP_1) | instid1(VALU_DEP_1)
	v_cmp_lt_i16_e64 s10, -1, v2
	v_mov_b32_e32 v2, 0x7f800000
	v_cndmask_b32_e64 v2, 0xff800000, v2, s10
	s_delay_alu instid0(VALU_DEP_1)
	v_cndmask_b32_e32 v4, 0x7f800001, v2, vcc_lo
; %bb.2466:                             ;   in Loop: Header=BB6_130 Depth=2
	s_or_b32 exec_lo, exec_lo, s41
.LBB6_2467:                             ;   in Loop: Header=BB6_130 Depth=2
	s_delay_alu instid0(SALU_CYCLE_1)
	s_or_b32 exec_lo, exec_lo, s40
.LBB6_2468:                             ;   in Loop: Header=BB6_130 Depth=2
	s_delay_alu instid0(SALU_CYCLE_1) | instskip(SKIP_2) | instid1(VALU_DEP_1)
	s_or_b32 exec_lo, exec_lo, s29
	v_lshrrev_b32_e32 v2, 16, v24
	s_mov_b32 s29, exec_lo
	v_and_b32_e32 v5, 0xff, v2
	s_delay_alu instid0(VALU_DEP_1)
	v_cmpx_ne_u16_e32 0, v5
	s_cbranch_execz .LBB6_2478
; %bb.2469:                             ;   in Loop: Header=BB6_130 Depth=2
	v_bfrev_b32_e32 v3, 1
	s_mov_b32 s40, exec_lo
	v_cmpx_ne_u16_e32 0x80, v5
	s_cbranch_execz .LBB6_2477
; %bb.2470:                             ;   in Loop: Header=BB6_130 Depth=2
	v_and_b32_e32 v3, 0x7c0000, v24
	v_bfe_u32 v5, v24, 16, 2
	s_delay_alu instid0(VALU_DEP_2) | instskip(SKIP_1) | instid1(SALU_CYCLE_1)
	v_cmp_ne_u32_e32 vcc_lo, 0x7c0000, v3
                                        ; implicit-def: $vgpr3
	s_and_saveexec_b32 s10, vcc_lo
	s_xor_b32 s10, exec_lo, s10
	s_cbranch_execz .LBB6_2474
; %bb.2471:                             ;   in Loop: Header=BB6_130 Depth=2
	v_bfe_u32 v3, v24, 18, 5
	s_mov_b32 s41, exec_lo
	s_delay_alu instid0(VALU_DEP_1)
	v_cmpx_eq_u32_e32 0, v3
; %bb.2472:                             ;   in Loop: Header=BB6_130 Depth=2
	v_clz_i32_u32_e32 v3, v5
	s_delay_alu instid0(VALU_DEP_1) | instskip(NEXT) | instid1(VALU_DEP_1)
	v_min_u32_e32 v3, 32, v3
	v_subrev_nc_u32_e32 v5, 29, v3
	s_delay_alu instid0(VALU_DEP_1) | instskip(NEXT) | instid1(VALU_DEP_1)
	v_lshlrev_b64_e32 v[72:73], v5, v[2:3]
	v_dual_sub_nc_u32 v3, 30, v3 :: v_dual_bitop2_b32 v5, 3, v72 bitop3:0x40
; %bb.2473:                             ;   in Loop: Header=BB6_130 Depth=2
	s_or_b32 exec_lo, exec_lo, s41
	v_lshlrev_b32_e32 v2, 24, v2
	s_delay_alu instid0(VALU_DEP_1) | instskip(NEXT) | instid1(VALU_DEP_1)
	v_and_b32_e32 v2, 0x80000000, v2
	v_lshl_add_u32 v2, v3, 23, v2
	s_delay_alu instid0(VALU_DEP_1) | instskip(NEXT) | instid1(VALU_DEP_1)
	v_lshl_or_b32 v2, v5, 21, v2
                                        ; implicit-def: $vgpr5
	v_add_nc_u32_e32 v3, 0x38000000, v2
                                        ; implicit-def: $vgpr2
.LBB6_2474:                             ;   in Loop: Header=BB6_130 Depth=2
	s_and_not1_saveexec_b32 s41, s10
; %bb.2475:                             ;   in Loop: Header=BB6_130 Depth=2
	v_bfe_i32 v2, v2, 0, 8
	v_cmp_eq_u32_e32 vcc_lo, 0, v5
	s_delay_alu instid0(VALU_DEP_2) | instskip(SKIP_1) | instid1(VALU_DEP_1)
	v_cmp_lt_i16_e64 s10, -1, v2
	v_mov_b32_e32 v2, 0x7f800000
	v_cndmask_b32_e64 v2, 0xff800000, v2, s10
	s_delay_alu instid0(VALU_DEP_1)
	v_cndmask_b32_e32 v3, 0x7f800001, v2, vcc_lo
; %bb.2476:                             ;   in Loop: Header=BB6_130 Depth=2
	s_or_b32 exec_lo, exec_lo, s41
.LBB6_2477:                             ;   in Loop: Header=BB6_130 Depth=2
	s_delay_alu instid0(SALU_CYCLE_1)
	s_or_b32 exec_lo, exec_lo, s40
.LBB6_2478:                             ;   in Loop: Header=BB6_130 Depth=2
	s_delay_alu instid0(SALU_CYCLE_1) | instskip(NEXT) | instid1(VALU_DEP_1)
	s_or_b32 exec_lo, exec_lo, s29
	v_dual_add_f32 v4, v4, v3 :: v_dual_mov_b32 v73, v1
	v_mov_b32_e32 v3, v1
                                        ; implicit-def: $vgpr87
	s_mov_b32 s10, exec_lo
	s_delay_alu instid0(VALU_DEP_2) | instskip(SKIP_2) | instid1(VALU_DEP_3)
	v_and_b32_e32 v72, 0x7f800000, v4
	v_and_b32_e32 v2, 0x7fffff, v4
	v_lshrrev_b32_e32 v5, 24, v4
	v_cmpx_ne_u64_e32 0x7f800000, v[72:73]
	s_xor_b32 s29, exec_lo, s10
	s_cbranch_execz .LBB6_2492
; %bb.2479:                             ;   in Loop: Header=BB6_130 Depth=2
	v_and_b32_e32 v72, 0x7fffffff, v4
	v_mov_b32_e32 v73, v1
	v_and_b32_e32 v118, 0x80, v5
                                        ; implicit-def: $vgpr87
	s_mov_b32 s10, exec_lo
	s_delay_alu instid0(VALU_DEP_2)
	v_cmpx_gt_u64_e32 0x47600001, v[72:73]
	s_xor_b32 s40, exec_lo, s10
	s_cbranch_execz .LBB6_2489
; %bb.2480:                             ;   in Loop: Header=BB6_130 Depth=2
	v_mov_b32_e32 v87, 0
	s_mov_b32 s41, exec_lo
	v_cmpx_ne_u32_e32 0, v4
	s_cbranch_execz .LBB6_2488
; %bb.2481:                             ;   in Loop: Header=BB6_130 Depth=2
	v_bfe_u32 v87, v4, 23, 8
	v_or_b32_e32 v5, 0x800000, v2
	s_delay_alu instid0(VALU_DEP_2) | instskip(SKIP_2) | instid1(VALU_DEP_2)
	v_cmp_gt_u32_e64 s10, 0x72, v87
	v_sub_nc_u32_e32 v4, 0x71, v87
	v_cmp_eq_u32_e32 vcc_lo, 0, v87
	v_dual_cndmask_b32 v4, 0, v4, s10 :: v_dual_cndmask_b32 v2, v5, v2, vcc_lo
	s_delay_alu instid0(VALU_DEP_1) | instskip(NEXT) | instid1(VALU_DEP_1)
	v_cndmask_b32_e64 v63, v4, 0x70, vcc_lo
	v_dual_add_nc_u32 v4, 21, v63 :: v_dual_add_nc_u32 v72, 20, v63
	s_delay_alu instid0(VALU_DEP_1) | instskip(NEXT) | instid1(VALU_DEP_2)
	v_lshlrev_b64_e64 v[4:5], v4, -1
	v_lshlrev_b64_e64 v[72:73], v72, 1
	s_delay_alu instid0(VALU_DEP_2) | instskip(SKIP_1) | instid1(VALU_DEP_4)
	v_bfi_b32 v4, v4, 0, v2
	v_lshrrev_b64 v[2:3], v63, v[2:3]
	v_bfi_b32 v5, v5, 0, 0
	s_delay_alu instid0(VALU_DEP_1) | instskip(NEXT) | instid1(VALU_DEP_3)
	v_cmp_eq_u64_e64 s10, v[4:5], v[72:73]
	v_mov_b64_e32 v[4:5], v[2:3]
	s_and_saveexec_b32 s42, s10
; %bb.2482:                             ;   in Loop: Header=BB6_130 Depth=2
	v_bfe_u32 v4, v2, 21, 1
	v_mov_b32_e32 v5, v1
	s_delay_alu instid0(VALU_DEP_1) | instskip(NEXT) | instid1(VALU_DEP_1)
	v_add_nc_u64_e32 v[4:5], v[2:3], v[4:5]
	v_add_nc_u64_e32 v[4:5], -1, v[4:5]
; %bb.2483:                             ;   in Loop: Header=BB6_130 Depth=2
	s_or_b32 exec_lo, exec_lo, s42
	v_add_nc_u32_e32 v3, 0xffffff81, v87
	v_lshrrev_b32_e32 v5, 23, v2
	s_mov_b32 s10, exec_lo
	s_delay_alu instid0(VALU_DEP_2) | instskip(NEXT) | instid1(VALU_DEP_1)
	v_cndmask_b32_e64 v3, v3, 0xffffff82, vcc_lo
	v_add3_u32 v87, v63, v3, v5
	v_and_b32_e32 v3, 0x1fffff, v4
                                        ; implicit-def: $vgpr4
	s_delay_alu instid0(VALU_DEP_1) | instskip(SKIP_1) | instid1(VALU_DEP_2)
	v_dual_add_nc_u32 v5, 14, v87 :: v_dual_add_nc_u32 v2, v3, v2
	v_mov_b32_e32 v3, v1
	v_cmpx_ne_u32_e32 0, v5
	s_xor_b32 s10, exec_lo, s10
; %bb.2484:                             ;   in Loop: Header=BB6_130 Depth=2
	s_delay_alu instid0(VALU_DEP_2) | instskip(SKIP_1) | instid1(VALU_DEP_1)
	v_cmp_lt_u64_e32 vcc_lo, 0xffffff, v[2:3]
	v_add_nc_u32_e32 v4, 15, v87
	v_cndmask_b32_e32 v4, v5, v4, vcc_lo
	v_cndmask_b32_e64 v5, 0, 1, vcc_lo
	s_delay_alu instid0(VALU_DEP_1)
	v_lshrrev_b64 v[2:3], v5, v[2:3]
; %bb.2485:                             ;   in Loop: Header=BB6_130 Depth=2
	s_and_not1_saveexec_b32 s10, s10
; %bb.2486:                             ;   in Loop: Header=BB6_130 Depth=2
	s_delay_alu instid0(VALU_DEP_1)
	v_bfe_u32 v4, v2, 23, 1
; %bb.2487:                             ;   in Loop: Header=BB6_130 Depth=2
	s_or_b32 exec_lo, exec_lo, s10
	s_delay_alu instid0(VALU_DEP_2) | instskip(NEXT) | instid1(VALU_DEP_2)
	v_lshrrev_b64 v[2:3], 21, v[2:3]
	v_cmp_gt_i32_e32 vcc_lo, 32, v4
	v_min_i32_e32 v5, 31, v4
	v_cmp_eq_u32_e64 s10, 0, v4
	s_delay_alu instid0(VALU_DEP_2) | instskip(SKIP_1) | instid1(VALU_DEP_2)
	v_dual_cndmask_b32 v3, 0, v3, vcc_lo :: v_dual_lshlrev_b32 v5, 2, v5
	v_cndmask_b32_e32 v2, 3, v2, vcc_lo
	v_and_b32_e32 v5, 0xfc, v5
	s_delay_alu instid0(VALU_DEP_2) | instskip(NEXT) | instid1(VALU_DEP_2)
	v_cmp_eq_u64_e32 vcc_lo, 0, v[2:3]
	v_and_or_b32 v2, v2, 3, v5
	s_and_b32 s10, s10, vcc_lo
	s_delay_alu instid0(VALU_DEP_1) | instid1(SALU_CYCLE_1)
	v_cndmask_b32_e64 v2, v2, 0, s10
	s_delay_alu instid0(VALU_DEP_1)
	v_or_b32_e32 v87, v2, v118
.LBB6_2488:                             ;   in Loop: Header=BB6_130 Depth=2
	s_or_b32 exec_lo, exec_lo, s41
                                        ; implicit-def: $vgpr118
.LBB6_2489:                             ;   in Loop: Header=BB6_130 Depth=2
	s_and_not1_saveexec_b32 s10, s40
; %bb.2490:                             ;   in Loop: Header=BB6_130 Depth=2
	v_or_b32_e32 v87, 0x7b, v118
; %bb.2491:                             ;   in Loop: Header=BB6_130 Depth=2
	s_or_b32 exec_lo, exec_lo, s10
                                        ; implicit-def: $vgpr4
                                        ; implicit-def: $vgpr2_vgpr3
                                        ; implicit-def: $vgpr5
.LBB6_2492:                             ;   in Loop: Header=BB6_130 Depth=2
	s_and_not1_saveexec_b32 s10, s29
	s_cbranch_execz .LBB6_2498
; %bb.2493:                             ;   in Loop: Header=BB6_130 Depth=2
	s_mov_b32 s29, exec_lo
                                        ; implicit-def: $vgpr87
	v_cmpx_ne_u64_e32 0, v[2:3]
	s_xor_b32 s29, exec_lo, s29
; %bb.2494:                             ;   in Loop: Header=BB6_130 Depth=2
	v_or_b32_e32 v87, 0x7f, v5
                                        ; implicit-def: $vgpr4
; %bb.2495:                             ;   in Loop: Header=BB6_130 Depth=2
	s_and_not1_saveexec_b32 s29, s29
; %bb.2496:                             ;   in Loop: Header=BB6_130 Depth=2
	v_cmp_lt_i32_e32 vcc_lo, -1, v4
	v_mov_b32_e32 v2, 0x7c
	s_delay_alu instid0(VALU_DEP_1)
	v_cndmask_b32_e32 v87, 0xfc, v2, vcc_lo
; %bb.2497:                             ;   in Loop: Header=BB6_130 Depth=2
	s_or_b32 exec_lo, exec_lo, s29
.LBB6_2498:                             ;   in Loop: Header=BB6_130 Depth=2
	s_delay_alu instid0(SALU_CYCLE_1)
	s_or_b32 exec_lo, exec_lo, s10
	v_dual_mov_b32 v3, 0 :: v_dual_mov_b32 v4, 0
	s_mov_b32 s29, exec_lo
	v_cmpx_lt_u32_e32 0xffffff, v0
	s_cbranch_execz .LBB6_2508
; %bb.2499:                             ;   in Loop: Header=BB6_130 Depth=2
	v_lshrrev_b32_e32 v2, 24, v0
	v_bfrev_b32_e32 v4, 1
	s_mov_b32 s40, exec_lo
	s_delay_alu instid0(VALU_DEP_2)
	v_cmpx_ne_u32_e32 0x80, v2
	s_cbranch_execz .LBB6_2507
; %bb.2500:                             ;   in Loop: Header=BB6_130 Depth=2
	v_and_b32_e32 v4, 0x7c000000, v0
	v_bfe_u32 v5, v0, 24, 2
	s_delay_alu instid0(VALU_DEP_2) | instskip(SKIP_1) | instid1(SALU_CYCLE_1)
	v_cmp_ne_u32_e32 vcc_lo, 0x7c000000, v4
                                        ; implicit-def: $vgpr4
	s_and_saveexec_b32 s10, vcc_lo
	s_xor_b32 s10, exec_lo, s10
	s_cbranch_execz .LBB6_2504
; %bb.2501:                             ;   in Loop: Header=BB6_130 Depth=2
	v_bfe_u32 v4, v0, 26, 5
	s_mov_b32 s41, exec_lo
	s_delay_alu instid0(VALU_DEP_1)
	v_cmpx_eq_u32_e32 0, v4
; %bb.2502:                             ;   in Loop: Header=BB6_130 Depth=2
	v_clz_i32_u32_e32 v4, v5
	s_delay_alu instid0(VALU_DEP_1) | instskip(NEXT) | instid1(VALU_DEP_1)
	v_min_u32_e32 v4, 32, v4
	v_subrev_nc_u32_e32 v5, 29, v4
	v_sub_nc_u32_e32 v4, 30, v4
	s_delay_alu instid0(VALU_DEP_2) | instskip(NEXT) | instid1(VALU_DEP_1)
	v_lshlrev_b64_e32 v[72:73], v5, v[2:3]
	v_and_b32_e32 v5, 3, v72
; %bb.2503:                             ;   in Loop: Header=BB6_130 Depth=2
	s_or_b32 exec_lo, exec_lo, s41
	v_and_b32_e32 v0, 0x80000000, v0
	s_delay_alu instid0(VALU_DEP_1) | instskip(NEXT) | instid1(VALU_DEP_1)
	v_lshl_add_u32 v0, v4, 23, v0
	v_lshl_or_b32 v0, v5, 21, v0
                                        ; implicit-def: $vgpr5
	s_delay_alu instid0(VALU_DEP_1)
	v_add_nc_u32_e32 v4, 0x38000000, v0
.LBB6_2504:                             ;   in Loop: Header=BB6_130 Depth=2
	s_and_not1_saveexec_b32 s41, s10
; %bb.2505:                             ;   in Loop: Header=BB6_130 Depth=2
	v_cmp_lt_i32_e64 s10, -1, v0
	v_mov_b32_e32 v0, 0x7f800000
	v_cmp_eq_u32_e32 vcc_lo, 0, v5
	s_delay_alu instid0(VALU_DEP_2) | instskip(NEXT) | instid1(VALU_DEP_1)
	v_cndmask_b32_e64 v0, 0xff800000, v0, s10
	v_cndmask_b32_e32 v4, 0x7f800001, v0, vcc_lo
; %bb.2506:                             ;   in Loop: Header=BB6_130 Depth=2
	s_or_b32 exec_lo, exec_lo, s41
.LBB6_2507:                             ;   in Loop: Header=BB6_130 Depth=2
	s_delay_alu instid0(SALU_CYCLE_1)
	s_or_b32 exec_lo, exec_lo, s40
.LBB6_2508:                             ;   in Loop: Header=BB6_130 Depth=2
	s_delay_alu instid0(SALU_CYCLE_1) | instskip(NEXT) | instid1(SALU_CYCLE_1)
	s_or_b32 exec_lo, exec_lo, s29
	s_mov_b32 s29, exec_lo
	v_cmpx_lt_u32_e32 0xffffff, v24
	s_cbranch_execz .LBB6_2518
; %bb.2509:                             ;   in Loop: Header=BB6_130 Depth=2
	v_lshrrev_b32_e32 v0, 24, v24
	v_bfrev_b32_e32 v3, 1
	s_mov_b32 s40, exec_lo
	s_delay_alu instid0(VALU_DEP_2)
	v_cmpx_ne_u32_e32 0x80, v0
	s_cbranch_execz .LBB6_2517
; %bb.2510:                             ;   in Loop: Header=BB6_130 Depth=2
	v_and_b32_e32 v3, 0x7c000000, v24
	v_bfe_u32 v2, v24, 24, 2
	s_delay_alu instid0(VALU_DEP_2) | instskip(SKIP_1) | instid1(SALU_CYCLE_1)
	v_cmp_ne_u32_e32 vcc_lo, 0x7c000000, v3
                                        ; implicit-def: $vgpr3
	s_and_saveexec_b32 s10, vcc_lo
	s_xor_b32 s10, exec_lo, s10
	s_cbranch_execz .LBB6_2514
; %bb.2511:                             ;   in Loop: Header=BB6_130 Depth=2
	v_bfe_u32 v3, v24, 26, 5
	s_mov_b32 s41, exec_lo
	s_delay_alu instid0(VALU_DEP_1)
	v_cmpx_eq_u32_e32 0, v3
; %bb.2512:                             ;   in Loop: Header=BB6_130 Depth=2
	v_clz_i32_u32_e32 v2, v2
	s_delay_alu instid0(VALU_DEP_1) | instskip(NEXT) | instid1(VALU_DEP_1)
	v_min_u32_e32 v5, 32, v2
	v_subrev_nc_u32_e32 v2, 29, v5
	s_delay_alu instid0(VALU_DEP_1) | instskip(NEXT) | instid1(VALU_DEP_1)
	v_lshlrev_b64_e32 v[2:3], v2, v[0:1]
	v_dual_sub_nc_u32 v3, 30, v5 :: v_dual_bitop2_b32 v2, 3, v2 bitop3:0x40
; %bb.2513:                             ;   in Loop: Header=BB6_130 Depth=2
	s_or_b32 exec_lo, exec_lo, s41
	v_and_b32_e32 v0, 0x80000000, v24
	s_delay_alu instid0(VALU_DEP_1) | instskip(NEXT) | instid1(VALU_DEP_1)
	v_lshl_add_u32 v0, v3, 23, v0
	v_lshl_or_b32 v0, v2, 21, v0
                                        ; implicit-def: $vgpr2
	s_delay_alu instid0(VALU_DEP_1)
	v_add_nc_u32_e32 v3, 0x38000000, v0
.LBB6_2514:                             ;   in Loop: Header=BB6_130 Depth=2
	s_and_not1_saveexec_b32 s41, s10
; %bb.2515:                             ;   in Loop: Header=BB6_130 Depth=2
	v_cmp_lt_i32_e64 s10, -1, v24
	v_mov_b32_e32 v0, 0x7f800000
	v_cmp_eq_u32_e32 vcc_lo, 0, v2
	s_delay_alu instid0(VALU_DEP_2) | instskip(NEXT) | instid1(VALU_DEP_1)
	v_cndmask_b32_e64 v0, 0xff800000, v0, s10
	v_cndmask_b32_e32 v3, 0x7f800001, v0, vcc_lo
; %bb.2516:                             ;   in Loop: Header=BB6_130 Depth=2
	s_or_b32 exec_lo, exec_lo, s41
.LBB6_2517:                             ;   in Loop: Header=BB6_130 Depth=2
	s_delay_alu instid0(SALU_CYCLE_1)
	s_or_b32 exec_lo, exec_lo, s40
.LBB6_2518:                             ;   in Loop: Header=BB6_130 Depth=2
	s_delay_alu instid0(SALU_CYCLE_1) | instskip(NEXT) | instid1(VALU_DEP_1)
	s_or_b32 exec_lo, exec_lo, s29
	v_dual_add_f32 v2, v4, v3 :: v_dual_mov_b32 v5, v1
                                        ; implicit-def: $vgpr118
	s_mov_b32 s10, exec_lo
	s_delay_alu instid0(VALU_DEP_1) | instskip(SKIP_2) | instid1(VALU_DEP_3)
	v_and_b32_e32 v4, 0x7f800000, v2
	v_and_b32_e32 v0, 0x7fffff, v2
	v_lshrrev_b32_e32 v3, 24, v2
	v_cmpx_ne_u64_e32 0x7f800000, v[4:5]
	s_xor_b32 s29, exec_lo, s10
	s_cbranch_execz .LBB6_2532
; %bb.2519:                             ;   in Loop: Header=BB6_130 Depth=2
	v_and_b32_e32 v4, 0x7fffffff, v2
	v_mov_b32_e32 v5, v1
	v_and_b32_e32 v63, 0x80, v3
                                        ; implicit-def: $vgpr118
	s_mov_b32 s10, exec_lo
	s_delay_alu instid0(VALU_DEP_2)
	v_cmpx_gt_u64_e32 0x47600001, v[4:5]
	s_xor_b32 s40, exec_lo, s10
	s_cbranch_execz .LBB6_2529
; %bb.2520:                             ;   in Loop: Header=BB6_130 Depth=2
	v_mov_b32_e32 v118, 0
	s_mov_b32 s41, exec_lo
	v_cmpx_ne_u32_e32 0, v2
	s_cbranch_execz .LBB6_2528
; %bb.2521:                             ;   in Loop: Header=BB6_130 Depth=2
	v_bfe_u32 v118, v2, 23, 8
	v_or_b32_e32 v3, 0x800000, v0
	s_delay_alu instid0(VALU_DEP_2) | instskip(SKIP_2) | instid1(VALU_DEP_2)
	v_cmp_gt_u32_e64 s10, 0x72, v118
	v_sub_nc_u32_e32 v2, 0x71, v118
	v_cmp_eq_u32_e32 vcc_lo, 0, v118
	v_cndmask_b32_e64 v2, 0, v2, s10
	s_delay_alu instid0(VALU_DEP_1) | instskip(SKIP_1) | instid1(VALU_DEP_2)
	v_cndmask_b32_e64 v72, v2, 0x70, vcc_lo
	v_dual_cndmask_b32 v2, v3, v0 :: v_dual_mov_b32 v3, v1
	v_add_nc_u32_e32 v0, 21, v72
	s_delay_alu instid0(VALU_DEP_1) | instskip(SKIP_1) | instid1(VALU_DEP_1)
	v_lshlrev_b64_e64 v[4:5], v0, -1
	v_add_nc_u32_e32 v0, 20, v72
	v_lshlrev_b64_e64 v[74:75], v0, 1
	s_delay_alu instid0(VALU_DEP_3) | instskip(SKIP_2) | instid1(VALU_DEP_1)
	v_bfi_b32 v4, v4, 0, v2
	v_lshrrev_b64 v[2:3], v72, v[2:3]
	v_bfi_b32 v5, v5, 0, 0
	v_cmp_eq_u64_e64 s10, v[4:5], v[74:75]
	s_delay_alu instid0(VALU_DEP_3)
	v_mov_b64_e32 v[4:5], v[2:3]
	s_and_saveexec_b32 s42, s10
; %bb.2522:                             ;   in Loop: Header=BB6_130 Depth=2
	v_bfe_u32 v4, v2, 21, 1
	v_mov_b32_e32 v5, v1
	s_delay_alu instid0(VALU_DEP_1) | instskip(NEXT) | instid1(VALU_DEP_1)
	v_add_nc_u64_e32 v[4:5], v[2:3], v[4:5]
	v_add_nc_u64_e32 v[4:5], -1, v[4:5]
; %bb.2523:                             ;   in Loop: Header=BB6_130 Depth=2
	s_or_b32 exec_lo, exec_lo, s42
	v_add_nc_u32_e32 v0, 0xffffff81, v118
	v_lshrrev_b32_e32 v3, 23, v2
	s_mov_b32 s10, exec_lo
	s_delay_alu instid0(VALU_DEP_2) | instskip(NEXT) | instid1(VALU_DEP_1)
	v_cndmask_b32_e64 v0, v0, 0xffffff82, vcc_lo
	v_add3_u32 v118, v72, v0, v3
	v_and_b32_e32 v0, 0x1fffff, v4
                                        ; implicit-def: $vgpr4
	s_delay_alu instid0(VALU_DEP_2) | instskip(NEXT) | instid1(VALU_DEP_2)
	v_add_nc_u32_e32 v5, 14, v118
	v_add_nc_u32_e32 v0, v0, v2
                                        ; implicit-def: $vgpr2_vgpr3
	s_delay_alu instid0(VALU_DEP_2)
	v_cmpx_ne_u32_e32 0, v5
	s_xor_b32 s10, exec_lo, s10
; %bb.2524:                             ;   in Loop: Header=BB6_130 Depth=2
	s_delay_alu instid0(VALU_DEP_2) | instskip(SKIP_1) | instid1(VALU_DEP_1)
	v_cmp_lt_u64_e32 vcc_lo, 0xffffff, v[0:1]
	v_add_nc_u32_e32 v2, 15, v118
	v_cndmask_b32_e32 v4, v5, v2, vcc_lo
	v_cndmask_b32_e64 v2, 0, 1, vcc_lo
	s_delay_alu instid0(VALU_DEP_1)
	v_lshrrev_b64 v[2:3], v2, v[0:1]
; %bb.2525:                             ;   in Loop: Header=BB6_130 Depth=2
	s_and_not1_saveexec_b32 s10, s10
; %bb.2526:                             ;   in Loop: Header=BB6_130 Depth=2
	v_mov_b64_e32 v[2:3], v[0:1]
	v_bfe_u32 v4, v0, 23, 1
; %bb.2527:                             ;   in Loop: Header=BB6_130 Depth=2
	s_or_b32 exec_lo, exec_lo, s10
	s_delay_alu instid0(VALU_DEP_2) | instskip(NEXT) | instid1(VALU_DEP_2)
	v_lshrrev_b64 v[2:3], 21, v[2:3]
	v_cmp_gt_i32_e32 vcc_lo, 32, v4
	v_min_i32_e32 v0, 31, v4
	v_cmp_eq_u32_e64 s10, 0, v4
	s_delay_alu instid0(VALU_DEP_2) | instskip(SKIP_1) | instid1(VALU_DEP_2)
	v_dual_cndmask_b32 v3, 0, v3 :: v_dual_lshlrev_b32 v0, 2, v0
	v_cndmask_b32_e32 v2, 3, v2, vcc_lo
	v_and_b32_e32 v0, 0xfc, v0
	s_delay_alu instid0(VALU_DEP_2) | instskip(NEXT) | instid1(VALU_DEP_2)
	v_cmp_eq_u64_e32 vcc_lo, 0, v[2:3]
	v_and_or_b32 v0, v2, 3, v0
	s_and_b32 s10, s10, vcc_lo
	s_delay_alu instid0(VALU_DEP_1) | instid1(SALU_CYCLE_1)
	v_cndmask_b32_e64 v0, v0, 0, s10
	s_delay_alu instid0(VALU_DEP_1)
	v_or_b32_e32 v118, v0, v63
.LBB6_2528:                             ;   in Loop: Header=BB6_130 Depth=2
	s_or_b32 exec_lo, exec_lo, s41
                                        ; implicit-def: $vgpr63
.LBB6_2529:                             ;   in Loop: Header=BB6_130 Depth=2
	s_and_not1_saveexec_b32 s10, s40
; %bb.2530:                             ;   in Loop: Header=BB6_130 Depth=2
	v_or_b32_e32 v118, 0x7b, v63
; %bb.2531:                             ;   in Loop: Header=BB6_130 Depth=2
	s_or_b32 exec_lo, exec_lo, s10
                                        ; implicit-def: $vgpr2
                                        ; implicit-def: $vgpr3
.LBB6_2532:                             ;   in Loop: Header=BB6_130 Depth=2
	s_and_not1_saveexec_b32 s10, s29
	s_cbranch_execz .LBB6_2538
; %bb.2533:                             ;   in Loop: Header=BB6_130 Depth=2
	s_mov_b32 s29, exec_lo
                                        ; implicit-def: $vgpr118
	v_cmpx_ne_u64_e32 0, v[0:1]
	s_xor_b32 s29, exec_lo, s29
; %bb.2534:                             ;   in Loop: Header=BB6_130 Depth=2
	v_or_b32_e32 v118, 0x7f, v3
                                        ; implicit-def: $vgpr2
; %bb.2535:                             ;   in Loop: Header=BB6_130 Depth=2
	s_and_not1_saveexec_b32 s29, s29
; %bb.2536:                             ;   in Loop: Header=BB6_130 Depth=2
	v_cmp_lt_i32_e32 vcc_lo, -1, v2
	v_mov_b32_e32 v0, 0x7c
	s_delay_alu instid0(VALU_DEP_1)
	v_cndmask_b32_e32 v118, 0xfc, v0, vcc_lo
; %bb.2537:                             ;   in Loop: Header=BB6_130 Depth=2
	s_or_b32 exec_lo, exec_lo, s29
.LBB6_2538:                             ;   in Loop: Header=BB6_130 Depth=2
	s_delay_alu instid0(SALU_CYCLE_1) | instskip(SKIP_4) | instid1(VALU_DEP_2)
	s_or_b32 exec_lo, exec_lo, s10
	v_dual_lshlrev_b32 v0, 24, v62 :: v_dual_lshlrev_b32 v2, 16, v57
	v_lshl_or_b32 v46, v46, 8, v41
	s_mov_b32 s29, exec_lo
	v_mov_b32_e32 v3, 0
	v_or3_b32 v0, v2, v0, v46
	v_mov_b32_e32 v2, 0
	v_cmpx_ne_u32_e32 0, v41
	s_cbranch_execz .LBB6_2548
; %bb.2539:                             ;   in Loop: Header=BB6_130 Depth=2
	v_bfrev_b32_e32 v3, 1
	s_mov_b32 s40, exec_lo
	v_cmpx_ne_u32_e32 0x80, v41
	s_cbranch_execz .LBB6_2547
; %bb.2540:                             ;   in Loop: Header=BB6_130 Depth=2
	v_and_b32_e32 v3, 0x7c, v41
	v_and_b32_e32 v4, 3, v41
	s_delay_alu instid0(VALU_DEP_2) | instskip(SKIP_1) | instid1(SALU_CYCLE_1)
	v_cmp_ne_u32_e32 vcc_lo, 0x7c, v3
                                        ; implicit-def: $vgpr3
	s_and_saveexec_b32 s10, vcc_lo
	s_xor_b32 s10, exec_lo, s10
	s_cbranch_execz .LBB6_2544
; %bb.2541:                             ;   in Loop: Header=BB6_130 Depth=2
	v_bfe_u32 v3, v41, 2, 5
	s_mov_b32 s41, exec_lo
	s_delay_alu instid0(VALU_DEP_1)
	v_cmpx_eq_u32_e32 0, v3
; %bb.2542:                             ;   in Loop: Header=BB6_130 Depth=2
	v_clz_i32_u32_e32 v3, v4
	s_delay_alu instid0(VALU_DEP_1) | instskip(NEXT) | instid1(VALU_DEP_1)
	v_min_u32_e32 v3, 32, v3
	v_subrev_nc_u32_e32 v4, 29, v3
	s_delay_alu instid0(VALU_DEP_1) | instskip(NEXT) | instid1(VALU_DEP_1)
	v_lshlrev_b64_e32 v[4:5], v4, v[0:1]
	v_dual_sub_nc_u32 v3, 30, v3 :: v_dual_bitop2_b32 v4, 3, v4 bitop3:0x40
; %bb.2543:                             ;   in Loop: Header=BB6_130 Depth=2
	s_or_b32 exec_lo, exec_lo, s41
	v_lshlrev_b32_e32 v5, 24, v41
                                        ; implicit-def: $vgpr41
	s_delay_alu instid0(VALU_DEP_1) | instskip(NEXT) | instid1(VALU_DEP_1)
	v_and_b32_e32 v5, 0x80000000, v5
	v_lshl_add_u32 v3, v3, 23, v5
	s_delay_alu instid0(VALU_DEP_1) | instskip(NEXT) | instid1(VALU_DEP_1)
	v_lshl_or_b32 v3, v4, 21, v3
                                        ; implicit-def: $vgpr4
	v_add_nc_u32_e32 v3, 0x38000000, v3
.LBB6_2544:                             ;   in Loop: Header=BB6_130 Depth=2
	s_and_not1_saveexec_b32 s41, s10
; %bb.2545:                             ;   in Loop: Header=BB6_130 Depth=2
	v_and_b32_e32 v3, 0x80, v41
	v_cmp_eq_u32_e32 vcc_lo, 0, v4
	s_delay_alu instid0(VALU_DEP_2) | instskip(SKIP_1) | instid1(VALU_DEP_1)
	v_cmp_eq_u32_e64 s10, 0, v3
	v_mov_b32_e32 v3, 0x7f800000
	v_cndmask_b32_e64 v3, 0xff800000, v3, s10
	s_delay_alu instid0(VALU_DEP_1)
	v_cndmask_b32_e32 v3, 0x7f800001, v3, vcc_lo
; %bb.2546:                             ;   in Loop: Header=BB6_130 Depth=2
	s_or_b32 exec_lo, exec_lo, s41
.LBB6_2547:                             ;   in Loop: Header=BB6_130 Depth=2
	s_delay_alu instid0(SALU_CYCLE_1)
	s_or_b32 exec_lo, exec_lo, s40
.LBB6_2548:                             ;   in Loop: Header=BB6_130 Depth=2
	s_delay_alu instid0(SALU_CYCLE_1) | instskip(SKIP_2) | instid1(VALU_DEP_1)
	s_or_b32 exec_lo, exec_lo, s29
	v_and_b32_e32 v4, 0xff, v25
	s_mov_b32 s29, exec_lo
	v_cmpx_ne_u16_e32 0, v4
	s_cbranch_execz .LBB6_2558
; %bb.2549:                             ;   in Loop: Header=BB6_130 Depth=2
	v_bfrev_b32_e32 v2, 1
	s_mov_b32 s40, exec_lo
	v_cmpx_ne_u16_e32 0x80, v4
	s_cbranch_execz .LBB6_2557
; %bb.2550:                             ;   in Loop: Header=BB6_130 Depth=2
	v_and_b32_e32 v2, 0x7c, v25
	v_and_b32_e32 v4, 3, v25
	s_delay_alu instid0(VALU_DEP_2) | instskip(SKIP_1) | instid1(SALU_CYCLE_1)
	v_cmp_ne_u32_e32 vcc_lo, 0x7c, v2
                                        ; implicit-def: $vgpr2
	s_and_saveexec_b32 s10, vcc_lo
	s_xor_b32 s10, exec_lo, s10
	s_cbranch_execz .LBB6_2554
; %bb.2551:                             ;   in Loop: Header=BB6_130 Depth=2
	v_bfe_u32 v2, v25, 2, 5
	s_mov_b32 s41, exec_lo
	s_delay_alu instid0(VALU_DEP_1)
	v_cmpx_eq_u32_e32 0, v2
; %bb.2552:                             ;   in Loop: Header=BB6_130 Depth=2
	v_clz_i32_u32_e32 v2, v4
	v_dual_mov_b32 v4, v25 :: v_dual_mov_b32 v5, v1
	s_delay_alu instid0(VALU_DEP_2) | instskip(NEXT) | instid1(VALU_DEP_1)
	v_min_u32_e32 v2, 32, v2
	v_subrev_nc_u32_e32 v41, 29, v2
	s_delay_alu instid0(VALU_DEP_1) | instskip(NEXT) | instid1(VALU_DEP_1)
	v_lshlrev_b64_e32 v[4:5], v41, v[4:5]
	v_dual_sub_nc_u32 v2, 30, v2 :: v_dual_bitop2_b32 v4, 3, v4 bitop3:0x40
; %bb.2553:                             ;   in Loop: Header=BB6_130 Depth=2
	s_or_b32 exec_lo, exec_lo, s41
	v_lshlrev_b32_e32 v5, 24, v25
	s_delay_alu instid0(VALU_DEP_1) | instskip(NEXT) | instid1(VALU_DEP_1)
	v_and_b32_e32 v5, 0x80000000, v5
	v_lshl_add_u32 v2, v2, 23, v5
	s_delay_alu instid0(VALU_DEP_1) | instskip(NEXT) | instid1(VALU_DEP_1)
	v_lshl_or_b32 v2, v4, 21, v2
                                        ; implicit-def: $vgpr4
	v_add_nc_u32_e32 v2, 0x38000000, v2
.LBB6_2554:                             ;   in Loop: Header=BB6_130 Depth=2
	s_and_not1_saveexec_b32 s41, s10
; %bb.2555:                             ;   in Loop: Header=BB6_130 Depth=2
	v_bfe_i32 v2, v25, 0, 8
	v_cmp_eq_u32_e32 vcc_lo, 0, v4
	s_delay_alu instid0(VALU_DEP_2) | instskip(SKIP_1) | instid1(VALU_DEP_1)
	v_cmp_lt_i16_e64 s10, -1, v2
	v_mov_b32_e32 v2, 0x7f800000
	v_cndmask_b32_e64 v2, 0xff800000, v2, s10
	s_delay_alu instid0(VALU_DEP_1)
	v_cndmask_b32_e32 v2, 0x7f800001, v2, vcc_lo
; %bb.2556:                             ;   in Loop: Header=BB6_130 Depth=2
	s_or_b32 exec_lo, exec_lo, s41
.LBB6_2557:                             ;   in Loop: Header=BB6_130 Depth=2
	s_delay_alu instid0(SALU_CYCLE_1)
	s_or_b32 exec_lo, exec_lo, s40
.LBB6_2558:                             ;   in Loop: Header=BB6_130 Depth=2
	s_delay_alu instid0(SALU_CYCLE_1) | instskip(NEXT) | instid1(VALU_DEP_1)
	s_or_b32 exec_lo, exec_lo, s29
	v_dual_add_f32 v4, v3, v2 :: v_dual_mov_b32 v63, v1
	v_mov_b32_e32 v3, v1
                                        ; implicit-def: $vgpr41
	s_mov_b32 s10, exec_lo
	s_delay_alu instid0(VALU_DEP_2) | instskip(SKIP_2) | instid1(VALU_DEP_3)
	v_and_b32_e32 v62, 0x7f800000, v4
	v_and_b32_e32 v2, 0x7fffff, v4
	v_lshrrev_b32_e32 v5, 24, v4
	v_cmpx_ne_u64_e32 0x7f800000, v[62:63]
	s_xor_b32 s29, exec_lo, s10
	s_cbranch_execz .LBB6_2572
; %bb.2559:                             ;   in Loop: Header=BB6_130 Depth=2
	v_and_b32_e32 v62, 0x7fffffff, v4
	v_mov_b32_e32 v63, v1
	v_and_b32_e32 v57, 0x80, v5
                                        ; implicit-def: $vgpr41
	s_mov_b32 s10, exec_lo
	s_delay_alu instid0(VALU_DEP_2)
	v_cmpx_gt_u64_e32 0x47600001, v[62:63]
	s_xor_b32 s40, exec_lo, s10
	s_cbranch_execz .LBB6_2569
; %bb.2560:                             ;   in Loop: Header=BB6_130 Depth=2
	v_mov_b32_e32 v41, 0
	s_mov_b32 s41, exec_lo
	v_cmpx_ne_u32_e32 0, v4
	s_cbranch_execz .LBB6_2568
; %bb.2561:                             ;   in Loop: Header=BB6_130 Depth=2
	v_bfe_u32 v41, v4, 23, 8
	v_or_b32_e32 v5, 0x800000, v2
	s_delay_alu instid0(VALU_DEP_2) | instskip(SKIP_2) | instid1(VALU_DEP_2)
	v_cmp_gt_u32_e64 s10, 0x72, v41
	v_sub_nc_u32_e32 v4, 0x71, v41
	v_cmp_eq_u32_e32 vcc_lo, 0, v41
	v_dual_cndmask_b32 v4, 0, v4, s10 :: v_dual_cndmask_b32 v2, v5, v2, vcc_lo
	s_delay_alu instid0(VALU_DEP_1) | instskip(NEXT) | instid1(VALU_DEP_1)
	v_cndmask_b32_e64 v62, v4, 0x70, vcc_lo
	v_dual_add_nc_u32 v4, 21, v62 :: v_dual_add_nc_u32 v63, 20, v62
	s_delay_alu instid0(VALU_DEP_1) | instskip(NEXT) | instid1(VALU_DEP_2)
	v_lshlrev_b64_e64 v[4:5], v4, -1
	v_lshlrev_b64_e64 v[72:73], v63, 1
	s_delay_alu instid0(VALU_DEP_2) | instskip(SKIP_1) | instid1(VALU_DEP_4)
	v_bfi_b32 v4, v4, 0, v2
	v_lshrrev_b64 v[2:3], v62, v[2:3]
	v_bfi_b32 v5, v5, 0, 0
	s_delay_alu instid0(VALU_DEP_1) | instskip(NEXT) | instid1(VALU_DEP_3)
	v_cmp_eq_u64_e64 s10, v[4:5], v[72:73]
	v_mov_b64_e32 v[4:5], v[2:3]
	s_and_saveexec_b32 s42, s10
; %bb.2562:                             ;   in Loop: Header=BB6_130 Depth=2
	v_bfe_u32 v4, v2, 21, 1
	v_mov_b32_e32 v5, v1
	s_delay_alu instid0(VALU_DEP_1) | instskip(NEXT) | instid1(VALU_DEP_1)
	v_add_nc_u64_e32 v[4:5], v[2:3], v[4:5]
	v_add_nc_u64_e32 v[4:5], -1, v[4:5]
; %bb.2563:                             ;   in Loop: Header=BB6_130 Depth=2
	s_or_b32 exec_lo, exec_lo, s42
	v_add_nc_u32_e32 v3, 0xffffff81, v41
	v_lshrrev_b32_e32 v5, 23, v2
	s_mov_b32 s10, exec_lo
	s_delay_alu instid0(VALU_DEP_2) | instskip(NEXT) | instid1(VALU_DEP_1)
	v_cndmask_b32_e64 v3, v3, 0xffffff82, vcc_lo
	v_add3_u32 v41, v62, v3, v5
	v_and_b32_e32 v3, 0x1fffff, v4
                                        ; implicit-def: $vgpr4
	s_delay_alu instid0(VALU_DEP_1) | instskip(SKIP_1) | instid1(VALU_DEP_2)
	v_dual_add_nc_u32 v5, 14, v41 :: v_dual_add_nc_u32 v2, v3, v2
	v_mov_b32_e32 v3, v1
	v_cmpx_ne_u32_e32 0, v5
	s_xor_b32 s10, exec_lo, s10
; %bb.2564:                             ;   in Loop: Header=BB6_130 Depth=2
	s_delay_alu instid0(VALU_DEP_2) | instskip(SKIP_1) | instid1(VALU_DEP_1)
	v_cmp_lt_u64_e32 vcc_lo, 0xffffff, v[2:3]
	v_add_nc_u32_e32 v4, 15, v41
	v_cndmask_b32_e32 v4, v5, v4, vcc_lo
	v_cndmask_b32_e64 v5, 0, 1, vcc_lo
	s_delay_alu instid0(VALU_DEP_1)
	v_lshrrev_b64 v[2:3], v5, v[2:3]
; %bb.2565:                             ;   in Loop: Header=BB6_130 Depth=2
	s_and_not1_saveexec_b32 s10, s10
; %bb.2566:                             ;   in Loop: Header=BB6_130 Depth=2
	s_delay_alu instid0(VALU_DEP_1)
	v_bfe_u32 v4, v2, 23, 1
; %bb.2567:                             ;   in Loop: Header=BB6_130 Depth=2
	s_or_b32 exec_lo, exec_lo, s10
	s_delay_alu instid0(VALU_DEP_2) | instskip(NEXT) | instid1(VALU_DEP_2)
	v_lshrrev_b64 v[2:3], 21, v[2:3]
	v_cmp_gt_i32_e32 vcc_lo, 32, v4
	v_min_i32_e32 v5, 31, v4
	v_cmp_eq_u32_e64 s10, 0, v4
	s_delay_alu instid0(VALU_DEP_2) | instskip(SKIP_1) | instid1(VALU_DEP_2)
	v_dual_cndmask_b32 v3, 0, v3, vcc_lo :: v_dual_lshlrev_b32 v5, 2, v5
	v_cndmask_b32_e32 v2, 3, v2, vcc_lo
	v_and_b32_e32 v5, 0xfc, v5
	s_delay_alu instid0(VALU_DEP_2) | instskip(NEXT) | instid1(VALU_DEP_2)
	v_cmp_eq_u64_e32 vcc_lo, 0, v[2:3]
	v_and_or_b32 v2, v2, 3, v5
	s_and_b32 s10, s10, vcc_lo
	s_delay_alu instid0(VALU_DEP_1) | instid1(SALU_CYCLE_1)
	v_cndmask_b32_e64 v2, v2, 0, s10
	s_delay_alu instid0(VALU_DEP_1)
	v_or_b32_e32 v41, v2, v57
.LBB6_2568:                             ;   in Loop: Header=BB6_130 Depth=2
	s_or_b32 exec_lo, exec_lo, s41
                                        ; implicit-def: $vgpr57
.LBB6_2569:                             ;   in Loop: Header=BB6_130 Depth=2
	s_and_not1_saveexec_b32 s10, s40
; %bb.2570:                             ;   in Loop: Header=BB6_130 Depth=2
	v_or_b32_e32 v41, 0x7b, v57
; %bb.2571:                             ;   in Loop: Header=BB6_130 Depth=2
	s_or_b32 exec_lo, exec_lo, s10
                                        ; implicit-def: $vgpr4
                                        ; implicit-def: $vgpr2_vgpr3
                                        ; implicit-def: $vgpr5
.LBB6_2572:                             ;   in Loop: Header=BB6_130 Depth=2
	s_and_not1_saveexec_b32 s10, s29
	s_cbranch_execz .LBB6_2578
; %bb.2573:                             ;   in Loop: Header=BB6_130 Depth=2
	s_mov_b32 s29, exec_lo
                                        ; implicit-def: $vgpr41
	v_cmpx_ne_u64_e32 0, v[2:3]
	s_xor_b32 s29, exec_lo, s29
; %bb.2574:                             ;   in Loop: Header=BB6_130 Depth=2
	v_or_b32_e32 v41, 0x7f, v5
                                        ; implicit-def: $vgpr4
; %bb.2575:                             ;   in Loop: Header=BB6_130 Depth=2
	s_and_not1_saveexec_b32 s29, s29
; %bb.2576:                             ;   in Loop: Header=BB6_130 Depth=2
	v_cmp_lt_i32_e32 vcc_lo, -1, v4
	v_mov_b32_e32 v2, 0x7c
	s_delay_alu instid0(VALU_DEP_1)
	v_cndmask_b32_e32 v41, 0xfc, v2, vcc_lo
; %bb.2577:                             ;   in Loop: Header=BB6_130 Depth=2
	s_or_b32 exec_lo, exec_lo, s29
.LBB6_2578:                             ;   in Loop: Header=BB6_130 Depth=2
	s_delay_alu instid0(SALU_CYCLE_1) | instskip(SKIP_3) | instid1(VALU_DEP_2)
	s_or_b32 exec_lo, exec_lo, s10
	v_lshrrev_b16 v2, 8, v46
	v_dual_mov_b32 v4, 0 :: v_dual_mov_b32 v5, 0
	s_mov_b32 s29, exec_lo
	v_cmpx_ne_u16_e32 0, v2
	s_cbranch_execz .LBB6_2588
; %bb.2579:                             ;   in Loop: Header=BB6_130 Depth=2
	v_bfrev_b32_e32 v5, 1
	s_mov_b32 s40, exec_lo
	v_cmpx_ne_u16_e32 0x80, v2
	s_cbranch_execz .LBB6_2587
; %bb.2580:                             ;   in Loop: Header=BB6_130 Depth=2
	v_and_b32_e32 v57, 0xffff, v2
	s_delay_alu instid0(VALU_DEP_1) | instskip(SKIP_1) | instid1(VALU_DEP_2)
	v_and_b32_e32 v5, 0x7c, v57
	v_and_b32_e32 v3, 3, v57
	v_cmp_ne_u32_e32 vcc_lo, 0x7c, v5
                                        ; implicit-def: $vgpr5
	s_and_saveexec_b32 s10, vcc_lo
	s_delay_alu instid0(SALU_CYCLE_1)
	s_xor_b32 s10, exec_lo, s10
	s_cbranch_execz .LBB6_2584
; %bb.2581:                             ;   in Loop: Header=BB6_130 Depth=2
	v_bfe_u32 v5, v57, 2, 5
	s_mov_b32 s41, exec_lo
	s_delay_alu instid0(VALU_DEP_1)
	v_cmpx_eq_u32_e32 0, v5
	s_cbranch_execz .LBB6_2583
; %bb.2582:                             ;   in Loop: Header=BB6_130 Depth=2
	v_clz_i32_u32_e32 v3, v3
	s_delay_alu instid0(VALU_DEP_1) | instskip(SKIP_1) | instid1(VALU_DEP_2)
	v_min_u32_e32 v5, 32, v3
	v_mov_b32_e32 v3, v1
	v_subrev_nc_u32_e32 v57, 29, v5
	v_sub_nc_u32_e32 v5, 30, v5
	s_delay_alu instid0(VALU_DEP_2) | instskip(NEXT) | instid1(VALU_DEP_1)
	v_lshlrev_b64_e32 v[2:3], v57, v[2:3]
	v_and_b32_e32 v3, 3, v2
.LBB6_2583:                             ;   in Loop: Header=BB6_130 Depth=2
	s_or_b32 exec_lo, exec_lo, s41
	v_lshlrev_b32_e32 v2, 16, v46
                                        ; implicit-def: $vgpr46
	s_delay_alu instid0(VALU_DEP_1) | instskip(NEXT) | instid1(VALU_DEP_1)
	v_and_b32_e32 v2, 0x80000000, v2
	v_lshl_add_u32 v2, v5, 23, v2
	s_delay_alu instid0(VALU_DEP_1) | instskip(NEXT) | instid1(VALU_DEP_1)
	v_lshl_or_b32 v2, v3, 21, v2
                                        ; implicit-def: $vgpr3
	v_add_nc_u32_e32 v5, 0x38000000, v2
.LBB6_2584:                             ;   in Loop: Header=BB6_130 Depth=2
	s_and_not1_saveexec_b32 s41, s10
; %bb.2585:                             ;   in Loop: Header=BB6_130 Depth=2
	v_cmp_lt_i16_e64 s10, -1, v46
	v_mov_b32_e32 v2, 0x7f800000
	v_cmp_eq_u32_e32 vcc_lo, 0, v3
	s_delay_alu instid0(VALU_DEP_2) | instskip(NEXT) | instid1(VALU_DEP_1)
	v_cndmask_b32_e64 v2, 0xff800000, v2, s10
	v_cndmask_b32_e32 v5, 0x7f800001, v2, vcc_lo
; %bb.2586:                             ;   in Loop: Header=BB6_130 Depth=2
	s_or_b32 exec_lo, exec_lo, s41
.LBB6_2587:                             ;   in Loop: Header=BB6_130 Depth=2
	s_delay_alu instid0(SALU_CYCLE_1)
	s_or_b32 exec_lo, exec_lo, s40
.LBB6_2588:                             ;   in Loop: Header=BB6_130 Depth=2
	s_delay_alu instid0(SALU_CYCLE_1) | instskip(SKIP_2) | instid1(VALU_DEP_1)
	s_or_b32 exec_lo, exec_lo, s29
	v_lshrrev_b16 v2, 8, v25
	s_mov_b32 s29, exec_lo
	v_cmpx_ne_u16_e32 0, v2
	s_cbranch_execz .LBB6_2598
; %bb.2589:                             ;   in Loop: Header=BB6_130 Depth=2
	v_bfrev_b32_e32 v4, 1
	s_mov_b32 s40, exec_lo
	v_cmpx_ne_u16_e32 0x80, v2
	s_cbranch_execz .LBB6_2597
; %bb.2590:                             ;   in Loop: Header=BB6_130 Depth=2
	v_and_b32_e32 v46, 0xffff, v2
	s_delay_alu instid0(VALU_DEP_1) | instskip(SKIP_1) | instid1(VALU_DEP_2)
	v_and_b32_e32 v4, 0x7c, v46
	v_and_b32_e32 v3, 3, v46
	v_cmp_ne_u32_e32 vcc_lo, 0x7c, v4
                                        ; implicit-def: $vgpr4
	s_and_saveexec_b32 s10, vcc_lo
	s_delay_alu instid0(SALU_CYCLE_1)
	s_xor_b32 s10, exec_lo, s10
	s_cbranch_execz .LBB6_2594
; %bb.2591:                             ;   in Loop: Header=BB6_130 Depth=2
	v_bfe_u32 v4, v46, 2, 5
	s_mov_b32 s41, exec_lo
	s_delay_alu instid0(VALU_DEP_1)
	v_cmpx_eq_u32_e32 0, v4
	s_cbranch_execz .LBB6_2593
; %bb.2592:                             ;   in Loop: Header=BB6_130 Depth=2
	v_clz_i32_u32_e32 v3, v3
	s_delay_alu instid0(VALU_DEP_1) | instskip(SKIP_1) | instid1(VALU_DEP_2)
	v_min_u32_e32 v4, 32, v3
	v_mov_b32_e32 v3, v1
	v_subrev_nc_u32_e32 v46, 29, v4
	v_sub_nc_u32_e32 v4, 30, v4
	s_delay_alu instid0(VALU_DEP_2) | instskip(NEXT) | instid1(VALU_DEP_1)
	v_lshlrev_b64_e32 v[2:3], v46, v[2:3]
	v_and_b32_e32 v3, 3, v2
.LBB6_2593:                             ;   in Loop: Header=BB6_130 Depth=2
	s_or_b32 exec_lo, exec_lo, s41
	v_lshlrev_b32_e32 v2, 16, v25
	s_delay_alu instid0(VALU_DEP_1) | instskip(NEXT) | instid1(VALU_DEP_1)
	v_and_b32_e32 v2, 0x80000000, v2
	v_lshl_add_u32 v2, v4, 23, v2
	s_delay_alu instid0(VALU_DEP_1) | instskip(NEXT) | instid1(VALU_DEP_1)
	v_lshl_or_b32 v2, v3, 21, v2
                                        ; implicit-def: $vgpr3
	v_add_nc_u32_e32 v4, 0x38000000, v2
.LBB6_2594:                             ;   in Loop: Header=BB6_130 Depth=2
	s_and_not1_saveexec_b32 s41, s10
; %bb.2595:                             ;   in Loop: Header=BB6_130 Depth=2
	v_cmp_lt_i16_e64 s10, -1, v25
	v_mov_b32_e32 v2, 0x7f800000
	v_cmp_eq_u32_e32 vcc_lo, 0, v3
	s_delay_alu instid0(VALU_DEP_2) | instskip(NEXT) | instid1(VALU_DEP_1)
	v_cndmask_b32_e64 v2, 0xff800000, v2, s10
	v_cndmask_b32_e32 v4, 0x7f800001, v2, vcc_lo
; %bb.2596:                             ;   in Loop: Header=BB6_130 Depth=2
	s_or_b32 exec_lo, exec_lo, s41
.LBB6_2597:                             ;   in Loop: Header=BB6_130 Depth=2
	s_delay_alu instid0(SALU_CYCLE_1)
	s_or_b32 exec_lo, exec_lo, s40
.LBB6_2598:                             ;   in Loop: Header=BB6_130 Depth=2
	s_delay_alu instid0(SALU_CYCLE_1) | instskip(NEXT) | instid1(VALU_DEP_1)
	s_or_b32 exec_lo, exec_lo, s29
	v_add_f32_e32 v4, v5, v4
	v_dual_mov_b32 v63, v1 :: v_dual_mov_b32 v3, v1
                                        ; implicit-def: $vgpr46
	s_mov_b32 s10, exec_lo
	s_delay_alu instid0(VALU_DEP_2) | instskip(SKIP_2) | instid1(VALU_DEP_3)
	v_and_b32_e32 v62, 0x7f800000, v4
	v_and_b32_e32 v2, 0x7fffff, v4
	v_lshrrev_b32_e32 v5, 24, v4
	v_cmpx_ne_u64_e32 0x7f800000, v[62:63]
	s_xor_b32 s29, exec_lo, s10
	s_cbranch_execz .LBB6_2612
; %bb.2599:                             ;   in Loop: Header=BB6_130 Depth=2
	v_and_b32_e32 v62, 0x7fffffff, v4
	v_mov_b32_e32 v63, v1
	v_and_b32_e32 v57, 0x80, v5
                                        ; implicit-def: $vgpr46
	s_mov_b32 s10, exec_lo
	s_delay_alu instid0(VALU_DEP_2)
	v_cmpx_gt_u64_e32 0x47600001, v[62:63]
	s_xor_b32 s40, exec_lo, s10
	s_cbranch_execz .LBB6_2609
; %bb.2600:                             ;   in Loop: Header=BB6_130 Depth=2
	v_mov_b32_e32 v46, 0
	s_mov_b32 s41, exec_lo
	v_cmpx_ne_u32_e32 0, v4
	s_cbranch_execz .LBB6_2608
; %bb.2601:                             ;   in Loop: Header=BB6_130 Depth=2
	v_bfe_u32 v46, v4, 23, 8
	v_or_b32_e32 v5, 0x800000, v2
	s_delay_alu instid0(VALU_DEP_2) | instskip(SKIP_2) | instid1(VALU_DEP_2)
	v_cmp_gt_u32_e64 s10, 0x72, v46
	v_sub_nc_u32_e32 v4, 0x71, v46
	v_cmp_eq_u32_e32 vcc_lo, 0, v46
	v_dual_cndmask_b32 v4, 0, v4, s10 :: v_dual_cndmask_b32 v2, v5, v2, vcc_lo
	s_delay_alu instid0(VALU_DEP_1) | instskip(NEXT) | instid1(VALU_DEP_1)
	v_cndmask_b32_e64 v62, v4, 0x70, vcc_lo
	v_dual_add_nc_u32 v4, 21, v62 :: v_dual_add_nc_u32 v63, 20, v62
	s_delay_alu instid0(VALU_DEP_1) | instskip(NEXT) | instid1(VALU_DEP_2)
	v_lshlrev_b64_e64 v[4:5], v4, -1
	v_lshlrev_b64_e64 v[72:73], v63, 1
	s_delay_alu instid0(VALU_DEP_2) | instskip(SKIP_1) | instid1(VALU_DEP_4)
	v_bfi_b32 v4, v4, 0, v2
	v_lshrrev_b64 v[2:3], v62, v[2:3]
	v_bfi_b32 v5, v5, 0, 0
	s_delay_alu instid0(VALU_DEP_1) | instskip(NEXT) | instid1(VALU_DEP_3)
	v_cmp_eq_u64_e64 s10, v[4:5], v[72:73]
	v_mov_b64_e32 v[4:5], v[2:3]
	s_and_saveexec_b32 s42, s10
; %bb.2602:                             ;   in Loop: Header=BB6_130 Depth=2
	v_bfe_u32 v4, v2, 21, 1
	v_mov_b32_e32 v5, v1
	s_delay_alu instid0(VALU_DEP_1) | instskip(NEXT) | instid1(VALU_DEP_1)
	v_add_nc_u64_e32 v[4:5], v[2:3], v[4:5]
	v_add_nc_u64_e32 v[4:5], -1, v[4:5]
; %bb.2603:                             ;   in Loop: Header=BB6_130 Depth=2
	s_or_b32 exec_lo, exec_lo, s42
	v_add_nc_u32_e32 v3, 0xffffff81, v46
	v_lshrrev_b32_e32 v5, 23, v2
	s_mov_b32 s10, exec_lo
	s_delay_alu instid0(VALU_DEP_2) | instskip(NEXT) | instid1(VALU_DEP_1)
	v_cndmask_b32_e64 v3, v3, 0xffffff82, vcc_lo
	v_add3_u32 v46, v62, v3, v5
	v_and_b32_e32 v3, 0x1fffff, v4
                                        ; implicit-def: $vgpr4
	s_delay_alu instid0(VALU_DEP_2) | instskip(NEXT) | instid1(VALU_DEP_2)
	v_add_nc_u32_e32 v5, 14, v46
	v_dual_mov_b32 v3, v1 :: v_dual_add_nc_u32 v2, v3, v2
	s_delay_alu instid0(VALU_DEP_2)
	v_cmpx_ne_u32_e32 0, v5
	s_xor_b32 s10, exec_lo, s10
; %bb.2604:                             ;   in Loop: Header=BB6_130 Depth=2
	s_delay_alu instid0(VALU_DEP_2) | instskip(SKIP_1) | instid1(VALU_DEP_1)
	v_cmp_lt_u64_e32 vcc_lo, 0xffffff, v[2:3]
	v_add_nc_u32_e32 v4, 15, v46
	v_cndmask_b32_e32 v4, v5, v4, vcc_lo
	v_cndmask_b32_e64 v5, 0, 1, vcc_lo
	s_delay_alu instid0(VALU_DEP_1)
	v_lshrrev_b64 v[2:3], v5, v[2:3]
; %bb.2605:                             ;   in Loop: Header=BB6_130 Depth=2
	s_and_not1_saveexec_b32 s10, s10
; %bb.2606:                             ;   in Loop: Header=BB6_130 Depth=2
	s_delay_alu instid0(VALU_DEP_1)
	v_bfe_u32 v4, v2, 23, 1
; %bb.2607:                             ;   in Loop: Header=BB6_130 Depth=2
	s_or_b32 exec_lo, exec_lo, s10
	s_delay_alu instid0(VALU_DEP_2) | instskip(NEXT) | instid1(VALU_DEP_2)
	v_lshrrev_b64 v[2:3], 21, v[2:3]
	v_cmp_gt_i32_e32 vcc_lo, 32, v4
	v_min_i32_e32 v5, 31, v4
	v_cmp_eq_u32_e64 s10, 0, v4
	s_delay_alu instid0(VALU_DEP_2) | instskip(SKIP_1) | instid1(VALU_DEP_2)
	v_dual_cndmask_b32 v3, 0, v3, vcc_lo :: v_dual_lshlrev_b32 v5, 2, v5
	v_cndmask_b32_e32 v2, 3, v2, vcc_lo
	v_and_b32_e32 v5, 0xfc, v5
	s_delay_alu instid0(VALU_DEP_2) | instskip(NEXT) | instid1(VALU_DEP_2)
	v_cmp_eq_u64_e32 vcc_lo, 0, v[2:3]
	v_and_or_b32 v2, v2, 3, v5
	s_and_b32 s10, s10, vcc_lo
	s_delay_alu instid0(VALU_DEP_1) | instid1(SALU_CYCLE_1)
	v_cndmask_b32_e64 v2, v2, 0, s10
	s_delay_alu instid0(VALU_DEP_1)
	v_or_b32_e32 v46, v2, v57
.LBB6_2608:                             ;   in Loop: Header=BB6_130 Depth=2
	s_or_b32 exec_lo, exec_lo, s41
                                        ; implicit-def: $vgpr57
.LBB6_2609:                             ;   in Loop: Header=BB6_130 Depth=2
	s_and_not1_saveexec_b32 s10, s40
; %bb.2610:                             ;   in Loop: Header=BB6_130 Depth=2
	v_or_b32_e32 v46, 0x7b, v57
; %bb.2611:                             ;   in Loop: Header=BB6_130 Depth=2
	s_or_b32 exec_lo, exec_lo, s10
                                        ; implicit-def: $vgpr4
                                        ; implicit-def: $vgpr2_vgpr3
                                        ; implicit-def: $vgpr5
.LBB6_2612:                             ;   in Loop: Header=BB6_130 Depth=2
	s_and_not1_saveexec_b32 s10, s29
	s_cbranch_execz .LBB6_2618
; %bb.2613:                             ;   in Loop: Header=BB6_130 Depth=2
	s_mov_b32 s29, exec_lo
                                        ; implicit-def: $vgpr46
	v_cmpx_ne_u64_e32 0, v[2:3]
	s_xor_b32 s29, exec_lo, s29
; %bb.2614:                             ;   in Loop: Header=BB6_130 Depth=2
	v_or_b32_e32 v46, 0x7f, v5
                                        ; implicit-def: $vgpr4
; %bb.2615:                             ;   in Loop: Header=BB6_130 Depth=2
	s_and_not1_saveexec_b32 s29, s29
; %bb.2616:                             ;   in Loop: Header=BB6_130 Depth=2
	v_cmp_lt_i32_e32 vcc_lo, -1, v4
	v_mov_b32_e32 v2, 0x7c
	s_delay_alu instid0(VALU_DEP_1)
	v_cndmask_b32_e32 v46, 0xfc, v2, vcc_lo
; %bb.2617:                             ;   in Loop: Header=BB6_130 Depth=2
	s_or_b32 exec_lo, exec_lo, s29
.LBB6_2618:                             ;   in Loop: Header=BB6_130 Depth=2
	s_delay_alu instid0(SALU_CYCLE_1) | instskip(SKIP_3) | instid1(VALU_DEP_2)
	s_or_b32 exec_lo, exec_lo, s10
	v_dual_mov_b32 v3, 0 :: v_dual_lshrrev_b32 v2, 16, v0
	v_mov_b32_e32 v4, 0
	s_mov_b32 s29, exec_lo
	v_and_b32_e32 v5, 0xff, v2
	s_delay_alu instid0(VALU_DEP_1)
	v_cmpx_ne_u16_e32 0, v5
	s_cbranch_execz .LBB6_2628
; %bb.2619:                             ;   in Loop: Header=BB6_130 Depth=2
	v_bfrev_b32_e32 v4, 1
	s_mov_b32 s40, exec_lo
	v_cmpx_ne_u16_e32 0x80, v5
	s_cbranch_execz .LBB6_2627
; %bb.2620:                             ;   in Loop: Header=BB6_130 Depth=2
	v_and_b32_e32 v4, 0x7c0000, v0
	v_bfe_u32 v5, v0, 16, 2
	s_delay_alu instid0(VALU_DEP_2) | instskip(SKIP_1) | instid1(SALU_CYCLE_1)
	v_cmp_ne_u32_e32 vcc_lo, 0x7c0000, v4
                                        ; implicit-def: $vgpr4
	s_and_saveexec_b32 s10, vcc_lo
	s_xor_b32 s10, exec_lo, s10
	s_cbranch_execz .LBB6_2624
; %bb.2621:                             ;   in Loop: Header=BB6_130 Depth=2
	v_bfe_u32 v4, v0, 18, 5
	s_mov_b32 s41, exec_lo
	s_delay_alu instid0(VALU_DEP_1)
	v_cmpx_eq_u32_e32 0, v4
; %bb.2622:                             ;   in Loop: Header=BB6_130 Depth=2
	v_clz_i32_u32_e32 v4, v5
	s_delay_alu instid0(VALU_DEP_1) | instskip(NEXT) | instid1(VALU_DEP_1)
	v_min_u32_e32 v4, 32, v4
	v_subrev_nc_u32_e32 v5, 29, v4
	s_delay_alu instid0(VALU_DEP_1) | instskip(NEXT) | instid1(VALU_DEP_1)
	v_lshlrev_b64_e32 v[62:63], v5, v[2:3]
	v_dual_sub_nc_u32 v4, 30, v4 :: v_dual_bitop2_b32 v5, 3, v62 bitop3:0x40
; %bb.2623:                             ;   in Loop: Header=BB6_130 Depth=2
	s_or_b32 exec_lo, exec_lo, s41
	v_lshlrev_b32_e32 v2, 24, v2
	s_delay_alu instid0(VALU_DEP_1) | instskip(NEXT) | instid1(VALU_DEP_1)
	v_and_b32_e32 v2, 0x80000000, v2
	v_lshl_add_u32 v2, v4, 23, v2
	s_delay_alu instid0(VALU_DEP_1) | instskip(NEXT) | instid1(VALU_DEP_1)
	v_lshl_or_b32 v2, v5, 21, v2
                                        ; implicit-def: $vgpr5
	v_add_nc_u32_e32 v4, 0x38000000, v2
                                        ; implicit-def: $vgpr2
.LBB6_2624:                             ;   in Loop: Header=BB6_130 Depth=2
	s_and_not1_saveexec_b32 s41, s10
; %bb.2625:                             ;   in Loop: Header=BB6_130 Depth=2
	v_bfe_i32 v2, v2, 0, 8
	v_cmp_eq_u32_e32 vcc_lo, 0, v5
	s_delay_alu instid0(VALU_DEP_2) | instskip(SKIP_1) | instid1(VALU_DEP_1)
	v_cmp_lt_i16_e64 s10, -1, v2
	v_mov_b32_e32 v2, 0x7f800000
	v_cndmask_b32_e64 v2, 0xff800000, v2, s10
	s_delay_alu instid0(VALU_DEP_1)
	v_cndmask_b32_e32 v4, 0x7f800001, v2, vcc_lo
; %bb.2626:                             ;   in Loop: Header=BB6_130 Depth=2
	s_or_b32 exec_lo, exec_lo, s41
.LBB6_2627:                             ;   in Loop: Header=BB6_130 Depth=2
	s_delay_alu instid0(SALU_CYCLE_1)
	s_or_b32 exec_lo, exec_lo, s40
.LBB6_2628:                             ;   in Loop: Header=BB6_130 Depth=2
	s_delay_alu instid0(SALU_CYCLE_1) | instskip(SKIP_2) | instid1(VALU_DEP_1)
	s_or_b32 exec_lo, exec_lo, s29
	v_lshrrev_b32_e32 v2, 16, v25
	s_mov_b32 s29, exec_lo
	v_and_b32_e32 v5, 0xff, v2
	s_delay_alu instid0(VALU_DEP_1)
	v_cmpx_ne_u16_e32 0, v5
	s_cbranch_execz .LBB6_2638
; %bb.2629:                             ;   in Loop: Header=BB6_130 Depth=2
	v_bfrev_b32_e32 v3, 1
	s_mov_b32 s40, exec_lo
	v_cmpx_ne_u16_e32 0x80, v5
	s_cbranch_execz .LBB6_2637
; %bb.2630:                             ;   in Loop: Header=BB6_130 Depth=2
	v_and_b32_e32 v3, 0x7c0000, v25
	v_bfe_u32 v5, v25, 16, 2
	s_delay_alu instid0(VALU_DEP_2) | instskip(SKIP_1) | instid1(SALU_CYCLE_1)
	v_cmp_ne_u32_e32 vcc_lo, 0x7c0000, v3
                                        ; implicit-def: $vgpr3
	s_and_saveexec_b32 s10, vcc_lo
	s_xor_b32 s10, exec_lo, s10
	s_cbranch_execz .LBB6_2634
; %bb.2631:                             ;   in Loop: Header=BB6_130 Depth=2
	v_bfe_u32 v3, v25, 18, 5
	s_mov_b32 s41, exec_lo
	s_delay_alu instid0(VALU_DEP_1)
	v_cmpx_eq_u32_e32 0, v3
; %bb.2632:                             ;   in Loop: Header=BB6_130 Depth=2
	v_clz_i32_u32_e32 v3, v5
	s_delay_alu instid0(VALU_DEP_1) | instskip(NEXT) | instid1(VALU_DEP_1)
	v_min_u32_e32 v3, 32, v3
	v_subrev_nc_u32_e32 v5, 29, v3
	s_delay_alu instid0(VALU_DEP_1) | instskip(NEXT) | instid1(VALU_DEP_1)
	v_lshlrev_b64_e32 v[62:63], v5, v[2:3]
	v_dual_sub_nc_u32 v3, 30, v3 :: v_dual_bitop2_b32 v5, 3, v62 bitop3:0x40
; %bb.2633:                             ;   in Loop: Header=BB6_130 Depth=2
	s_or_b32 exec_lo, exec_lo, s41
	v_lshlrev_b32_e32 v2, 24, v2
	s_delay_alu instid0(VALU_DEP_1) | instskip(NEXT) | instid1(VALU_DEP_1)
	v_and_b32_e32 v2, 0x80000000, v2
	v_lshl_add_u32 v2, v3, 23, v2
	s_delay_alu instid0(VALU_DEP_1) | instskip(NEXT) | instid1(VALU_DEP_1)
	v_lshl_or_b32 v2, v5, 21, v2
                                        ; implicit-def: $vgpr5
	v_add_nc_u32_e32 v3, 0x38000000, v2
                                        ; implicit-def: $vgpr2
.LBB6_2634:                             ;   in Loop: Header=BB6_130 Depth=2
	s_and_not1_saveexec_b32 s41, s10
; %bb.2635:                             ;   in Loop: Header=BB6_130 Depth=2
	v_bfe_i32 v2, v2, 0, 8
	v_cmp_eq_u32_e32 vcc_lo, 0, v5
	s_delay_alu instid0(VALU_DEP_2) | instskip(SKIP_1) | instid1(VALU_DEP_1)
	v_cmp_lt_i16_e64 s10, -1, v2
	v_mov_b32_e32 v2, 0x7f800000
	v_cndmask_b32_e64 v2, 0xff800000, v2, s10
	s_delay_alu instid0(VALU_DEP_1)
	v_cndmask_b32_e32 v3, 0x7f800001, v2, vcc_lo
; %bb.2636:                             ;   in Loop: Header=BB6_130 Depth=2
	s_or_b32 exec_lo, exec_lo, s41
.LBB6_2637:                             ;   in Loop: Header=BB6_130 Depth=2
	s_delay_alu instid0(SALU_CYCLE_1)
	s_or_b32 exec_lo, exec_lo, s40
.LBB6_2638:                             ;   in Loop: Header=BB6_130 Depth=2
	s_delay_alu instid0(SALU_CYCLE_1) | instskip(NEXT) | instid1(VALU_DEP_1)
	s_or_b32 exec_lo, exec_lo, s29
	v_dual_add_f32 v4, v4, v3 :: v_dual_mov_b32 v63, v1
	v_mov_b32_e32 v3, v1
                                        ; implicit-def: $vgpr57
	s_mov_b32 s10, exec_lo
	s_delay_alu instid0(VALU_DEP_2) | instskip(SKIP_2) | instid1(VALU_DEP_3)
	v_and_b32_e32 v62, 0x7f800000, v4
	v_and_b32_e32 v2, 0x7fffff, v4
	v_lshrrev_b32_e32 v5, 24, v4
	v_cmpx_ne_u64_e32 0x7f800000, v[62:63]
	s_xor_b32 s29, exec_lo, s10
	s_cbranch_execz .LBB6_2652
; %bb.2639:                             ;   in Loop: Header=BB6_130 Depth=2
	v_and_b32_e32 v62, 0x7fffffff, v4
	v_mov_b32_e32 v63, v1
                                        ; implicit-def: $vgpr57
	s_delay_alu instid0(VALU_DEP_1) | instskip(SKIP_2) | instid1(SALU_CYCLE_1)
	v_cmp_gt_u64_e32 vcc_lo, 0x47600001, v[62:63]
	v_and_b32_e32 v62, 0x80, v5
	s_and_saveexec_b32 s10, vcc_lo
	s_xor_b32 s40, exec_lo, s10
	s_cbranch_execz .LBB6_2649
; %bb.2640:                             ;   in Loop: Header=BB6_130 Depth=2
	v_mov_b32_e32 v57, 0
	s_mov_b32 s41, exec_lo
	v_cmpx_ne_u32_e32 0, v4
	s_cbranch_execz .LBB6_2648
; %bb.2641:                             ;   in Loop: Header=BB6_130 Depth=2
	v_bfe_u32 v57, v4, 23, 8
	v_or_b32_e32 v5, 0x800000, v2
	s_delay_alu instid0(VALU_DEP_2) | instskip(SKIP_2) | instid1(VALU_DEP_2)
	v_cmp_gt_u32_e64 s10, 0x72, v57
	v_sub_nc_u32_e32 v4, 0x71, v57
	v_cmp_eq_u32_e32 vcc_lo, 0, v57
	v_dual_cndmask_b32 v4, 0, v4, s10 :: v_dual_cndmask_b32 v2, v5, v2, vcc_lo
	s_delay_alu instid0(VALU_DEP_1) | instskip(NEXT) | instid1(VALU_DEP_1)
	v_cndmask_b32_e64 v63, v4, 0x70, vcc_lo
	v_dual_add_nc_u32 v4, 21, v63 :: v_dual_add_nc_u32 v72, 20, v63
	s_delay_alu instid0(VALU_DEP_1) | instskip(NEXT) | instid1(VALU_DEP_2)
	v_lshlrev_b64_e64 v[4:5], v4, -1
	v_lshlrev_b64_e64 v[72:73], v72, 1
	s_delay_alu instid0(VALU_DEP_2) | instskip(SKIP_1) | instid1(VALU_DEP_4)
	v_bfi_b32 v4, v4, 0, v2
	v_lshrrev_b64 v[2:3], v63, v[2:3]
	v_bfi_b32 v5, v5, 0, 0
	s_delay_alu instid0(VALU_DEP_1) | instskip(NEXT) | instid1(VALU_DEP_3)
	v_cmp_eq_u64_e64 s10, v[4:5], v[72:73]
	v_mov_b64_e32 v[4:5], v[2:3]
	s_and_saveexec_b32 s42, s10
; %bb.2642:                             ;   in Loop: Header=BB6_130 Depth=2
	v_bfe_u32 v4, v2, 21, 1
	v_mov_b32_e32 v5, v1
	s_delay_alu instid0(VALU_DEP_1) | instskip(NEXT) | instid1(VALU_DEP_1)
	v_add_nc_u64_e32 v[4:5], v[2:3], v[4:5]
	v_add_nc_u64_e32 v[4:5], -1, v[4:5]
; %bb.2643:                             ;   in Loop: Header=BB6_130 Depth=2
	s_or_b32 exec_lo, exec_lo, s42
	v_add_nc_u32_e32 v3, 0xffffff81, v57
	v_lshrrev_b32_e32 v5, 23, v2
	s_mov_b32 s10, exec_lo
	s_delay_alu instid0(VALU_DEP_2) | instskip(NEXT) | instid1(VALU_DEP_1)
	v_cndmask_b32_e64 v3, v3, 0xffffff82, vcc_lo
	v_add3_u32 v57, v63, v3, v5
	v_and_b32_e32 v3, 0x1fffff, v4
                                        ; implicit-def: $vgpr4
	s_delay_alu instid0(VALU_DEP_1) | instskip(SKIP_1) | instid1(VALU_DEP_2)
	v_dual_add_nc_u32 v5, 14, v57 :: v_dual_add_nc_u32 v2, v3, v2
	v_mov_b32_e32 v3, v1
	v_cmpx_ne_u32_e32 0, v5
	s_xor_b32 s10, exec_lo, s10
; %bb.2644:                             ;   in Loop: Header=BB6_130 Depth=2
	s_delay_alu instid0(VALU_DEP_2) | instskip(SKIP_1) | instid1(VALU_DEP_1)
	v_cmp_lt_u64_e32 vcc_lo, 0xffffff, v[2:3]
	v_add_nc_u32_e32 v4, 15, v57
	v_cndmask_b32_e32 v4, v5, v4, vcc_lo
	v_cndmask_b32_e64 v5, 0, 1, vcc_lo
	s_delay_alu instid0(VALU_DEP_1)
	v_lshrrev_b64 v[2:3], v5, v[2:3]
; %bb.2645:                             ;   in Loop: Header=BB6_130 Depth=2
	s_and_not1_saveexec_b32 s10, s10
; %bb.2646:                             ;   in Loop: Header=BB6_130 Depth=2
	s_delay_alu instid0(VALU_DEP_1)
	v_bfe_u32 v4, v2, 23, 1
; %bb.2647:                             ;   in Loop: Header=BB6_130 Depth=2
	s_or_b32 exec_lo, exec_lo, s10
	s_delay_alu instid0(VALU_DEP_2) | instskip(NEXT) | instid1(VALU_DEP_2)
	v_lshrrev_b64 v[2:3], 21, v[2:3]
	v_cmp_gt_i32_e32 vcc_lo, 32, v4
	v_min_i32_e32 v5, 31, v4
	v_cmp_eq_u32_e64 s10, 0, v4
	s_delay_alu instid0(VALU_DEP_2) | instskip(SKIP_1) | instid1(VALU_DEP_2)
	v_dual_cndmask_b32 v3, 0, v3, vcc_lo :: v_dual_lshlrev_b32 v5, 2, v5
	v_cndmask_b32_e32 v2, 3, v2, vcc_lo
	v_and_b32_e32 v5, 0xfc, v5
	s_delay_alu instid0(VALU_DEP_2) | instskip(NEXT) | instid1(VALU_DEP_2)
	v_cmp_eq_u64_e32 vcc_lo, 0, v[2:3]
	v_and_or_b32 v2, v2, 3, v5
	s_and_b32 s10, s10, vcc_lo
	s_delay_alu instid0(VALU_DEP_1) | instid1(SALU_CYCLE_1)
	v_cndmask_b32_e64 v2, v2, 0, s10
	s_delay_alu instid0(VALU_DEP_1)
	v_or_b32_e32 v57, v2, v62
.LBB6_2648:                             ;   in Loop: Header=BB6_130 Depth=2
	s_or_b32 exec_lo, exec_lo, s41
                                        ; implicit-def: $vgpr62
.LBB6_2649:                             ;   in Loop: Header=BB6_130 Depth=2
	s_and_not1_saveexec_b32 s10, s40
; %bb.2650:                             ;   in Loop: Header=BB6_130 Depth=2
	v_or_b32_e32 v57, 0x7b, v62
; %bb.2651:                             ;   in Loop: Header=BB6_130 Depth=2
	s_or_b32 exec_lo, exec_lo, s10
                                        ; implicit-def: $vgpr4
                                        ; implicit-def: $vgpr2_vgpr3
                                        ; implicit-def: $vgpr5
.LBB6_2652:                             ;   in Loop: Header=BB6_130 Depth=2
	s_and_not1_saveexec_b32 s10, s29
	s_cbranch_execz .LBB6_2658
; %bb.2653:                             ;   in Loop: Header=BB6_130 Depth=2
	s_mov_b32 s29, exec_lo
                                        ; implicit-def: $vgpr57
	v_cmpx_ne_u64_e32 0, v[2:3]
	s_xor_b32 s29, exec_lo, s29
; %bb.2654:                             ;   in Loop: Header=BB6_130 Depth=2
	v_or_b32_e32 v57, 0x7f, v5
                                        ; implicit-def: $vgpr4
; %bb.2655:                             ;   in Loop: Header=BB6_130 Depth=2
	s_and_not1_saveexec_b32 s29, s29
; %bb.2656:                             ;   in Loop: Header=BB6_130 Depth=2
	v_cmp_lt_i32_e32 vcc_lo, -1, v4
	v_mov_b32_e32 v2, 0x7c
	s_delay_alu instid0(VALU_DEP_1)
	v_cndmask_b32_e32 v57, 0xfc, v2, vcc_lo
; %bb.2657:                             ;   in Loop: Header=BB6_130 Depth=2
	s_or_b32 exec_lo, exec_lo, s29
.LBB6_2658:                             ;   in Loop: Header=BB6_130 Depth=2
	s_delay_alu instid0(SALU_CYCLE_1)
	s_or_b32 exec_lo, exec_lo, s10
	v_dual_mov_b32 v3, 0 :: v_dual_mov_b32 v4, 0
	s_mov_b32 s29, exec_lo
	v_cmpx_lt_u32_e32 0xffffff, v0
	s_cbranch_execz .LBB6_2668
; %bb.2659:                             ;   in Loop: Header=BB6_130 Depth=2
	v_lshrrev_b32_e32 v2, 24, v0
	v_bfrev_b32_e32 v4, 1
	s_mov_b32 s40, exec_lo
	s_delay_alu instid0(VALU_DEP_2)
	v_cmpx_ne_u32_e32 0x80, v2
	s_cbranch_execz .LBB6_2667
; %bb.2660:                             ;   in Loop: Header=BB6_130 Depth=2
	v_and_b32_e32 v4, 0x7c000000, v0
	v_bfe_u32 v5, v0, 24, 2
	s_delay_alu instid0(VALU_DEP_2) | instskip(SKIP_1) | instid1(SALU_CYCLE_1)
	v_cmp_ne_u32_e32 vcc_lo, 0x7c000000, v4
                                        ; implicit-def: $vgpr4
	s_and_saveexec_b32 s10, vcc_lo
	s_xor_b32 s10, exec_lo, s10
	s_cbranch_execz .LBB6_2664
; %bb.2661:                             ;   in Loop: Header=BB6_130 Depth=2
	v_bfe_u32 v4, v0, 26, 5
	s_mov_b32 s41, exec_lo
	s_delay_alu instid0(VALU_DEP_1)
	v_cmpx_eq_u32_e32 0, v4
; %bb.2662:                             ;   in Loop: Header=BB6_130 Depth=2
	v_clz_i32_u32_e32 v4, v5
	s_delay_alu instid0(VALU_DEP_1) | instskip(NEXT) | instid1(VALU_DEP_1)
	v_min_u32_e32 v4, 32, v4
	v_subrev_nc_u32_e32 v5, 29, v4
	s_delay_alu instid0(VALU_DEP_1) | instskip(NEXT) | instid1(VALU_DEP_1)
	v_lshlrev_b64_e32 v[62:63], v5, v[2:3]
	v_dual_sub_nc_u32 v4, 30, v4 :: v_dual_bitop2_b32 v5, 3, v62 bitop3:0x40
; %bb.2663:                             ;   in Loop: Header=BB6_130 Depth=2
	s_or_b32 exec_lo, exec_lo, s41
	v_and_b32_e32 v0, 0x80000000, v0
	s_delay_alu instid0(VALU_DEP_1) | instskip(NEXT) | instid1(VALU_DEP_1)
	v_lshl_add_u32 v0, v4, 23, v0
	v_lshl_or_b32 v0, v5, 21, v0
                                        ; implicit-def: $vgpr5
	s_delay_alu instid0(VALU_DEP_1)
	v_add_nc_u32_e32 v4, 0x38000000, v0
.LBB6_2664:                             ;   in Loop: Header=BB6_130 Depth=2
	s_and_not1_saveexec_b32 s41, s10
; %bb.2665:                             ;   in Loop: Header=BB6_130 Depth=2
	v_cmp_lt_i32_e64 s10, -1, v0
	v_mov_b32_e32 v0, 0x7f800000
	v_cmp_eq_u32_e32 vcc_lo, 0, v5
	s_delay_alu instid0(VALU_DEP_2) | instskip(NEXT) | instid1(VALU_DEP_1)
	v_cndmask_b32_e64 v0, 0xff800000, v0, s10
	v_cndmask_b32_e32 v4, 0x7f800001, v0, vcc_lo
; %bb.2666:                             ;   in Loop: Header=BB6_130 Depth=2
	s_or_b32 exec_lo, exec_lo, s41
.LBB6_2667:                             ;   in Loop: Header=BB6_130 Depth=2
	s_delay_alu instid0(SALU_CYCLE_1)
	s_or_b32 exec_lo, exec_lo, s40
.LBB6_2668:                             ;   in Loop: Header=BB6_130 Depth=2
	s_delay_alu instid0(SALU_CYCLE_1) | instskip(NEXT) | instid1(SALU_CYCLE_1)
	s_or_b32 exec_lo, exec_lo, s29
	s_mov_b32 s29, exec_lo
	v_cmpx_lt_u64_e64 s[12:13], v[24:25]
	s_cbranch_execz .LBB6_2678
; %bb.2669:                             ;   in Loop: Header=BB6_130 Depth=2
	v_lshrrev_b32_e32 v0, 24, v25
	v_bfrev_b32_e32 v3, 1
	s_mov_b32 s40, exec_lo
	s_delay_alu instid0(VALU_DEP_2)
	v_cmpx_ne_u32_e32 0x80, v0
	s_cbranch_execz .LBB6_2677
; %bb.2670:                             ;   in Loop: Header=BB6_130 Depth=2
	v_and_b32_e32 v3, 0x7c000000, v25
	v_bfe_u32 v2, v25, 24, 2
	s_delay_alu instid0(VALU_DEP_2) | instskip(SKIP_1) | instid1(SALU_CYCLE_1)
	v_cmp_ne_u32_e32 vcc_lo, 0x7c000000, v3
                                        ; implicit-def: $vgpr3
	s_and_saveexec_b32 s10, vcc_lo
	s_xor_b32 s10, exec_lo, s10
	s_cbranch_execz .LBB6_2674
; %bb.2671:                             ;   in Loop: Header=BB6_130 Depth=2
	v_bfe_u32 v3, v25, 26, 5
	s_mov_b32 s41, exec_lo
	s_delay_alu instid0(VALU_DEP_1)
	v_cmpx_eq_u32_e32 0, v3
; %bb.2672:                             ;   in Loop: Header=BB6_130 Depth=2
	v_clz_i32_u32_e32 v2, v2
	s_delay_alu instid0(VALU_DEP_1) | instskip(NEXT) | instid1(VALU_DEP_1)
	v_min_u32_e32 v5, 32, v2
	v_subrev_nc_u32_e32 v2, 29, v5
	s_delay_alu instid0(VALU_DEP_1) | instskip(NEXT) | instid1(VALU_DEP_1)
	v_lshlrev_b64_e32 v[2:3], v2, v[0:1]
	v_dual_sub_nc_u32 v3, 30, v5 :: v_dual_bitop2_b32 v2, 3, v2 bitop3:0x40
; %bb.2673:                             ;   in Loop: Header=BB6_130 Depth=2
	s_or_b32 exec_lo, exec_lo, s41
	v_and_b32_e32 v0, 0x80000000, v25
                                        ; implicit-def: $vgpr24_vgpr25
	s_delay_alu instid0(VALU_DEP_1) | instskip(NEXT) | instid1(VALU_DEP_1)
	v_lshl_add_u32 v0, v3, 23, v0
	v_lshl_or_b32 v0, v2, 21, v0
                                        ; implicit-def: $vgpr2
	s_delay_alu instid0(VALU_DEP_1)
	v_add_nc_u32_e32 v3, 0x38000000, v0
.LBB6_2674:                             ;   in Loop: Header=BB6_130 Depth=2
	s_and_not1_saveexec_b32 s41, s10
; %bb.2675:                             ;   in Loop: Header=BB6_130 Depth=2
	v_cmp_lt_i64_e64 s10, -1, v[24:25]
	v_mov_b32_e32 v0, 0x7f800000
	v_cmp_eq_u32_e32 vcc_lo, 0, v2
	s_delay_alu instid0(VALU_DEP_2) | instskip(NEXT) | instid1(VALU_DEP_1)
	v_cndmask_b32_e64 v0, 0xff800000, v0, s10
	v_cndmask_b32_e32 v3, 0x7f800001, v0, vcc_lo
; %bb.2676:                             ;   in Loop: Header=BB6_130 Depth=2
	s_or_b32 exec_lo, exec_lo, s41
.LBB6_2677:                             ;   in Loop: Header=BB6_130 Depth=2
	s_delay_alu instid0(SALU_CYCLE_1)
	s_or_b32 exec_lo, exec_lo, s40
.LBB6_2678:                             ;   in Loop: Header=BB6_130 Depth=2
	s_delay_alu instid0(SALU_CYCLE_1) | instskip(NEXT) | instid1(VALU_DEP_1)
	s_or_b32 exec_lo, exec_lo, s29
	v_dual_add_f32 v2, v4, v3 :: v_dual_mov_b32 v5, v1
                                        ; implicit-def: $vgpr24
	s_mov_b32 s10, exec_lo
	s_delay_alu instid0(VALU_DEP_1) | instskip(SKIP_2) | instid1(VALU_DEP_3)
	v_and_b32_e32 v4, 0x7f800000, v2
	v_and_b32_e32 v0, 0x7fffff, v2
	v_lshrrev_b32_e32 v3, 24, v2
	v_cmpx_ne_u64_e32 0x7f800000, v[4:5]
	s_xor_b32 s29, exec_lo, s10
	s_cbranch_execz .LBB6_2692
; %bb.2679:                             ;   in Loop: Header=BB6_130 Depth=2
	v_and_b32_e32 v4, 0x7fffffff, v2
	v_mov_b32_e32 v5, v1
	v_and_b32_e32 v25, 0x80, v3
                                        ; implicit-def: $vgpr24
	s_mov_b32 s10, exec_lo
	s_delay_alu instid0(VALU_DEP_2)
	v_cmpx_gt_u64_e32 0x47600001, v[4:5]
	s_xor_b32 s40, exec_lo, s10
	s_cbranch_execz .LBB6_2689
; %bb.2680:                             ;   in Loop: Header=BB6_130 Depth=2
	v_mov_b32_e32 v24, 0
	s_mov_b32 s41, exec_lo
	v_cmpx_ne_u32_e32 0, v2
	s_cbranch_execz .LBB6_2688
; %bb.2681:                             ;   in Loop: Header=BB6_130 Depth=2
	v_bfe_u32 v24, v2, 23, 8
	v_or_b32_e32 v3, 0x800000, v0
	s_delay_alu instid0(VALU_DEP_2) | instskip(SKIP_2) | instid1(VALU_DEP_2)
	v_cmp_gt_u32_e64 s10, 0x72, v24
	v_sub_nc_u32_e32 v2, 0x71, v24
	v_cmp_eq_u32_e32 vcc_lo, 0, v24
	v_cndmask_b32_e64 v2, 0, v2, s10
	s_delay_alu instid0(VALU_DEP_1) | instskip(SKIP_1) | instid1(VALU_DEP_2)
	v_cndmask_b32_e64 v62, v2, 0x70, vcc_lo
	v_dual_cndmask_b32 v2, v3, v0 :: v_dual_mov_b32 v3, v1
	v_add_nc_u32_e32 v0, 21, v62
	s_delay_alu instid0(VALU_DEP_1) | instskip(SKIP_1) | instid1(VALU_DEP_1)
	v_lshlrev_b64_e64 v[4:5], v0, -1
	v_add_nc_u32_e32 v0, 20, v62
	v_lshlrev_b64_e64 v[72:73], v0, 1
	s_delay_alu instid0(VALU_DEP_3) | instskip(SKIP_2) | instid1(VALU_DEP_1)
	v_bfi_b32 v4, v4, 0, v2
	v_lshrrev_b64 v[2:3], v62, v[2:3]
	v_bfi_b32 v5, v5, 0, 0
	v_cmp_eq_u64_e64 s10, v[4:5], v[72:73]
	s_delay_alu instid0(VALU_DEP_3)
	v_mov_b64_e32 v[4:5], v[2:3]
	s_and_saveexec_b32 s42, s10
; %bb.2682:                             ;   in Loop: Header=BB6_130 Depth=2
	v_bfe_u32 v4, v2, 21, 1
	v_mov_b32_e32 v5, v1
	s_delay_alu instid0(VALU_DEP_1) | instskip(NEXT) | instid1(VALU_DEP_1)
	v_add_nc_u64_e32 v[4:5], v[2:3], v[4:5]
	v_add_nc_u64_e32 v[4:5], -1, v[4:5]
; %bb.2683:                             ;   in Loop: Header=BB6_130 Depth=2
	s_or_b32 exec_lo, exec_lo, s42
	v_add_nc_u32_e32 v0, 0xffffff81, v24
	v_lshrrev_b32_e32 v3, 23, v2
	s_mov_b32 s10, exec_lo
	s_delay_alu instid0(VALU_DEP_2) | instskip(NEXT) | instid1(VALU_DEP_1)
	v_cndmask_b32_e64 v0, v0, 0xffffff82, vcc_lo
	v_add3_u32 v24, v62, v0, v3
	v_and_b32_e32 v0, 0x1fffff, v4
                                        ; implicit-def: $vgpr4
	s_delay_alu instid0(VALU_DEP_1) | instskip(NEXT) | instid1(VALU_DEP_1)
	v_dual_add_nc_u32 v5, 14, v24 :: v_dual_add_nc_u32 v0, v0, v2
                                        ; implicit-def: $vgpr2_vgpr3
	v_cmpx_ne_u32_e32 0, v5
	s_xor_b32 s10, exec_lo, s10
; %bb.2684:                             ;   in Loop: Header=BB6_130 Depth=2
	s_delay_alu instid0(VALU_DEP_2) | instskip(SKIP_1) | instid1(VALU_DEP_1)
	v_cmp_lt_u64_e32 vcc_lo, 0xffffff, v[0:1]
	v_add_nc_u32_e32 v2, 15, v24
	v_cndmask_b32_e32 v4, v5, v2, vcc_lo
	v_cndmask_b32_e64 v2, 0, 1, vcc_lo
	s_delay_alu instid0(VALU_DEP_1)
	v_lshrrev_b64 v[2:3], v2, v[0:1]
; %bb.2685:                             ;   in Loop: Header=BB6_130 Depth=2
	s_and_not1_saveexec_b32 s10, s10
; %bb.2686:                             ;   in Loop: Header=BB6_130 Depth=2
	v_mov_b64_e32 v[2:3], v[0:1]
	v_bfe_u32 v4, v0, 23, 1
; %bb.2687:                             ;   in Loop: Header=BB6_130 Depth=2
	s_or_b32 exec_lo, exec_lo, s10
	s_delay_alu instid0(VALU_DEP_2) | instskip(NEXT) | instid1(VALU_DEP_2)
	v_lshrrev_b64 v[2:3], 21, v[2:3]
	v_cmp_gt_i32_e32 vcc_lo, 32, v4
	v_min_i32_e32 v0, 31, v4
	v_cmp_eq_u32_e64 s10, 0, v4
	s_delay_alu instid0(VALU_DEP_2) | instskip(SKIP_1) | instid1(VALU_DEP_2)
	v_dual_cndmask_b32 v3, 0, v3 :: v_dual_lshlrev_b32 v0, 2, v0
	v_cndmask_b32_e32 v2, 3, v2, vcc_lo
	v_and_b32_e32 v0, 0xfc, v0
	s_delay_alu instid0(VALU_DEP_2) | instskip(NEXT) | instid1(VALU_DEP_2)
	v_cmp_eq_u64_e32 vcc_lo, 0, v[2:3]
	v_and_or_b32 v0, v2, 3, v0
	s_and_b32 s10, s10, vcc_lo
	s_delay_alu instid0(VALU_DEP_1) | instid1(SALU_CYCLE_1)
	v_cndmask_b32_e64 v0, v0, 0, s10
	s_delay_alu instid0(VALU_DEP_1)
	v_or_b32_e32 v24, v0, v25
.LBB6_2688:                             ;   in Loop: Header=BB6_130 Depth=2
	s_or_b32 exec_lo, exec_lo, s41
                                        ; implicit-def: $vgpr25
.LBB6_2689:                             ;   in Loop: Header=BB6_130 Depth=2
	s_and_not1_saveexec_b32 s10, s40
; %bb.2690:                             ;   in Loop: Header=BB6_130 Depth=2
	v_or_b32_e32 v24, 0x7b, v25
; %bb.2691:                             ;   in Loop: Header=BB6_130 Depth=2
	s_or_b32 exec_lo, exec_lo, s10
                                        ; implicit-def: $vgpr2
                                        ; implicit-def: $vgpr3
.LBB6_2692:                             ;   in Loop: Header=BB6_130 Depth=2
	s_and_not1_saveexec_b32 s10, s29
	s_cbranch_execz .LBB6_2698
; %bb.2693:                             ;   in Loop: Header=BB6_130 Depth=2
	s_mov_b32 s29, exec_lo
                                        ; implicit-def: $vgpr24
	v_cmpx_ne_u64_e32 0, v[0:1]
	s_xor_b32 s29, exec_lo, s29
; %bb.2694:                             ;   in Loop: Header=BB6_130 Depth=2
	v_or_b32_e32 v24, 0x7f, v3
                                        ; implicit-def: $vgpr2
; %bb.2695:                             ;   in Loop: Header=BB6_130 Depth=2
	s_and_not1_saveexec_b32 s29, s29
; %bb.2696:                             ;   in Loop: Header=BB6_130 Depth=2
	v_cmp_lt_i32_e32 vcc_lo, -1, v2
	v_mov_b32_e32 v0, 0x7c
	s_delay_alu instid0(VALU_DEP_1)
	v_cndmask_b32_e32 v24, 0xfc, v0, vcc_lo
; %bb.2697:                             ;   in Loop: Header=BB6_130 Depth=2
	s_or_b32 exec_lo, exec_lo, s29
.LBB6_2698:                             ;   in Loop: Header=BB6_130 Depth=2
	s_delay_alu instid0(SALU_CYCLE_1) | instskip(SKIP_4) | instid1(VALU_DEP_2)
	s_or_b32 exec_lo, exec_lo, s10
	v_lshl_or_b32 v58, v58, 8, v47
	v_dual_lshlrev_b32 v0, 16, v60 :: v_dual_lshlrev_b32 v2, 24, v61
	s_mov_b32 s29, exec_lo
	v_mov_b32_e32 v3, 0
	v_or3_b32 v0, v0, v2, v58
	v_mov_b32_e32 v2, 0
	v_cmpx_ne_u32_e32 0, v47
	s_cbranch_execz .LBB6_2708
; %bb.2699:                             ;   in Loop: Header=BB6_130 Depth=2
	v_bfrev_b32_e32 v3, 1
	s_mov_b32 s40, exec_lo
	v_cmpx_ne_u32_e32 0x80, v47
	s_cbranch_execz .LBB6_2707
; %bb.2700:                             ;   in Loop: Header=BB6_130 Depth=2
	v_and_b32_e32 v3, 0x7c, v47
	v_and_b32_e32 v4, 3, v47
	s_delay_alu instid0(VALU_DEP_2) | instskip(SKIP_1) | instid1(SALU_CYCLE_1)
	v_cmp_ne_u32_e32 vcc_lo, 0x7c, v3
                                        ; implicit-def: $vgpr3
	s_and_saveexec_b32 s10, vcc_lo
	s_xor_b32 s10, exec_lo, s10
	s_cbranch_execz .LBB6_2704
; %bb.2701:                             ;   in Loop: Header=BB6_130 Depth=2
	v_bfe_u32 v3, v47, 2, 5
	s_mov_b32 s41, exec_lo
	s_delay_alu instid0(VALU_DEP_1)
	v_cmpx_eq_u32_e32 0, v3
; %bb.2702:                             ;   in Loop: Header=BB6_130 Depth=2
	v_clz_i32_u32_e32 v3, v4
	s_delay_alu instid0(VALU_DEP_1) | instskip(NEXT) | instid1(VALU_DEP_1)
	v_min_u32_e32 v3, 32, v3
	v_subrev_nc_u32_e32 v4, 29, v3
	s_delay_alu instid0(VALU_DEP_1) | instskip(NEXT) | instid1(VALU_DEP_1)
	v_lshlrev_b64_e32 v[4:5], v4, v[0:1]
	v_dual_sub_nc_u32 v3, 30, v3 :: v_dual_bitop2_b32 v4, 3, v4 bitop3:0x40
; %bb.2703:                             ;   in Loop: Header=BB6_130 Depth=2
	s_or_b32 exec_lo, exec_lo, s41
	v_lshlrev_b32_e32 v5, 24, v47
                                        ; implicit-def: $vgpr47
	s_delay_alu instid0(VALU_DEP_1) | instskip(NEXT) | instid1(VALU_DEP_1)
	v_and_b32_e32 v5, 0x80000000, v5
	v_lshl_add_u32 v3, v3, 23, v5
	s_delay_alu instid0(VALU_DEP_1) | instskip(NEXT) | instid1(VALU_DEP_1)
	v_lshl_or_b32 v3, v4, 21, v3
                                        ; implicit-def: $vgpr4
	v_add_nc_u32_e32 v3, 0x38000000, v3
.LBB6_2704:                             ;   in Loop: Header=BB6_130 Depth=2
	s_and_not1_saveexec_b32 s41, s10
; %bb.2705:                             ;   in Loop: Header=BB6_130 Depth=2
	v_and_b32_e32 v3, 0x80, v47
	v_cmp_eq_u32_e32 vcc_lo, 0, v4
	s_delay_alu instid0(VALU_DEP_2) | instskip(SKIP_1) | instid1(VALU_DEP_1)
	v_cmp_eq_u32_e64 s10, 0, v3
	v_mov_b32_e32 v3, 0x7f800000
	v_cndmask_b32_e64 v3, 0xff800000, v3, s10
	s_delay_alu instid0(VALU_DEP_1)
	v_cndmask_b32_e32 v3, 0x7f800001, v3, vcc_lo
; %bb.2706:                             ;   in Loop: Header=BB6_130 Depth=2
	s_or_b32 exec_lo, exec_lo, s41
.LBB6_2707:                             ;   in Loop: Header=BB6_130 Depth=2
	s_delay_alu instid0(SALU_CYCLE_1)
	s_or_b32 exec_lo, exec_lo, s40
.LBB6_2708:                             ;   in Loop: Header=BB6_130 Depth=2
	s_delay_alu instid0(SALU_CYCLE_1) | instskip(SKIP_3) | instid1(VALU_DEP_1)
	s_or_b32 exec_lo, exec_lo, s29
	s_wait_loadcnt 0x2
	v_and_b32_e32 v4, 0xff, v18
	s_mov_b32 s29, exec_lo
	v_cmpx_ne_u16_e32 0, v4
	s_cbranch_execz .LBB6_2718
; %bb.2709:                             ;   in Loop: Header=BB6_130 Depth=2
	v_bfe_i32 v5, v18, 0, 8
	v_bfrev_b32_e32 v2, 1
	s_mov_b32 s40, exec_lo
	s_delay_alu instid0(VALU_DEP_2)
	v_cmpx_ne_u16_e32 0xff80, v5
	s_cbranch_execz .LBB6_2717
; %bb.2710:                             ;   in Loop: Header=BB6_130 Depth=2
	v_and_b32_e32 v2, 0x7c, v18
	v_and_b32_e32 v4, 3, v18
	s_delay_alu instid0(VALU_DEP_2) | instskip(SKIP_1) | instid1(SALU_CYCLE_1)
	v_cmp_ne_u32_e32 vcc_lo, 0x7c, v2
                                        ; implicit-def: $vgpr2
	s_and_saveexec_b32 s10, vcc_lo
	s_xor_b32 s10, exec_lo, s10
	s_cbranch_execz .LBB6_2714
; %bb.2711:                             ;   in Loop: Header=BB6_130 Depth=2
	v_bfe_u32 v2, v18, 2, 5
	s_mov_b32 s41, exec_lo
	s_delay_alu instid0(VALU_DEP_1)
	v_cmpx_eq_u32_e32 0, v2
; %bb.2712:                             ;   in Loop: Header=BB6_130 Depth=2
	v_clz_i32_u32_e32 v2, v4
	s_delay_alu instid0(VALU_DEP_1) | instskip(NEXT) | instid1(VALU_DEP_1)
	v_min_u32_e32 v2, 32, v2
	v_subrev_nc_u32_e32 v4, 29, v2
	s_delay_alu instid0(VALU_DEP_1) | instskip(NEXT) | instid1(VALU_DEP_1)
	v_lshlrev_b64_e32 v[4:5], v4, v[18:19]
	v_dual_sub_nc_u32 v2, 30, v2 :: v_dual_bitop2_b32 v4, 3, v4 bitop3:0x40
; %bb.2713:                             ;   in Loop: Header=BB6_130 Depth=2
	s_or_b32 exec_lo, exec_lo, s41
	v_lshlrev_b32_e32 v5, 24, v18
	s_delay_alu instid0(VALU_DEP_1) | instskip(NEXT) | instid1(VALU_DEP_1)
	v_and_b32_e32 v5, 0x80000000, v5
	v_lshl_add_u32 v2, v2, 23, v5
                                        ; implicit-def: $vgpr5
	s_delay_alu instid0(VALU_DEP_1) | instskip(NEXT) | instid1(VALU_DEP_1)
	v_lshl_or_b32 v2, v4, 21, v2
                                        ; implicit-def: $vgpr4
	v_add_nc_u32_e32 v2, 0x38000000, v2
.LBB6_2714:                             ;   in Loop: Header=BB6_130 Depth=2
	s_and_not1_saveexec_b32 s41, s10
; %bb.2715:                             ;   in Loop: Header=BB6_130 Depth=2
	v_cmp_lt_i16_e64 s10, -1, v5
	v_mov_b32_e32 v2, 0x7f800000
	v_cmp_eq_u32_e32 vcc_lo, 0, v4
	s_delay_alu instid0(VALU_DEP_2) | instskip(NEXT) | instid1(VALU_DEP_1)
	v_cndmask_b32_e64 v2, 0xff800000, v2, s10
	v_cndmask_b32_e32 v2, 0x7f800001, v2, vcc_lo
; %bb.2716:                             ;   in Loop: Header=BB6_130 Depth=2
	s_or_b32 exec_lo, exec_lo, s41
.LBB6_2717:                             ;   in Loop: Header=BB6_130 Depth=2
	s_delay_alu instid0(SALU_CYCLE_1)
	s_or_b32 exec_lo, exec_lo, s40
.LBB6_2718:                             ;   in Loop: Header=BB6_130 Depth=2
	s_delay_alu instid0(SALU_CYCLE_1) | instskip(NEXT) | instid1(VALU_DEP_1)
	s_or_b32 exec_lo, exec_lo, s29
	v_dual_add_f32 v4, v3, v2 :: v_dual_mov_b32 v61, v1
	v_mov_b32_e32 v3, v1
                                        ; implicit-def: $vgpr25
	s_mov_b32 s10, exec_lo
	s_delay_alu instid0(VALU_DEP_2) | instskip(SKIP_2) | instid1(VALU_DEP_3)
	v_and_b32_e32 v60, 0x7f800000, v4
	v_and_b32_e32 v2, 0x7fffff, v4
	v_lshrrev_b32_e32 v5, 24, v4
	v_cmpx_ne_u64_e32 0x7f800000, v[60:61]
	s_xor_b32 s29, exec_lo, s10
	s_cbranch_execz .LBB6_2732
; %bb.2719:                             ;   in Loop: Header=BB6_130 Depth=2
	v_and_b32_e32 v60, 0x7fffffff, v4
	v_mov_b32_e32 v61, v1
	v_and_b32_e32 v47, 0x80, v5
                                        ; implicit-def: $vgpr25
	s_mov_b32 s10, exec_lo
	s_delay_alu instid0(VALU_DEP_2)
	v_cmpx_gt_u64_e32 0x47600001, v[60:61]
	s_xor_b32 s40, exec_lo, s10
	s_cbranch_execz .LBB6_2729
; %bb.2720:                             ;   in Loop: Header=BB6_130 Depth=2
	v_mov_b32_e32 v25, 0
	s_mov_b32 s41, exec_lo
	v_cmpx_ne_u32_e32 0, v4
	s_cbranch_execz .LBB6_2728
; %bb.2721:                             ;   in Loop: Header=BB6_130 Depth=2
	v_bfe_u32 v25, v4, 23, 8
	v_or_b32_e32 v5, 0x800000, v2
	s_delay_alu instid0(VALU_DEP_2) | instskip(SKIP_2) | instid1(VALU_DEP_2)
	v_cmp_gt_u32_e64 s10, 0x72, v25
	v_sub_nc_u32_e32 v4, 0x71, v25
	v_cmp_eq_u32_e32 vcc_lo, 0, v25
	v_dual_cndmask_b32 v4, 0, v4, s10 :: v_dual_cndmask_b32 v2, v5, v2, vcc_lo
	s_delay_alu instid0(VALU_DEP_1) | instskip(NEXT) | instid1(VALU_DEP_1)
	v_cndmask_b32_e64 v60, v4, 0x70, vcc_lo
	v_dual_add_nc_u32 v4, 21, v60 :: v_dual_add_nc_u32 v61, 20, v60
	s_delay_alu instid0(VALU_DEP_1) | instskip(NEXT) | instid1(VALU_DEP_2)
	v_lshlrev_b64_e64 v[4:5], v4, -1
	v_lshlrev_b64_e64 v[62:63], v61, 1
	s_delay_alu instid0(VALU_DEP_2) | instskip(SKIP_1) | instid1(VALU_DEP_4)
	v_bfi_b32 v4, v4, 0, v2
	v_lshrrev_b64 v[2:3], v60, v[2:3]
	v_bfi_b32 v5, v5, 0, 0
	s_delay_alu instid0(VALU_DEP_1) | instskip(NEXT) | instid1(VALU_DEP_3)
	v_cmp_eq_u64_e64 s10, v[4:5], v[62:63]
	v_mov_b64_e32 v[4:5], v[2:3]
	s_and_saveexec_b32 s42, s10
; %bb.2722:                             ;   in Loop: Header=BB6_130 Depth=2
	v_bfe_u32 v4, v2, 21, 1
	v_mov_b32_e32 v5, v1
	s_delay_alu instid0(VALU_DEP_1) | instskip(NEXT) | instid1(VALU_DEP_1)
	v_add_nc_u64_e32 v[4:5], v[2:3], v[4:5]
	v_add_nc_u64_e32 v[4:5], -1, v[4:5]
; %bb.2723:                             ;   in Loop: Header=BB6_130 Depth=2
	s_or_b32 exec_lo, exec_lo, s42
	v_add_nc_u32_e32 v3, 0xffffff81, v25
	v_lshrrev_b32_e32 v5, 23, v2
	s_mov_b32 s10, exec_lo
	s_delay_alu instid0(VALU_DEP_2) | instskip(NEXT) | instid1(VALU_DEP_1)
	v_cndmask_b32_e64 v3, v3, 0xffffff82, vcc_lo
	v_add3_u32 v25, v60, v3, v5
	v_and_b32_e32 v3, 0x1fffff, v4
                                        ; implicit-def: $vgpr4
	s_delay_alu instid0(VALU_DEP_1) | instskip(SKIP_1) | instid1(VALU_DEP_2)
	v_dual_add_nc_u32 v5, 14, v25 :: v_dual_add_nc_u32 v2, v3, v2
	v_mov_b32_e32 v3, v1
	v_cmpx_ne_u32_e32 0, v5
	s_xor_b32 s10, exec_lo, s10
; %bb.2724:                             ;   in Loop: Header=BB6_130 Depth=2
	s_delay_alu instid0(VALU_DEP_2) | instskip(SKIP_1) | instid1(VALU_DEP_1)
	v_cmp_lt_u64_e32 vcc_lo, 0xffffff, v[2:3]
	v_add_nc_u32_e32 v4, 15, v25
	v_cndmask_b32_e32 v4, v5, v4, vcc_lo
	v_cndmask_b32_e64 v5, 0, 1, vcc_lo
	s_delay_alu instid0(VALU_DEP_1)
	v_lshrrev_b64 v[2:3], v5, v[2:3]
; %bb.2725:                             ;   in Loop: Header=BB6_130 Depth=2
	s_and_not1_saveexec_b32 s10, s10
; %bb.2726:                             ;   in Loop: Header=BB6_130 Depth=2
	s_delay_alu instid0(VALU_DEP_1)
	v_bfe_u32 v4, v2, 23, 1
; %bb.2727:                             ;   in Loop: Header=BB6_130 Depth=2
	s_or_b32 exec_lo, exec_lo, s10
	s_delay_alu instid0(VALU_DEP_2) | instskip(NEXT) | instid1(VALU_DEP_2)
	v_lshrrev_b64 v[2:3], 21, v[2:3]
	v_cmp_gt_i32_e32 vcc_lo, 32, v4
	v_min_i32_e32 v5, 31, v4
	v_cmp_eq_u32_e64 s10, 0, v4
	s_delay_alu instid0(VALU_DEP_2) | instskip(SKIP_1) | instid1(VALU_DEP_2)
	v_dual_cndmask_b32 v3, 0, v3, vcc_lo :: v_dual_lshlrev_b32 v5, 2, v5
	v_cndmask_b32_e32 v2, 3, v2, vcc_lo
	v_and_b32_e32 v5, 0xfc, v5
	s_delay_alu instid0(VALU_DEP_2) | instskip(NEXT) | instid1(VALU_DEP_2)
	v_cmp_eq_u64_e32 vcc_lo, 0, v[2:3]
	v_and_or_b32 v2, v2, 3, v5
	s_and_b32 s10, s10, vcc_lo
	s_delay_alu instid0(VALU_DEP_1) | instid1(SALU_CYCLE_1)
	v_cndmask_b32_e64 v2, v2, 0, s10
	s_delay_alu instid0(VALU_DEP_1)
	v_or_b32_e32 v25, v2, v47
.LBB6_2728:                             ;   in Loop: Header=BB6_130 Depth=2
	s_or_b32 exec_lo, exec_lo, s41
                                        ; implicit-def: $vgpr47
.LBB6_2729:                             ;   in Loop: Header=BB6_130 Depth=2
	s_and_not1_saveexec_b32 s10, s40
; %bb.2730:                             ;   in Loop: Header=BB6_130 Depth=2
	v_or_b32_e32 v25, 0x7b, v47
; %bb.2731:                             ;   in Loop: Header=BB6_130 Depth=2
	s_or_b32 exec_lo, exec_lo, s10
                                        ; implicit-def: $vgpr4
                                        ; implicit-def: $vgpr2_vgpr3
                                        ; implicit-def: $vgpr5
.LBB6_2732:                             ;   in Loop: Header=BB6_130 Depth=2
	s_and_not1_saveexec_b32 s10, s29
	s_cbranch_execz .LBB6_2738
; %bb.2733:                             ;   in Loop: Header=BB6_130 Depth=2
	s_mov_b32 s29, exec_lo
                                        ; implicit-def: $vgpr25
	v_cmpx_ne_u64_e32 0, v[2:3]
	s_xor_b32 s29, exec_lo, s29
; %bb.2734:                             ;   in Loop: Header=BB6_130 Depth=2
	v_or_b32_e32 v25, 0x7f, v5
                                        ; implicit-def: $vgpr4
; %bb.2735:                             ;   in Loop: Header=BB6_130 Depth=2
	s_and_not1_saveexec_b32 s29, s29
; %bb.2736:                             ;   in Loop: Header=BB6_130 Depth=2
	v_cmp_lt_i32_e32 vcc_lo, -1, v4
	v_mov_b32_e32 v2, 0x7c
	s_delay_alu instid0(VALU_DEP_1)
	v_cndmask_b32_e32 v25, 0xfc, v2, vcc_lo
; %bb.2737:                             ;   in Loop: Header=BB6_130 Depth=2
	s_or_b32 exec_lo, exec_lo, s29
.LBB6_2738:                             ;   in Loop: Header=BB6_130 Depth=2
	s_delay_alu instid0(SALU_CYCLE_1) | instskip(SKIP_3) | instid1(VALU_DEP_2)
	s_or_b32 exec_lo, exec_lo, s10
	v_lshrrev_b16 v2, 8, v58
	v_dual_mov_b32 v4, 0 :: v_dual_mov_b32 v5, 0
	s_mov_b32 s29, exec_lo
	v_cmpx_ne_u16_e32 0, v2
	s_cbranch_execz .LBB6_2748
; %bb.2739:                             ;   in Loop: Header=BB6_130 Depth=2
	v_bfrev_b32_e32 v5, 1
	s_mov_b32 s40, exec_lo
	v_cmpx_ne_u16_e32 0x80, v2
	s_cbranch_execz .LBB6_2747
; %bb.2740:                             ;   in Loop: Header=BB6_130 Depth=2
	v_and_b32_e32 v47, 0xffff, v2
	s_delay_alu instid0(VALU_DEP_1) | instskip(SKIP_1) | instid1(VALU_DEP_2)
	v_and_b32_e32 v5, 0x7c, v47
	v_and_b32_e32 v3, 3, v47
	v_cmp_ne_u32_e32 vcc_lo, 0x7c, v5
                                        ; implicit-def: $vgpr5
	s_and_saveexec_b32 s10, vcc_lo
	s_delay_alu instid0(SALU_CYCLE_1)
	s_xor_b32 s10, exec_lo, s10
	s_cbranch_execz .LBB6_2744
; %bb.2741:                             ;   in Loop: Header=BB6_130 Depth=2
	v_bfe_u32 v5, v47, 2, 5
	s_mov_b32 s41, exec_lo
	s_delay_alu instid0(VALU_DEP_1)
	v_cmpx_eq_u32_e32 0, v5
	s_cbranch_execz .LBB6_2743
; %bb.2742:                             ;   in Loop: Header=BB6_130 Depth=2
	v_clz_i32_u32_e32 v3, v3
	s_delay_alu instid0(VALU_DEP_1) | instskip(SKIP_1) | instid1(VALU_DEP_2)
	v_min_u32_e32 v5, 32, v3
	v_mov_b32_e32 v3, v1
	v_subrev_nc_u32_e32 v47, 29, v5
	v_sub_nc_u32_e32 v5, 30, v5
	s_delay_alu instid0(VALU_DEP_2) | instskip(NEXT) | instid1(VALU_DEP_1)
	v_lshlrev_b64_e32 v[2:3], v47, v[2:3]
	v_and_b32_e32 v3, 3, v2
.LBB6_2743:                             ;   in Loop: Header=BB6_130 Depth=2
	s_or_b32 exec_lo, exec_lo, s41
	v_lshlrev_b32_e32 v2, 16, v58
                                        ; implicit-def: $vgpr58
	s_delay_alu instid0(VALU_DEP_1) | instskip(NEXT) | instid1(VALU_DEP_1)
	v_and_b32_e32 v2, 0x80000000, v2
	v_lshl_add_u32 v2, v5, 23, v2
	s_delay_alu instid0(VALU_DEP_1) | instskip(NEXT) | instid1(VALU_DEP_1)
	v_lshl_or_b32 v2, v3, 21, v2
                                        ; implicit-def: $vgpr3
	v_add_nc_u32_e32 v5, 0x38000000, v2
.LBB6_2744:                             ;   in Loop: Header=BB6_130 Depth=2
	s_and_not1_saveexec_b32 s41, s10
; %bb.2745:                             ;   in Loop: Header=BB6_130 Depth=2
	v_cmp_lt_i16_e64 s10, -1, v58
	v_mov_b32_e32 v2, 0x7f800000
	v_cmp_eq_u32_e32 vcc_lo, 0, v3
	s_delay_alu instid0(VALU_DEP_2) | instskip(NEXT) | instid1(VALU_DEP_1)
	v_cndmask_b32_e64 v2, 0xff800000, v2, s10
	v_cndmask_b32_e32 v5, 0x7f800001, v2, vcc_lo
; %bb.2746:                             ;   in Loop: Header=BB6_130 Depth=2
	s_or_b32 exec_lo, exec_lo, s41
.LBB6_2747:                             ;   in Loop: Header=BB6_130 Depth=2
	s_delay_alu instid0(SALU_CYCLE_1)
	s_or_b32 exec_lo, exec_lo, s40
.LBB6_2748:                             ;   in Loop: Header=BB6_130 Depth=2
	s_delay_alu instid0(SALU_CYCLE_1) | instskip(SKIP_2) | instid1(VALU_DEP_1)
	s_or_b32 exec_lo, exec_lo, s29
	v_lshrrev_b16 v2, 8, v18
	s_mov_b32 s29, exec_lo
	v_cmpx_ne_u16_e32 0, v2
	s_cbranch_execz .LBB6_2758
; %bb.2749:                             ;   in Loop: Header=BB6_130 Depth=2
	v_bfrev_b32_e32 v4, 1
	s_mov_b32 s40, exec_lo
	v_cmpx_ne_u16_e32 0x80, v2
	s_cbranch_execz .LBB6_2757
; %bb.2750:                             ;   in Loop: Header=BB6_130 Depth=2
	v_and_b32_e32 v47, 0xffff, v2
	s_delay_alu instid0(VALU_DEP_1) | instskip(SKIP_1) | instid1(VALU_DEP_2)
	v_and_b32_e32 v4, 0x7c, v47
	v_and_b32_e32 v3, 3, v47
	v_cmp_ne_u32_e32 vcc_lo, 0x7c, v4
                                        ; implicit-def: $vgpr4
	s_and_saveexec_b32 s10, vcc_lo
	s_delay_alu instid0(SALU_CYCLE_1)
	s_xor_b32 s10, exec_lo, s10
	s_cbranch_execz .LBB6_2754
; %bb.2751:                             ;   in Loop: Header=BB6_130 Depth=2
	v_bfe_u32 v4, v47, 2, 5
	s_mov_b32 s41, exec_lo
	s_delay_alu instid0(VALU_DEP_1)
	v_cmpx_eq_u32_e32 0, v4
	s_cbranch_execz .LBB6_2753
; %bb.2752:                             ;   in Loop: Header=BB6_130 Depth=2
	v_clz_i32_u32_e32 v3, v3
	s_delay_alu instid0(VALU_DEP_1) | instskip(SKIP_1) | instid1(VALU_DEP_2)
	v_min_u32_e32 v4, 32, v3
	v_mov_b32_e32 v3, v1
	v_subrev_nc_u32_e32 v47, 29, v4
	v_sub_nc_u32_e32 v4, 30, v4
	s_delay_alu instid0(VALU_DEP_2) | instskip(NEXT) | instid1(VALU_DEP_1)
	v_lshlrev_b64_e32 v[2:3], v47, v[2:3]
	v_and_b32_e32 v3, 3, v2
.LBB6_2753:                             ;   in Loop: Header=BB6_130 Depth=2
	s_or_b32 exec_lo, exec_lo, s41
	v_lshlrev_b32_e32 v2, 16, v18
	s_delay_alu instid0(VALU_DEP_1) | instskip(NEXT) | instid1(VALU_DEP_1)
	v_and_b32_e32 v2, 0x80000000, v2
	v_lshl_add_u32 v2, v4, 23, v2
	s_delay_alu instid0(VALU_DEP_1) | instskip(NEXT) | instid1(VALU_DEP_1)
	v_lshl_or_b32 v2, v3, 21, v2
                                        ; implicit-def: $vgpr3
	v_add_nc_u32_e32 v4, 0x38000000, v2
.LBB6_2754:                             ;   in Loop: Header=BB6_130 Depth=2
	s_and_not1_saveexec_b32 s41, s10
; %bb.2755:                             ;   in Loop: Header=BB6_130 Depth=2
	v_cmp_lt_i16_e64 s10, -1, v18
	v_mov_b32_e32 v2, 0x7f800000
	v_cmp_eq_u32_e32 vcc_lo, 0, v3
	s_delay_alu instid0(VALU_DEP_2) | instskip(NEXT) | instid1(VALU_DEP_1)
	v_cndmask_b32_e64 v2, 0xff800000, v2, s10
	v_cndmask_b32_e32 v4, 0x7f800001, v2, vcc_lo
; %bb.2756:                             ;   in Loop: Header=BB6_130 Depth=2
	s_or_b32 exec_lo, exec_lo, s41
.LBB6_2757:                             ;   in Loop: Header=BB6_130 Depth=2
	s_delay_alu instid0(SALU_CYCLE_1)
	s_or_b32 exec_lo, exec_lo, s40
.LBB6_2758:                             ;   in Loop: Header=BB6_130 Depth=2
	s_delay_alu instid0(SALU_CYCLE_1) | instskip(NEXT) | instid1(VALU_DEP_1)
	s_or_b32 exec_lo, exec_lo, s29
	v_add_f32_e32 v4, v5, v4
	v_dual_mov_b32 v61, v1 :: v_dual_mov_b32 v3, v1
                                        ; implicit-def: $vgpr47
	s_mov_b32 s10, exec_lo
	s_delay_alu instid0(VALU_DEP_2) | instskip(SKIP_2) | instid1(VALU_DEP_3)
	v_and_b32_e32 v60, 0x7f800000, v4
	v_and_b32_e32 v2, 0x7fffff, v4
	v_lshrrev_b32_e32 v5, 24, v4
	v_cmpx_ne_u64_e32 0x7f800000, v[60:61]
	s_xor_b32 s29, exec_lo, s10
	s_cbranch_execz .LBB6_2772
; %bb.2759:                             ;   in Loop: Header=BB6_130 Depth=2
	v_and_b32_e32 v60, 0x7fffffff, v4
	v_mov_b32_e32 v61, v1
	v_and_b32_e32 v58, 0x80, v5
                                        ; implicit-def: $vgpr47
	s_mov_b32 s10, exec_lo
	s_delay_alu instid0(VALU_DEP_2)
	v_cmpx_gt_u64_e32 0x47600001, v[60:61]
	s_xor_b32 s40, exec_lo, s10
	s_cbranch_execz .LBB6_2769
; %bb.2760:                             ;   in Loop: Header=BB6_130 Depth=2
	v_mov_b32_e32 v47, 0
	s_mov_b32 s41, exec_lo
	v_cmpx_ne_u32_e32 0, v4
	s_cbranch_execz .LBB6_2768
; %bb.2761:                             ;   in Loop: Header=BB6_130 Depth=2
	v_bfe_u32 v47, v4, 23, 8
	v_or_b32_e32 v5, 0x800000, v2
	s_delay_alu instid0(VALU_DEP_2) | instskip(SKIP_2) | instid1(VALU_DEP_2)
	v_cmp_gt_u32_e64 s10, 0x72, v47
	v_sub_nc_u32_e32 v4, 0x71, v47
	v_cmp_eq_u32_e32 vcc_lo, 0, v47
	v_dual_cndmask_b32 v4, 0, v4, s10 :: v_dual_cndmask_b32 v2, v5, v2, vcc_lo
	s_delay_alu instid0(VALU_DEP_1) | instskip(NEXT) | instid1(VALU_DEP_1)
	v_cndmask_b32_e64 v60, v4, 0x70, vcc_lo
	v_dual_add_nc_u32 v4, 21, v60 :: v_dual_add_nc_u32 v61, 20, v60
	s_delay_alu instid0(VALU_DEP_1) | instskip(NEXT) | instid1(VALU_DEP_2)
	v_lshlrev_b64_e64 v[4:5], v4, -1
	v_lshlrev_b64_e64 v[62:63], v61, 1
	s_delay_alu instid0(VALU_DEP_2) | instskip(SKIP_1) | instid1(VALU_DEP_4)
	v_bfi_b32 v4, v4, 0, v2
	v_lshrrev_b64 v[2:3], v60, v[2:3]
	v_bfi_b32 v5, v5, 0, 0
	s_delay_alu instid0(VALU_DEP_1) | instskip(NEXT) | instid1(VALU_DEP_3)
	v_cmp_eq_u64_e64 s10, v[4:5], v[62:63]
	v_mov_b64_e32 v[4:5], v[2:3]
	s_and_saveexec_b32 s42, s10
; %bb.2762:                             ;   in Loop: Header=BB6_130 Depth=2
	v_bfe_u32 v4, v2, 21, 1
	v_mov_b32_e32 v5, v1
	s_delay_alu instid0(VALU_DEP_1) | instskip(NEXT) | instid1(VALU_DEP_1)
	v_add_nc_u64_e32 v[4:5], v[2:3], v[4:5]
	v_add_nc_u64_e32 v[4:5], -1, v[4:5]
; %bb.2763:                             ;   in Loop: Header=BB6_130 Depth=2
	s_or_b32 exec_lo, exec_lo, s42
	v_add_nc_u32_e32 v3, 0xffffff81, v47
	v_lshrrev_b32_e32 v5, 23, v2
	s_mov_b32 s10, exec_lo
	s_delay_alu instid0(VALU_DEP_2) | instskip(NEXT) | instid1(VALU_DEP_1)
	v_cndmask_b32_e64 v3, v3, 0xffffff82, vcc_lo
	v_add3_u32 v47, v60, v3, v5
	v_and_b32_e32 v3, 0x1fffff, v4
                                        ; implicit-def: $vgpr4
	s_delay_alu instid0(VALU_DEP_1) | instskip(SKIP_1) | instid1(VALU_DEP_2)
	v_dual_add_nc_u32 v5, 14, v47 :: v_dual_add_nc_u32 v2, v3, v2
	v_mov_b32_e32 v3, v1
	v_cmpx_ne_u32_e32 0, v5
	s_xor_b32 s10, exec_lo, s10
; %bb.2764:                             ;   in Loop: Header=BB6_130 Depth=2
	s_delay_alu instid0(VALU_DEP_2) | instskip(SKIP_1) | instid1(VALU_DEP_1)
	v_cmp_lt_u64_e32 vcc_lo, 0xffffff, v[2:3]
	v_add_nc_u32_e32 v4, 15, v47
	v_cndmask_b32_e32 v4, v5, v4, vcc_lo
	v_cndmask_b32_e64 v5, 0, 1, vcc_lo
	s_delay_alu instid0(VALU_DEP_1)
	v_lshrrev_b64 v[2:3], v5, v[2:3]
; %bb.2765:                             ;   in Loop: Header=BB6_130 Depth=2
	s_and_not1_saveexec_b32 s10, s10
; %bb.2766:                             ;   in Loop: Header=BB6_130 Depth=2
	s_delay_alu instid0(VALU_DEP_1)
	v_bfe_u32 v4, v2, 23, 1
; %bb.2767:                             ;   in Loop: Header=BB6_130 Depth=2
	s_or_b32 exec_lo, exec_lo, s10
	s_delay_alu instid0(VALU_DEP_2) | instskip(NEXT) | instid1(VALU_DEP_2)
	v_lshrrev_b64 v[2:3], 21, v[2:3]
	v_cmp_gt_i32_e32 vcc_lo, 32, v4
	v_min_i32_e32 v5, 31, v4
	v_cmp_eq_u32_e64 s10, 0, v4
	s_delay_alu instid0(VALU_DEP_2) | instskip(SKIP_1) | instid1(VALU_DEP_2)
	v_dual_cndmask_b32 v3, 0, v3, vcc_lo :: v_dual_lshlrev_b32 v5, 2, v5
	v_cndmask_b32_e32 v2, 3, v2, vcc_lo
	v_and_b32_e32 v5, 0xfc, v5
	s_delay_alu instid0(VALU_DEP_2) | instskip(NEXT) | instid1(VALU_DEP_2)
	v_cmp_eq_u64_e32 vcc_lo, 0, v[2:3]
	v_and_or_b32 v2, v2, 3, v5
	s_and_b32 s10, s10, vcc_lo
	s_delay_alu instid0(VALU_DEP_1) | instid1(SALU_CYCLE_1)
	v_cndmask_b32_e64 v2, v2, 0, s10
	s_delay_alu instid0(VALU_DEP_1)
	v_or_b32_e32 v47, v2, v58
.LBB6_2768:                             ;   in Loop: Header=BB6_130 Depth=2
	s_or_b32 exec_lo, exec_lo, s41
                                        ; implicit-def: $vgpr58
.LBB6_2769:                             ;   in Loop: Header=BB6_130 Depth=2
	s_and_not1_saveexec_b32 s10, s40
; %bb.2770:                             ;   in Loop: Header=BB6_130 Depth=2
	v_or_b32_e32 v47, 0x7b, v58
; %bb.2771:                             ;   in Loop: Header=BB6_130 Depth=2
	s_or_b32 exec_lo, exec_lo, s10
                                        ; implicit-def: $vgpr4
                                        ; implicit-def: $vgpr2_vgpr3
                                        ; implicit-def: $vgpr5
.LBB6_2772:                             ;   in Loop: Header=BB6_130 Depth=2
	s_and_not1_saveexec_b32 s10, s29
	s_cbranch_execz .LBB6_2778
; %bb.2773:                             ;   in Loop: Header=BB6_130 Depth=2
	s_mov_b32 s29, exec_lo
                                        ; implicit-def: $vgpr47
	v_cmpx_ne_u64_e32 0, v[2:3]
	s_xor_b32 s29, exec_lo, s29
; %bb.2774:                             ;   in Loop: Header=BB6_130 Depth=2
	v_or_b32_e32 v47, 0x7f, v5
                                        ; implicit-def: $vgpr4
; %bb.2775:                             ;   in Loop: Header=BB6_130 Depth=2
	s_and_not1_saveexec_b32 s29, s29
; %bb.2776:                             ;   in Loop: Header=BB6_130 Depth=2
	v_cmp_lt_i32_e32 vcc_lo, -1, v4
	v_mov_b32_e32 v2, 0x7c
	s_delay_alu instid0(VALU_DEP_1)
	v_cndmask_b32_e32 v47, 0xfc, v2, vcc_lo
; %bb.2777:                             ;   in Loop: Header=BB6_130 Depth=2
	s_or_b32 exec_lo, exec_lo, s29
.LBB6_2778:                             ;   in Loop: Header=BB6_130 Depth=2
	s_delay_alu instid0(SALU_CYCLE_1) | instskip(SKIP_3) | instid1(VALU_DEP_2)
	s_or_b32 exec_lo, exec_lo, s10
	v_dual_mov_b32 v3, 0 :: v_dual_lshrrev_b32 v2, 16, v0
	v_mov_b32_e32 v4, 0
	s_mov_b32 s29, exec_lo
	v_and_b32_e32 v5, 0xff, v2
	s_delay_alu instid0(VALU_DEP_1)
	v_cmpx_ne_u16_e32 0, v5
	s_cbranch_execz .LBB6_2788
; %bb.2779:                             ;   in Loop: Header=BB6_130 Depth=2
	v_bfrev_b32_e32 v4, 1
	s_mov_b32 s40, exec_lo
	v_cmpx_ne_u16_e32 0x80, v5
	s_cbranch_execz .LBB6_2787
; %bb.2780:                             ;   in Loop: Header=BB6_130 Depth=2
	v_and_b32_e32 v4, 0x7c0000, v0
	v_bfe_u32 v5, v0, 16, 2
	s_delay_alu instid0(VALU_DEP_2) | instskip(SKIP_1) | instid1(SALU_CYCLE_1)
	v_cmp_ne_u32_e32 vcc_lo, 0x7c0000, v4
                                        ; implicit-def: $vgpr4
	s_and_saveexec_b32 s10, vcc_lo
	s_xor_b32 s10, exec_lo, s10
	s_cbranch_execz .LBB6_2784
; %bb.2781:                             ;   in Loop: Header=BB6_130 Depth=2
	v_bfe_u32 v4, v0, 18, 5
	s_mov_b32 s41, exec_lo
	s_delay_alu instid0(VALU_DEP_1)
	v_cmpx_eq_u32_e32 0, v4
; %bb.2782:                             ;   in Loop: Header=BB6_130 Depth=2
	v_clz_i32_u32_e32 v4, v5
	s_delay_alu instid0(VALU_DEP_1) | instskip(NEXT) | instid1(VALU_DEP_1)
	v_min_u32_e32 v4, 32, v4
	v_subrev_nc_u32_e32 v5, 29, v4
	v_sub_nc_u32_e32 v4, 30, v4
	s_delay_alu instid0(VALU_DEP_2) | instskip(NEXT) | instid1(VALU_DEP_1)
	v_lshlrev_b64_e32 v[60:61], v5, v[2:3]
	v_and_b32_e32 v5, 3, v60
; %bb.2783:                             ;   in Loop: Header=BB6_130 Depth=2
	s_or_b32 exec_lo, exec_lo, s41
	v_lshlrev_b32_e32 v2, 24, v2
	s_delay_alu instid0(VALU_DEP_1) | instskip(NEXT) | instid1(VALU_DEP_1)
	v_and_b32_e32 v2, 0x80000000, v2
	v_lshl_add_u32 v2, v4, 23, v2
	s_delay_alu instid0(VALU_DEP_1) | instskip(NEXT) | instid1(VALU_DEP_1)
	v_lshl_or_b32 v2, v5, 21, v2
                                        ; implicit-def: $vgpr5
	v_add_nc_u32_e32 v4, 0x38000000, v2
                                        ; implicit-def: $vgpr2
.LBB6_2784:                             ;   in Loop: Header=BB6_130 Depth=2
	s_and_not1_saveexec_b32 s41, s10
; %bb.2785:                             ;   in Loop: Header=BB6_130 Depth=2
	v_bfe_i32 v2, v2, 0, 8
	v_cmp_eq_u32_e32 vcc_lo, 0, v5
	s_delay_alu instid0(VALU_DEP_2) | instskip(SKIP_1) | instid1(VALU_DEP_1)
	v_cmp_lt_i16_e64 s10, -1, v2
	v_mov_b32_e32 v2, 0x7f800000
	v_cndmask_b32_e64 v2, 0xff800000, v2, s10
	s_delay_alu instid0(VALU_DEP_1)
	v_cndmask_b32_e32 v4, 0x7f800001, v2, vcc_lo
; %bb.2786:                             ;   in Loop: Header=BB6_130 Depth=2
	s_or_b32 exec_lo, exec_lo, s41
.LBB6_2787:                             ;   in Loop: Header=BB6_130 Depth=2
	s_delay_alu instid0(SALU_CYCLE_1)
	s_or_b32 exec_lo, exec_lo, s40
.LBB6_2788:                             ;   in Loop: Header=BB6_130 Depth=2
	s_delay_alu instid0(SALU_CYCLE_1) | instskip(SKIP_2) | instid1(VALU_DEP_1)
	s_or_b32 exec_lo, exec_lo, s29
	v_lshrrev_b32_e32 v2, 16, v18
	s_mov_b32 s29, exec_lo
	v_and_b32_e32 v5, 0xff, v2
	s_delay_alu instid0(VALU_DEP_1)
	v_cmpx_ne_u16_e32 0, v5
	s_cbranch_execz .LBB6_2798
; %bb.2789:                             ;   in Loop: Header=BB6_130 Depth=2
	v_bfrev_b32_e32 v3, 1
	s_mov_b32 s40, exec_lo
	v_cmpx_ne_u16_e32 0x80, v5
	s_cbranch_execz .LBB6_2797
; %bb.2790:                             ;   in Loop: Header=BB6_130 Depth=2
	v_and_b32_e32 v3, 0x7c0000, v18
	v_bfe_u32 v5, v18, 16, 2
	s_delay_alu instid0(VALU_DEP_2) | instskip(SKIP_1) | instid1(SALU_CYCLE_1)
	v_cmp_ne_u32_e32 vcc_lo, 0x7c0000, v3
                                        ; implicit-def: $vgpr3
	s_and_saveexec_b32 s10, vcc_lo
	s_xor_b32 s10, exec_lo, s10
	s_cbranch_execz .LBB6_2794
; %bb.2791:                             ;   in Loop: Header=BB6_130 Depth=2
	v_bfe_u32 v3, v18, 18, 5
	s_mov_b32 s41, exec_lo
	s_delay_alu instid0(VALU_DEP_1)
	v_cmpx_eq_u32_e32 0, v3
; %bb.2792:                             ;   in Loop: Header=BB6_130 Depth=2
	v_clz_i32_u32_e32 v3, v5
	s_delay_alu instid0(VALU_DEP_1) | instskip(NEXT) | instid1(VALU_DEP_1)
	v_min_u32_e32 v3, 32, v3
	v_subrev_nc_u32_e32 v5, 29, v3
	s_delay_alu instid0(VALU_DEP_1) | instskip(NEXT) | instid1(VALU_DEP_1)
	v_lshlrev_b64_e32 v[60:61], v5, v[2:3]
	v_dual_sub_nc_u32 v3, 30, v3 :: v_dual_bitop2_b32 v5, 3, v60 bitop3:0x40
; %bb.2793:                             ;   in Loop: Header=BB6_130 Depth=2
	s_or_b32 exec_lo, exec_lo, s41
	v_lshlrev_b32_e32 v2, 24, v2
	s_delay_alu instid0(VALU_DEP_1) | instskip(NEXT) | instid1(VALU_DEP_1)
	v_and_b32_e32 v2, 0x80000000, v2
	v_lshl_add_u32 v2, v3, 23, v2
	s_delay_alu instid0(VALU_DEP_1) | instskip(NEXT) | instid1(VALU_DEP_1)
	v_lshl_or_b32 v2, v5, 21, v2
                                        ; implicit-def: $vgpr5
	v_add_nc_u32_e32 v3, 0x38000000, v2
                                        ; implicit-def: $vgpr2
.LBB6_2794:                             ;   in Loop: Header=BB6_130 Depth=2
	s_and_not1_saveexec_b32 s41, s10
; %bb.2795:                             ;   in Loop: Header=BB6_130 Depth=2
	v_bfe_i32 v2, v2, 0, 8
	v_cmp_eq_u32_e32 vcc_lo, 0, v5
	s_delay_alu instid0(VALU_DEP_2) | instskip(SKIP_1) | instid1(VALU_DEP_1)
	v_cmp_lt_i16_e64 s10, -1, v2
	v_mov_b32_e32 v2, 0x7f800000
	v_cndmask_b32_e64 v2, 0xff800000, v2, s10
	s_delay_alu instid0(VALU_DEP_1)
	v_cndmask_b32_e32 v3, 0x7f800001, v2, vcc_lo
; %bb.2796:                             ;   in Loop: Header=BB6_130 Depth=2
	s_or_b32 exec_lo, exec_lo, s41
.LBB6_2797:                             ;   in Loop: Header=BB6_130 Depth=2
	s_delay_alu instid0(SALU_CYCLE_1)
	s_or_b32 exec_lo, exec_lo, s40
.LBB6_2798:                             ;   in Loop: Header=BB6_130 Depth=2
	s_delay_alu instid0(SALU_CYCLE_1) | instskip(NEXT) | instid1(VALU_DEP_1)
	s_or_b32 exec_lo, exec_lo, s29
	v_dual_add_f32 v4, v4, v3 :: v_dual_mov_b32 v61, v1
	v_mov_b32_e32 v3, v1
                                        ; implicit-def: $vgpr58
	s_mov_b32 s10, exec_lo
	s_delay_alu instid0(VALU_DEP_2) | instskip(SKIP_2) | instid1(VALU_DEP_3)
	v_and_b32_e32 v60, 0x7f800000, v4
	v_and_b32_e32 v2, 0x7fffff, v4
	v_lshrrev_b32_e32 v5, 24, v4
	v_cmpx_ne_u64_e32 0x7f800000, v[60:61]
	s_xor_b32 s29, exec_lo, s10
	s_cbranch_execz .LBB6_2812
; %bb.2799:                             ;   in Loop: Header=BB6_130 Depth=2
	v_and_b32_e32 v60, 0x7fffffff, v4
	v_mov_b32_e32 v61, v1
                                        ; implicit-def: $vgpr58
	s_delay_alu instid0(VALU_DEP_1) | instskip(SKIP_2) | instid1(SALU_CYCLE_1)
	v_cmp_gt_u64_e32 vcc_lo, 0x47600001, v[60:61]
	v_and_b32_e32 v60, 0x80, v5
	s_and_saveexec_b32 s10, vcc_lo
	s_xor_b32 s40, exec_lo, s10
	s_cbranch_execz .LBB6_2809
; %bb.2800:                             ;   in Loop: Header=BB6_130 Depth=2
	v_mov_b32_e32 v58, 0
	s_mov_b32 s41, exec_lo
	v_cmpx_ne_u32_e32 0, v4
	s_cbranch_execz .LBB6_2808
; %bb.2801:                             ;   in Loop: Header=BB6_130 Depth=2
	v_bfe_u32 v58, v4, 23, 8
	v_or_b32_e32 v5, 0x800000, v2
	s_delay_alu instid0(VALU_DEP_2) | instskip(SKIP_2) | instid1(VALU_DEP_2)
	v_cmp_gt_u32_e64 s10, 0x72, v58
	v_sub_nc_u32_e32 v4, 0x71, v58
	v_cmp_eq_u32_e32 vcc_lo, 0, v58
	v_dual_cndmask_b32 v4, 0, v4, s10 :: v_dual_cndmask_b32 v2, v5, v2, vcc_lo
	s_delay_alu instid0(VALU_DEP_1) | instskip(NEXT) | instid1(VALU_DEP_1)
	v_cndmask_b32_e64 v61, v4, 0x70, vcc_lo
	v_dual_add_nc_u32 v4, 21, v61 :: v_dual_add_nc_u32 v62, 20, v61
	s_delay_alu instid0(VALU_DEP_1) | instskip(NEXT) | instid1(VALU_DEP_2)
	v_lshlrev_b64_e64 v[4:5], v4, -1
	v_lshlrev_b64_e64 v[62:63], v62, 1
	s_delay_alu instid0(VALU_DEP_2) | instskip(SKIP_1) | instid1(VALU_DEP_4)
	v_bfi_b32 v4, v4, 0, v2
	v_lshrrev_b64 v[2:3], v61, v[2:3]
	v_bfi_b32 v5, v5, 0, 0
	s_delay_alu instid0(VALU_DEP_1) | instskip(NEXT) | instid1(VALU_DEP_3)
	v_cmp_eq_u64_e64 s10, v[4:5], v[62:63]
	v_mov_b64_e32 v[4:5], v[2:3]
	s_and_saveexec_b32 s42, s10
; %bb.2802:                             ;   in Loop: Header=BB6_130 Depth=2
	v_bfe_u32 v4, v2, 21, 1
	v_mov_b32_e32 v5, v1
	s_delay_alu instid0(VALU_DEP_1) | instskip(NEXT) | instid1(VALU_DEP_1)
	v_add_nc_u64_e32 v[4:5], v[2:3], v[4:5]
	v_add_nc_u64_e32 v[4:5], -1, v[4:5]
; %bb.2803:                             ;   in Loop: Header=BB6_130 Depth=2
	s_or_b32 exec_lo, exec_lo, s42
	v_add_nc_u32_e32 v3, 0xffffff81, v58
	v_lshrrev_b32_e32 v5, 23, v2
	s_mov_b32 s10, exec_lo
	s_delay_alu instid0(VALU_DEP_2) | instskip(NEXT) | instid1(VALU_DEP_1)
	v_cndmask_b32_e64 v3, v3, 0xffffff82, vcc_lo
	v_add3_u32 v58, v61, v3, v5
	v_and_b32_e32 v3, 0x1fffff, v4
                                        ; implicit-def: $vgpr4
	s_delay_alu instid0(VALU_DEP_2) | instskip(NEXT) | instid1(VALU_DEP_2)
	v_add_nc_u32_e32 v5, 14, v58
	v_dual_mov_b32 v3, v1 :: v_dual_add_nc_u32 v2, v3, v2
	s_delay_alu instid0(VALU_DEP_2)
	v_cmpx_ne_u32_e32 0, v5
	s_xor_b32 s10, exec_lo, s10
; %bb.2804:                             ;   in Loop: Header=BB6_130 Depth=2
	s_delay_alu instid0(VALU_DEP_2) | instskip(SKIP_1) | instid1(VALU_DEP_1)
	v_cmp_lt_u64_e32 vcc_lo, 0xffffff, v[2:3]
	v_add_nc_u32_e32 v4, 15, v58
	v_cndmask_b32_e32 v4, v5, v4, vcc_lo
	v_cndmask_b32_e64 v5, 0, 1, vcc_lo
	s_delay_alu instid0(VALU_DEP_1)
	v_lshrrev_b64 v[2:3], v5, v[2:3]
; %bb.2805:                             ;   in Loop: Header=BB6_130 Depth=2
	s_and_not1_saveexec_b32 s10, s10
; %bb.2806:                             ;   in Loop: Header=BB6_130 Depth=2
	s_delay_alu instid0(VALU_DEP_1)
	v_bfe_u32 v4, v2, 23, 1
; %bb.2807:                             ;   in Loop: Header=BB6_130 Depth=2
	s_or_b32 exec_lo, exec_lo, s10
	s_delay_alu instid0(VALU_DEP_2) | instskip(NEXT) | instid1(VALU_DEP_2)
	v_lshrrev_b64 v[2:3], 21, v[2:3]
	v_cmp_gt_i32_e32 vcc_lo, 32, v4
	v_min_i32_e32 v5, 31, v4
	v_cmp_eq_u32_e64 s10, 0, v4
	s_delay_alu instid0(VALU_DEP_2) | instskip(SKIP_1) | instid1(VALU_DEP_2)
	v_dual_cndmask_b32 v3, 0, v3, vcc_lo :: v_dual_lshlrev_b32 v5, 2, v5
	v_cndmask_b32_e32 v2, 3, v2, vcc_lo
	v_and_b32_e32 v5, 0xfc, v5
	s_delay_alu instid0(VALU_DEP_2) | instskip(NEXT) | instid1(VALU_DEP_2)
	v_cmp_eq_u64_e32 vcc_lo, 0, v[2:3]
	v_and_or_b32 v2, v2, 3, v5
	s_and_b32 s10, s10, vcc_lo
	s_delay_alu instid0(VALU_DEP_1) | instid1(SALU_CYCLE_1)
	v_cndmask_b32_e64 v2, v2, 0, s10
	s_delay_alu instid0(VALU_DEP_1)
	v_or_b32_e32 v58, v2, v60
.LBB6_2808:                             ;   in Loop: Header=BB6_130 Depth=2
	s_or_b32 exec_lo, exec_lo, s41
                                        ; implicit-def: $vgpr60
.LBB6_2809:                             ;   in Loop: Header=BB6_130 Depth=2
	s_and_not1_saveexec_b32 s10, s40
; %bb.2810:                             ;   in Loop: Header=BB6_130 Depth=2
	v_or_b32_e32 v58, 0x7b, v60
; %bb.2811:                             ;   in Loop: Header=BB6_130 Depth=2
	s_or_b32 exec_lo, exec_lo, s10
                                        ; implicit-def: $vgpr4
                                        ; implicit-def: $vgpr2_vgpr3
                                        ; implicit-def: $vgpr5
.LBB6_2812:                             ;   in Loop: Header=BB6_130 Depth=2
	s_and_not1_saveexec_b32 s10, s29
	s_cbranch_execz .LBB6_2818
; %bb.2813:                             ;   in Loop: Header=BB6_130 Depth=2
	s_mov_b32 s29, exec_lo
                                        ; implicit-def: $vgpr58
	v_cmpx_ne_u64_e32 0, v[2:3]
	s_xor_b32 s29, exec_lo, s29
; %bb.2814:                             ;   in Loop: Header=BB6_130 Depth=2
	v_or_b32_e32 v58, 0x7f, v5
                                        ; implicit-def: $vgpr4
; %bb.2815:                             ;   in Loop: Header=BB6_130 Depth=2
	s_and_not1_saveexec_b32 s29, s29
; %bb.2816:                             ;   in Loop: Header=BB6_130 Depth=2
	v_cmp_lt_i32_e32 vcc_lo, -1, v4
	v_mov_b32_e32 v2, 0x7c
	s_delay_alu instid0(VALU_DEP_1)
	v_cndmask_b32_e32 v58, 0xfc, v2, vcc_lo
; %bb.2817:                             ;   in Loop: Header=BB6_130 Depth=2
	s_or_b32 exec_lo, exec_lo, s29
.LBB6_2818:                             ;   in Loop: Header=BB6_130 Depth=2
	s_delay_alu instid0(SALU_CYCLE_1)
	s_or_b32 exec_lo, exec_lo, s10
	v_dual_mov_b32 v3, 0 :: v_dual_mov_b32 v4, 0
	s_mov_b32 s29, exec_lo
	v_cmpx_lt_u32_e32 0xffffff, v0
	s_cbranch_execz .LBB6_2828
; %bb.2819:                             ;   in Loop: Header=BB6_130 Depth=2
	v_lshrrev_b32_e32 v2, 24, v0
	v_bfrev_b32_e32 v4, 1
	s_mov_b32 s40, exec_lo
	s_delay_alu instid0(VALU_DEP_2)
	v_cmpx_ne_u32_e32 0x80, v2
	s_cbranch_execz .LBB6_2827
; %bb.2820:                             ;   in Loop: Header=BB6_130 Depth=2
	v_and_b32_e32 v4, 0x7c000000, v0
	v_bfe_u32 v5, v0, 24, 2
	s_delay_alu instid0(VALU_DEP_2) | instskip(SKIP_1) | instid1(SALU_CYCLE_1)
	v_cmp_ne_u32_e32 vcc_lo, 0x7c000000, v4
                                        ; implicit-def: $vgpr4
	s_and_saveexec_b32 s10, vcc_lo
	s_xor_b32 s10, exec_lo, s10
	s_cbranch_execz .LBB6_2824
; %bb.2821:                             ;   in Loop: Header=BB6_130 Depth=2
	v_bfe_u32 v4, v0, 26, 5
	s_mov_b32 s41, exec_lo
	s_delay_alu instid0(VALU_DEP_1)
	v_cmpx_eq_u32_e32 0, v4
; %bb.2822:                             ;   in Loop: Header=BB6_130 Depth=2
	v_clz_i32_u32_e32 v4, v5
	s_delay_alu instid0(VALU_DEP_1) | instskip(NEXT) | instid1(VALU_DEP_1)
	v_min_u32_e32 v4, 32, v4
	v_subrev_nc_u32_e32 v5, 29, v4
	v_sub_nc_u32_e32 v4, 30, v4
	s_delay_alu instid0(VALU_DEP_2) | instskip(NEXT) | instid1(VALU_DEP_1)
	v_lshlrev_b64_e32 v[60:61], v5, v[2:3]
	v_and_b32_e32 v5, 3, v60
; %bb.2823:                             ;   in Loop: Header=BB6_130 Depth=2
	s_or_b32 exec_lo, exec_lo, s41
	v_and_b32_e32 v0, 0x80000000, v0
	s_delay_alu instid0(VALU_DEP_1) | instskip(NEXT) | instid1(VALU_DEP_1)
	v_lshl_add_u32 v0, v4, 23, v0
	v_lshl_or_b32 v0, v5, 21, v0
                                        ; implicit-def: $vgpr5
	s_delay_alu instid0(VALU_DEP_1)
	v_add_nc_u32_e32 v4, 0x38000000, v0
.LBB6_2824:                             ;   in Loop: Header=BB6_130 Depth=2
	s_and_not1_saveexec_b32 s41, s10
; %bb.2825:                             ;   in Loop: Header=BB6_130 Depth=2
	v_cmp_lt_i32_e64 s10, -1, v0
	v_mov_b32_e32 v0, 0x7f800000
	v_cmp_eq_u32_e32 vcc_lo, 0, v5
	s_delay_alu instid0(VALU_DEP_2) | instskip(NEXT) | instid1(VALU_DEP_1)
	v_cndmask_b32_e64 v0, 0xff800000, v0, s10
	v_cndmask_b32_e32 v4, 0x7f800001, v0, vcc_lo
; %bb.2826:                             ;   in Loop: Header=BB6_130 Depth=2
	s_or_b32 exec_lo, exec_lo, s41
.LBB6_2827:                             ;   in Loop: Header=BB6_130 Depth=2
	s_delay_alu instid0(SALU_CYCLE_1)
	s_or_b32 exec_lo, exec_lo, s40
.LBB6_2828:                             ;   in Loop: Header=BB6_130 Depth=2
	s_delay_alu instid0(SALU_CYCLE_1) | instskip(NEXT) | instid1(SALU_CYCLE_1)
	s_or_b32 exec_lo, exec_lo, s29
	s_mov_b32 s29, exec_lo
	v_cmpx_lt_u32_e32 0xffffff, v18
	s_cbranch_execz .LBB6_2838
; %bb.2829:                             ;   in Loop: Header=BB6_130 Depth=2
	v_lshrrev_b32_e32 v0, 24, v18
	v_bfrev_b32_e32 v3, 1
	s_mov_b32 s40, exec_lo
	s_delay_alu instid0(VALU_DEP_2)
	v_cmpx_ne_u32_e32 0x80, v0
	s_cbranch_execz .LBB6_2837
; %bb.2830:                             ;   in Loop: Header=BB6_130 Depth=2
	v_and_b32_e32 v3, 0x7c000000, v18
	v_bfe_u32 v2, v18, 24, 2
	s_delay_alu instid0(VALU_DEP_2) | instskip(SKIP_1) | instid1(SALU_CYCLE_1)
	v_cmp_ne_u32_e32 vcc_lo, 0x7c000000, v3
                                        ; implicit-def: $vgpr3
	s_and_saveexec_b32 s10, vcc_lo
	s_xor_b32 s10, exec_lo, s10
	s_cbranch_execz .LBB6_2834
; %bb.2831:                             ;   in Loop: Header=BB6_130 Depth=2
	v_bfe_u32 v3, v18, 26, 5
	s_mov_b32 s41, exec_lo
	s_delay_alu instid0(VALU_DEP_1)
	v_cmpx_eq_u32_e32 0, v3
; %bb.2832:                             ;   in Loop: Header=BB6_130 Depth=2
	v_clz_i32_u32_e32 v2, v2
	s_delay_alu instid0(VALU_DEP_1) | instskip(NEXT) | instid1(VALU_DEP_1)
	v_min_u32_e32 v5, 32, v2
	v_subrev_nc_u32_e32 v2, 29, v5
	s_delay_alu instid0(VALU_DEP_1) | instskip(NEXT) | instid1(VALU_DEP_1)
	v_lshlrev_b64_e32 v[2:3], v2, v[0:1]
	v_dual_sub_nc_u32 v3, 30, v5 :: v_dual_bitop2_b32 v2, 3, v2 bitop3:0x40
; %bb.2833:                             ;   in Loop: Header=BB6_130 Depth=2
	s_or_b32 exec_lo, exec_lo, s41
	v_and_b32_e32 v0, 0x80000000, v18
	s_delay_alu instid0(VALU_DEP_1) | instskip(NEXT) | instid1(VALU_DEP_1)
	v_lshl_add_u32 v0, v3, 23, v0
	v_lshl_or_b32 v0, v2, 21, v0
                                        ; implicit-def: $vgpr2
	s_delay_alu instid0(VALU_DEP_1)
	v_add_nc_u32_e32 v3, 0x38000000, v0
.LBB6_2834:                             ;   in Loop: Header=BB6_130 Depth=2
	s_and_not1_saveexec_b32 s41, s10
; %bb.2835:                             ;   in Loop: Header=BB6_130 Depth=2
	v_cmp_lt_i32_e64 s10, -1, v18
	v_mov_b32_e32 v0, 0x7f800000
	v_cmp_eq_u32_e32 vcc_lo, 0, v2
	s_delay_alu instid0(VALU_DEP_2) | instskip(NEXT) | instid1(VALU_DEP_1)
	v_cndmask_b32_e64 v0, 0xff800000, v0, s10
	v_cndmask_b32_e32 v3, 0x7f800001, v0, vcc_lo
; %bb.2836:                             ;   in Loop: Header=BB6_130 Depth=2
	s_or_b32 exec_lo, exec_lo, s41
.LBB6_2837:                             ;   in Loop: Header=BB6_130 Depth=2
	s_delay_alu instid0(SALU_CYCLE_1)
	s_or_b32 exec_lo, exec_lo, s40
.LBB6_2838:                             ;   in Loop: Header=BB6_130 Depth=2
	s_delay_alu instid0(SALU_CYCLE_1) | instskip(NEXT) | instid1(VALU_DEP_1)
	s_or_b32 exec_lo, exec_lo, s29
	v_dual_add_f32 v2, v4, v3 :: v_dual_mov_b32 v5, v1
                                        ; implicit-def: $vgpr60
	s_mov_b32 s10, exec_lo
	s_delay_alu instid0(VALU_DEP_1) | instskip(SKIP_2) | instid1(VALU_DEP_3)
	v_and_b32_e32 v4, 0x7f800000, v2
	v_and_b32_e32 v0, 0x7fffff, v2
	v_lshrrev_b32_e32 v3, 24, v2
	v_cmpx_ne_u64_e32 0x7f800000, v[4:5]
	s_xor_b32 s29, exec_lo, s10
	s_cbranch_execz .LBB6_2852
; %bb.2839:                             ;   in Loop: Header=BB6_130 Depth=2
	v_and_b32_e32 v4, 0x7fffffff, v2
	v_mov_b32_e32 v5, v1
	v_and_b32_e32 v61, 0x80, v3
                                        ; implicit-def: $vgpr60
	s_mov_b32 s10, exec_lo
	s_delay_alu instid0(VALU_DEP_2)
	v_cmpx_gt_u64_e32 0x47600001, v[4:5]
	s_xor_b32 s40, exec_lo, s10
	s_cbranch_execz .LBB6_2849
; %bb.2840:                             ;   in Loop: Header=BB6_130 Depth=2
	v_mov_b32_e32 v60, 0
	s_mov_b32 s41, exec_lo
	v_cmpx_ne_u32_e32 0, v2
	s_cbranch_execz .LBB6_2848
; %bb.2841:                             ;   in Loop: Header=BB6_130 Depth=2
	v_bfe_u32 v60, v2, 23, 8
	v_or_b32_e32 v3, 0x800000, v0
	s_delay_alu instid0(VALU_DEP_2) | instskip(SKIP_2) | instid1(VALU_DEP_2)
	v_cmp_gt_u32_e64 s10, 0x72, v60
	v_sub_nc_u32_e32 v2, 0x71, v60
	v_cmp_eq_u32_e32 vcc_lo, 0, v60
	v_cndmask_b32_e64 v2, 0, v2, s10
	s_delay_alu instid0(VALU_DEP_1) | instskip(SKIP_1) | instid1(VALU_DEP_2)
	v_cndmask_b32_e64 v62, v2, 0x70, vcc_lo
	v_dual_cndmask_b32 v2, v3, v0 :: v_dual_mov_b32 v3, v1
	v_add_nc_u32_e32 v0, 21, v62
	s_delay_alu instid0(VALU_DEP_1) | instskip(SKIP_1) | instid1(VALU_DEP_1)
	v_lshlrev_b64_e64 v[4:5], v0, -1
	v_add_nc_u32_e32 v0, 20, v62
	v_lshlrev_b64_e64 v[72:73], v0, 1
	s_delay_alu instid0(VALU_DEP_3) | instskip(SKIP_2) | instid1(VALU_DEP_1)
	v_bfi_b32 v4, v4, 0, v2
	v_lshrrev_b64 v[2:3], v62, v[2:3]
	v_bfi_b32 v5, v5, 0, 0
	v_cmp_eq_u64_e64 s10, v[4:5], v[72:73]
	s_delay_alu instid0(VALU_DEP_3)
	v_mov_b64_e32 v[4:5], v[2:3]
	s_and_saveexec_b32 s42, s10
; %bb.2842:                             ;   in Loop: Header=BB6_130 Depth=2
	v_bfe_u32 v4, v2, 21, 1
	v_mov_b32_e32 v5, v1
	s_delay_alu instid0(VALU_DEP_1) | instskip(NEXT) | instid1(VALU_DEP_1)
	v_add_nc_u64_e32 v[4:5], v[2:3], v[4:5]
	v_add_nc_u64_e32 v[4:5], -1, v[4:5]
; %bb.2843:                             ;   in Loop: Header=BB6_130 Depth=2
	s_or_b32 exec_lo, exec_lo, s42
	v_add_nc_u32_e32 v0, 0xffffff81, v60
	v_lshrrev_b32_e32 v3, 23, v2
	s_mov_b32 s10, exec_lo
	s_delay_alu instid0(VALU_DEP_2) | instskip(NEXT) | instid1(VALU_DEP_1)
	v_cndmask_b32_e64 v0, v0, 0xffffff82, vcc_lo
	v_add3_u32 v60, v62, v0, v3
	v_and_b32_e32 v0, 0x1fffff, v4
                                        ; implicit-def: $vgpr4
	s_delay_alu instid0(VALU_DEP_1) | instskip(NEXT) | instid1(VALU_DEP_1)
	v_dual_add_nc_u32 v5, 14, v60 :: v_dual_add_nc_u32 v0, v0, v2
                                        ; implicit-def: $vgpr2_vgpr3
	v_cmpx_ne_u32_e32 0, v5
	s_xor_b32 s10, exec_lo, s10
; %bb.2844:                             ;   in Loop: Header=BB6_130 Depth=2
	s_delay_alu instid0(VALU_DEP_2) | instskip(SKIP_1) | instid1(VALU_DEP_1)
	v_cmp_lt_u64_e32 vcc_lo, 0xffffff, v[0:1]
	v_add_nc_u32_e32 v2, 15, v60
	v_cndmask_b32_e32 v4, v5, v2, vcc_lo
	v_cndmask_b32_e64 v2, 0, 1, vcc_lo
	s_delay_alu instid0(VALU_DEP_1)
	v_lshrrev_b64 v[2:3], v2, v[0:1]
; %bb.2845:                             ;   in Loop: Header=BB6_130 Depth=2
	s_and_not1_saveexec_b32 s10, s10
; %bb.2846:                             ;   in Loop: Header=BB6_130 Depth=2
	v_mov_b64_e32 v[2:3], v[0:1]
	v_bfe_u32 v4, v0, 23, 1
; %bb.2847:                             ;   in Loop: Header=BB6_130 Depth=2
	s_or_b32 exec_lo, exec_lo, s10
	s_delay_alu instid0(VALU_DEP_2) | instskip(NEXT) | instid1(VALU_DEP_2)
	v_lshrrev_b64 v[2:3], 21, v[2:3]
	v_cmp_gt_i32_e32 vcc_lo, 32, v4
	v_min_i32_e32 v0, 31, v4
	v_cmp_eq_u32_e64 s10, 0, v4
	s_delay_alu instid0(VALU_DEP_2) | instskip(SKIP_1) | instid1(VALU_DEP_2)
	v_dual_cndmask_b32 v3, 0, v3 :: v_dual_lshlrev_b32 v0, 2, v0
	v_cndmask_b32_e32 v2, 3, v2, vcc_lo
	v_and_b32_e32 v0, 0xfc, v0
	s_delay_alu instid0(VALU_DEP_2) | instskip(NEXT) | instid1(VALU_DEP_2)
	v_cmp_eq_u64_e32 vcc_lo, 0, v[2:3]
	v_and_or_b32 v0, v2, 3, v0
	s_and_b32 s10, s10, vcc_lo
	s_delay_alu instid0(VALU_DEP_1) | instid1(SALU_CYCLE_1)
	v_cndmask_b32_e64 v0, v0, 0, s10
	s_delay_alu instid0(VALU_DEP_1)
	v_or_b32_e32 v60, v0, v61
.LBB6_2848:                             ;   in Loop: Header=BB6_130 Depth=2
	s_or_b32 exec_lo, exec_lo, s41
                                        ; implicit-def: $vgpr61
.LBB6_2849:                             ;   in Loop: Header=BB6_130 Depth=2
	s_and_not1_saveexec_b32 s10, s40
; %bb.2850:                             ;   in Loop: Header=BB6_130 Depth=2
	v_or_b32_e32 v60, 0x7b, v61
; %bb.2851:                             ;   in Loop: Header=BB6_130 Depth=2
	s_or_b32 exec_lo, exec_lo, s10
                                        ; implicit-def: $vgpr2
                                        ; implicit-def: $vgpr3
.LBB6_2852:                             ;   in Loop: Header=BB6_130 Depth=2
	s_and_not1_saveexec_b32 s10, s29
	s_cbranch_execz .LBB6_2858
; %bb.2853:                             ;   in Loop: Header=BB6_130 Depth=2
	s_mov_b32 s29, exec_lo
                                        ; implicit-def: $vgpr60
	v_cmpx_ne_u64_e32 0, v[0:1]
	s_xor_b32 s29, exec_lo, s29
; %bb.2854:                             ;   in Loop: Header=BB6_130 Depth=2
	v_or_b32_e32 v60, 0x7f, v3
                                        ; implicit-def: $vgpr2
; %bb.2855:                             ;   in Loop: Header=BB6_130 Depth=2
	s_and_not1_saveexec_b32 s29, s29
; %bb.2856:                             ;   in Loop: Header=BB6_130 Depth=2
	v_cmp_lt_i32_e32 vcc_lo, -1, v2
	v_mov_b32_e32 v0, 0x7c
	s_delay_alu instid0(VALU_DEP_1)
	v_cndmask_b32_e32 v60, 0xfc, v0, vcc_lo
; %bb.2857:                             ;   in Loop: Header=BB6_130 Depth=2
	s_or_b32 exec_lo, exec_lo, s29
.LBB6_2858:                             ;   in Loop: Header=BB6_130 Depth=2
	s_delay_alu instid0(SALU_CYCLE_1) | instskip(SKIP_4) | instid1(VALU_DEP_2)
	s_or_b32 exec_lo, exec_lo, s10
	v_lshl_or_b32 v44, v44, 8, v42
	v_dual_lshlrev_b32 v0, 16, v56 :: v_dual_lshlrev_b32 v2, 24, v59
	s_mov_b32 s29, exec_lo
	v_mov_b32_e32 v3, 0
	v_or3_b32 v0, v0, v2, v44
	v_mov_b32_e32 v2, 0
	v_cmpx_ne_u32_e32 0, v42
	s_cbranch_execz .LBB6_2868
; %bb.2859:                             ;   in Loop: Header=BB6_130 Depth=2
	v_bfrev_b32_e32 v3, 1
	s_mov_b32 s40, exec_lo
	v_cmpx_ne_u32_e32 0x80, v42
	s_cbranch_execz .LBB6_2867
; %bb.2860:                             ;   in Loop: Header=BB6_130 Depth=2
	v_and_b32_e32 v3, 0x7c, v42
	v_and_b32_e32 v4, 3, v42
	s_delay_alu instid0(VALU_DEP_2) | instskip(SKIP_1) | instid1(SALU_CYCLE_1)
	v_cmp_ne_u32_e32 vcc_lo, 0x7c, v3
                                        ; implicit-def: $vgpr3
	s_and_saveexec_b32 s10, vcc_lo
	s_xor_b32 s10, exec_lo, s10
	s_cbranch_execz .LBB6_2864
; %bb.2861:                             ;   in Loop: Header=BB6_130 Depth=2
	v_bfe_u32 v3, v42, 2, 5
	s_mov_b32 s41, exec_lo
	s_delay_alu instid0(VALU_DEP_1)
	v_cmpx_eq_u32_e32 0, v3
; %bb.2862:                             ;   in Loop: Header=BB6_130 Depth=2
	v_clz_i32_u32_e32 v3, v4
	s_delay_alu instid0(VALU_DEP_1) | instskip(NEXT) | instid1(VALU_DEP_1)
	v_min_u32_e32 v3, 32, v3
	v_subrev_nc_u32_e32 v4, 29, v3
	s_delay_alu instid0(VALU_DEP_1) | instskip(NEXT) | instid1(VALU_DEP_1)
	v_lshlrev_b64_e32 v[4:5], v4, v[0:1]
	v_dual_sub_nc_u32 v3, 30, v3 :: v_dual_bitop2_b32 v4, 3, v4 bitop3:0x40
; %bb.2863:                             ;   in Loop: Header=BB6_130 Depth=2
	s_or_b32 exec_lo, exec_lo, s41
	v_lshlrev_b32_e32 v5, 24, v42
                                        ; implicit-def: $vgpr42
	s_delay_alu instid0(VALU_DEP_1) | instskip(NEXT) | instid1(VALU_DEP_1)
	v_and_b32_e32 v5, 0x80000000, v5
	v_lshl_add_u32 v3, v3, 23, v5
	s_delay_alu instid0(VALU_DEP_1) | instskip(NEXT) | instid1(VALU_DEP_1)
	v_lshl_or_b32 v3, v4, 21, v3
                                        ; implicit-def: $vgpr4
	v_add_nc_u32_e32 v3, 0x38000000, v3
.LBB6_2864:                             ;   in Loop: Header=BB6_130 Depth=2
	s_and_not1_saveexec_b32 s41, s10
; %bb.2865:                             ;   in Loop: Header=BB6_130 Depth=2
	v_and_b32_e32 v3, 0x80, v42
	v_cmp_eq_u32_e32 vcc_lo, 0, v4
	s_delay_alu instid0(VALU_DEP_2) | instskip(SKIP_1) | instid1(VALU_DEP_1)
	v_cmp_eq_u32_e64 s10, 0, v3
	v_mov_b32_e32 v3, 0x7f800000
	v_cndmask_b32_e64 v3, 0xff800000, v3, s10
	s_delay_alu instid0(VALU_DEP_1)
	v_cndmask_b32_e32 v3, 0x7f800001, v3, vcc_lo
; %bb.2866:                             ;   in Loop: Header=BB6_130 Depth=2
	s_or_b32 exec_lo, exec_lo, s41
.LBB6_2867:                             ;   in Loop: Header=BB6_130 Depth=2
	s_delay_alu instid0(SALU_CYCLE_1)
	s_or_b32 exec_lo, exec_lo, s40
.LBB6_2868:                             ;   in Loop: Header=BB6_130 Depth=2
	s_delay_alu instid0(SALU_CYCLE_1) | instskip(SKIP_2) | instid1(VALU_DEP_1)
	s_or_b32 exec_lo, exec_lo, s29
	v_and_b32_e32 v4, 0xff, v19
	s_mov_b32 s29, exec_lo
	v_cmpx_ne_u16_e32 0, v4
	s_cbranch_execz .LBB6_2878
; %bb.2869:                             ;   in Loop: Header=BB6_130 Depth=2
	v_bfrev_b32_e32 v2, 1
	s_mov_b32 s40, exec_lo
	v_cmpx_ne_u16_e32 0x80, v4
	s_cbranch_execz .LBB6_2877
; %bb.2870:                             ;   in Loop: Header=BB6_130 Depth=2
	v_and_b32_e32 v2, 0x7c, v19
	v_and_b32_e32 v4, 3, v19
	s_delay_alu instid0(VALU_DEP_2) | instskip(SKIP_1) | instid1(SALU_CYCLE_1)
	v_cmp_ne_u32_e32 vcc_lo, 0x7c, v2
                                        ; implicit-def: $vgpr2
	s_and_saveexec_b32 s10, vcc_lo
	s_xor_b32 s10, exec_lo, s10
	s_cbranch_execz .LBB6_2874
; %bb.2871:                             ;   in Loop: Header=BB6_130 Depth=2
	v_bfe_u32 v2, v19, 2, 5
	s_mov_b32 s41, exec_lo
	s_delay_alu instid0(VALU_DEP_1)
	v_cmpx_eq_u32_e32 0, v2
; %bb.2872:                             ;   in Loop: Header=BB6_130 Depth=2
	v_clz_i32_u32_e32 v2, v4
	v_dual_mov_b32 v4, v19 :: v_dual_mov_b32 v5, v1
	s_delay_alu instid0(VALU_DEP_2) | instskip(NEXT) | instid1(VALU_DEP_1)
	v_min_u32_e32 v2, 32, v2
	v_subrev_nc_u32_e32 v42, 29, v2
	s_delay_alu instid0(VALU_DEP_1) | instskip(NEXT) | instid1(VALU_DEP_1)
	v_lshlrev_b64_e32 v[4:5], v42, v[4:5]
	v_dual_sub_nc_u32 v2, 30, v2 :: v_dual_bitop2_b32 v4, 3, v4 bitop3:0x40
; %bb.2873:                             ;   in Loop: Header=BB6_130 Depth=2
	s_or_b32 exec_lo, exec_lo, s41
	v_lshlrev_b32_e32 v5, 24, v19
	s_delay_alu instid0(VALU_DEP_1) | instskip(NEXT) | instid1(VALU_DEP_1)
	v_and_b32_e32 v5, 0x80000000, v5
	v_lshl_add_u32 v2, v2, 23, v5
	s_delay_alu instid0(VALU_DEP_1) | instskip(NEXT) | instid1(VALU_DEP_1)
	v_lshl_or_b32 v2, v4, 21, v2
                                        ; implicit-def: $vgpr4
	v_add_nc_u32_e32 v2, 0x38000000, v2
.LBB6_2874:                             ;   in Loop: Header=BB6_130 Depth=2
	s_and_not1_saveexec_b32 s41, s10
; %bb.2875:                             ;   in Loop: Header=BB6_130 Depth=2
	v_bfe_i32 v2, v19, 0, 8
	v_cmp_eq_u32_e32 vcc_lo, 0, v4
	s_delay_alu instid0(VALU_DEP_2) | instskip(SKIP_1) | instid1(VALU_DEP_1)
	v_cmp_lt_i16_e64 s10, -1, v2
	v_mov_b32_e32 v2, 0x7f800000
	v_cndmask_b32_e64 v2, 0xff800000, v2, s10
	s_delay_alu instid0(VALU_DEP_1)
	v_cndmask_b32_e32 v2, 0x7f800001, v2, vcc_lo
; %bb.2876:                             ;   in Loop: Header=BB6_130 Depth=2
	s_or_b32 exec_lo, exec_lo, s41
.LBB6_2877:                             ;   in Loop: Header=BB6_130 Depth=2
	s_delay_alu instid0(SALU_CYCLE_1)
	s_or_b32 exec_lo, exec_lo, s40
.LBB6_2878:                             ;   in Loop: Header=BB6_130 Depth=2
	s_delay_alu instid0(SALU_CYCLE_1) | instskip(NEXT) | instid1(VALU_DEP_1)
	s_or_b32 exec_lo, exec_lo, s29
	v_dual_add_f32 v4, v3, v2 :: v_dual_mov_b32 v63, v1
	v_mov_b32_e32 v3, v1
                                        ; implicit-def: $vgpr42
	s_mov_b32 s10, exec_lo
	s_delay_alu instid0(VALU_DEP_2) | instskip(SKIP_2) | instid1(VALU_DEP_3)
	v_and_b32_e32 v62, 0x7f800000, v4
	v_and_b32_e32 v2, 0x7fffff, v4
	v_lshrrev_b32_e32 v5, 24, v4
	v_cmpx_ne_u64_e32 0x7f800000, v[62:63]
	s_xor_b32 s29, exec_lo, s10
	s_cbranch_execz .LBB6_2892
; %bb.2879:                             ;   in Loop: Header=BB6_130 Depth=2
	v_and_b32_e32 v62, 0x7fffffff, v4
	v_mov_b32_e32 v63, v1
	v_and_b32_e32 v56, 0x80, v5
                                        ; implicit-def: $vgpr42
	s_mov_b32 s10, exec_lo
	s_delay_alu instid0(VALU_DEP_2)
	v_cmpx_gt_u64_e32 0x47600001, v[62:63]
	s_xor_b32 s40, exec_lo, s10
	s_cbranch_execz .LBB6_2889
; %bb.2880:                             ;   in Loop: Header=BB6_130 Depth=2
	v_mov_b32_e32 v42, 0
	s_mov_b32 s41, exec_lo
	v_cmpx_ne_u32_e32 0, v4
	s_cbranch_execz .LBB6_2888
; %bb.2881:                             ;   in Loop: Header=BB6_130 Depth=2
	v_bfe_u32 v42, v4, 23, 8
	v_or_b32_e32 v5, 0x800000, v2
	s_delay_alu instid0(VALU_DEP_2) | instskip(SKIP_2) | instid1(VALU_DEP_2)
	v_cmp_gt_u32_e64 s10, 0x72, v42
	v_sub_nc_u32_e32 v4, 0x71, v42
	v_cmp_eq_u32_e32 vcc_lo, 0, v42
	v_dual_cndmask_b32 v4, 0, v4, s10 :: v_dual_cndmask_b32 v2, v5, v2, vcc_lo
	s_delay_alu instid0(VALU_DEP_1) | instskip(NEXT) | instid1(VALU_DEP_1)
	v_cndmask_b32_e64 v59, v4, 0x70, vcc_lo
	v_dual_add_nc_u32 v4, 21, v59 :: v_dual_add_nc_u32 v61, 20, v59
	s_delay_alu instid0(VALU_DEP_1) | instskip(NEXT) | instid1(VALU_DEP_2)
	v_lshlrev_b64_e64 v[4:5], v4, -1
	v_lshlrev_b64_e64 v[62:63], v61, 1
	s_delay_alu instid0(VALU_DEP_2) | instskip(SKIP_1) | instid1(VALU_DEP_4)
	v_bfi_b32 v4, v4, 0, v2
	v_lshrrev_b64 v[2:3], v59, v[2:3]
	v_bfi_b32 v5, v5, 0, 0
	s_delay_alu instid0(VALU_DEP_1) | instskip(NEXT) | instid1(VALU_DEP_3)
	v_cmp_eq_u64_e64 s10, v[4:5], v[62:63]
	v_mov_b64_e32 v[4:5], v[2:3]
	s_and_saveexec_b32 s42, s10
; %bb.2882:                             ;   in Loop: Header=BB6_130 Depth=2
	v_bfe_u32 v4, v2, 21, 1
	v_mov_b32_e32 v5, v1
	s_delay_alu instid0(VALU_DEP_1) | instskip(NEXT) | instid1(VALU_DEP_1)
	v_add_nc_u64_e32 v[4:5], v[2:3], v[4:5]
	v_add_nc_u64_e32 v[4:5], -1, v[4:5]
; %bb.2883:                             ;   in Loop: Header=BB6_130 Depth=2
	s_or_b32 exec_lo, exec_lo, s42
	v_add_nc_u32_e32 v3, 0xffffff81, v42
	v_lshrrev_b32_e32 v5, 23, v2
	s_mov_b32 s10, exec_lo
	s_delay_alu instid0(VALU_DEP_2) | instskip(NEXT) | instid1(VALU_DEP_1)
	v_cndmask_b32_e64 v3, v3, 0xffffff82, vcc_lo
	v_add3_u32 v42, v59, v3, v5
	v_and_b32_e32 v3, 0x1fffff, v4
                                        ; implicit-def: $vgpr4
	s_delay_alu instid0(VALU_DEP_2) | instskip(NEXT) | instid1(VALU_DEP_2)
	v_add_nc_u32_e32 v5, 14, v42
	v_dual_mov_b32 v3, v1 :: v_dual_add_nc_u32 v2, v3, v2
	s_delay_alu instid0(VALU_DEP_2)
	v_cmpx_ne_u32_e32 0, v5
	s_xor_b32 s10, exec_lo, s10
; %bb.2884:                             ;   in Loop: Header=BB6_130 Depth=2
	s_delay_alu instid0(VALU_DEP_2) | instskip(SKIP_1) | instid1(VALU_DEP_1)
	v_cmp_lt_u64_e32 vcc_lo, 0xffffff, v[2:3]
	v_add_nc_u32_e32 v4, 15, v42
	v_cndmask_b32_e32 v4, v5, v4, vcc_lo
	v_cndmask_b32_e64 v5, 0, 1, vcc_lo
	s_delay_alu instid0(VALU_DEP_1)
	v_lshrrev_b64 v[2:3], v5, v[2:3]
; %bb.2885:                             ;   in Loop: Header=BB6_130 Depth=2
	s_and_not1_saveexec_b32 s10, s10
; %bb.2886:                             ;   in Loop: Header=BB6_130 Depth=2
	s_delay_alu instid0(VALU_DEP_1)
	v_bfe_u32 v4, v2, 23, 1
; %bb.2887:                             ;   in Loop: Header=BB6_130 Depth=2
	s_or_b32 exec_lo, exec_lo, s10
	s_delay_alu instid0(VALU_DEP_2) | instskip(NEXT) | instid1(VALU_DEP_2)
	v_lshrrev_b64 v[2:3], 21, v[2:3]
	v_cmp_gt_i32_e32 vcc_lo, 32, v4
	v_min_i32_e32 v5, 31, v4
	v_cmp_eq_u32_e64 s10, 0, v4
	s_delay_alu instid0(VALU_DEP_2) | instskip(SKIP_1) | instid1(VALU_DEP_2)
	v_dual_cndmask_b32 v3, 0, v3, vcc_lo :: v_dual_lshlrev_b32 v5, 2, v5
	v_cndmask_b32_e32 v2, 3, v2, vcc_lo
	v_and_b32_e32 v5, 0xfc, v5
	s_delay_alu instid0(VALU_DEP_2) | instskip(NEXT) | instid1(VALU_DEP_2)
	v_cmp_eq_u64_e32 vcc_lo, 0, v[2:3]
	v_and_or_b32 v2, v2, 3, v5
	s_and_b32 s10, s10, vcc_lo
	s_delay_alu instid0(VALU_DEP_1) | instid1(SALU_CYCLE_1)
	v_cndmask_b32_e64 v2, v2, 0, s10
	s_delay_alu instid0(VALU_DEP_1)
	v_or_b32_e32 v42, v2, v56
.LBB6_2888:                             ;   in Loop: Header=BB6_130 Depth=2
	s_or_b32 exec_lo, exec_lo, s41
                                        ; implicit-def: $vgpr56
.LBB6_2889:                             ;   in Loop: Header=BB6_130 Depth=2
	s_and_not1_saveexec_b32 s10, s40
; %bb.2890:                             ;   in Loop: Header=BB6_130 Depth=2
	v_or_b32_e32 v42, 0x7b, v56
; %bb.2891:                             ;   in Loop: Header=BB6_130 Depth=2
	s_or_b32 exec_lo, exec_lo, s10
                                        ; implicit-def: $vgpr4
                                        ; implicit-def: $vgpr2_vgpr3
                                        ; implicit-def: $vgpr5
.LBB6_2892:                             ;   in Loop: Header=BB6_130 Depth=2
	s_and_not1_saveexec_b32 s10, s29
	s_cbranch_execz .LBB6_2898
; %bb.2893:                             ;   in Loop: Header=BB6_130 Depth=2
	s_mov_b32 s29, exec_lo
                                        ; implicit-def: $vgpr42
	v_cmpx_ne_u64_e32 0, v[2:3]
	s_xor_b32 s29, exec_lo, s29
; %bb.2894:                             ;   in Loop: Header=BB6_130 Depth=2
	v_or_b32_e32 v42, 0x7f, v5
                                        ; implicit-def: $vgpr4
; %bb.2895:                             ;   in Loop: Header=BB6_130 Depth=2
	s_and_not1_saveexec_b32 s29, s29
; %bb.2896:                             ;   in Loop: Header=BB6_130 Depth=2
	v_cmp_lt_i32_e32 vcc_lo, -1, v4
	v_mov_b32_e32 v2, 0x7c
	s_delay_alu instid0(VALU_DEP_1)
	v_cndmask_b32_e32 v42, 0xfc, v2, vcc_lo
; %bb.2897:                             ;   in Loop: Header=BB6_130 Depth=2
	s_or_b32 exec_lo, exec_lo, s29
.LBB6_2898:                             ;   in Loop: Header=BB6_130 Depth=2
	s_delay_alu instid0(SALU_CYCLE_1) | instskip(SKIP_3) | instid1(VALU_DEP_2)
	s_or_b32 exec_lo, exec_lo, s10
	v_lshrrev_b16 v2, 8, v44
	v_dual_mov_b32 v4, 0 :: v_dual_mov_b32 v5, 0
	s_mov_b32 s29, exec_lo
	v_cmpx_ne_u16_e32 0, v2
	s_cbranch_execz .LBB6_2908
; %bb.2899:                             ;   in Loop: Header=BB6_130 Depth=2
	v_bfrev_b32_e32 v5, 1
	s_mov_b32 s40, exec_lo
	v_cmpx_ne_u16_e32 0x80, v2
	s_cbranch_execz .LBB6_2907
; %bb.2900:                             ;   in Loop: Header=BB6_130 Depth=2
	v_and_b32_e32 v56, 0xffff, v2
	s_delay_alu instid0(VALU_DEP_1) | instskip(SKIP_1) | instid1(VALU_DEP_2)
	v_and_b32_e32 v5, 0x7c, v56
	v_and_b32_e32 v3, 3, v56
	v_cmp_ne_u32_e32 vcc_lo, 0x7c, v5
                                        ; implicit-def: $vgpr5
	s_and_saveexec_b32 s10, vcc_lo
	s_delay_alu instid0(SALU_CYCLE_1)
	s_xor_b32 s10, exec_lo, s10
	s_cbranch_execz .LBB6_2904
; %bb.2901:                             ;   in Loop: Header=BB6_130 Depth=2
	v_bfe_u32 v5, v56, 2, 5
	s_mov_b32 s41, exec_lo
	s_delay_alu instid0(VALU_DEP_1)
	v_cmpx_eq_u32_e32 0, v5
	s_cbranch_execz .LBB6_2903
; %bb.2902:                             ;   in Loop: Header=BB6_130 Depth=2
	v_clz_i32_u32_e32 v3, v3
	s_delay_alu instid0(VALU_DEP_1) | instskip(SKIP_1) | instid1(VALU_DEP_2)
	v_min_u32_e32 v5, 32, v3
	v_mov_b32_e32 v3, v1
	v_subrev_nc_u32_e32 v56, 29, v5
	v_sub_nc_u32_e32 v5, 30, v5
	s_delay_alu instid0(VALU_DEP_2) | instskip(NEXT) | instid1(VALU_DEP_1)
	v_lshlrev_b64_e32 v[2:3], v56, v[2:3]
	v_and_b32_e32 v3, 3, v2
.LBB6_2903:                             ;   in Loop: Header=BB6_130 Depth=2
	s_or_b32 exec_lo, exec_lo, s41
	v_lshlrev_b32_e32 v2, 16, v44
                                        ; implicit-def: $vgpr44
	s_delay_alu instid0(VALU_DEP_1) | instskip(NEXT) | instid1(VALU_DEP_1)
	v_and_b32_e32 v2, 0x80000000, v2
	v_lshl_add_u32 v2, v5, 23, v2
	s_delay_alu instid0(VALU_DEP_1) | instskip(NEXT) | instid1(VALU_DEP_1)
	v_lshl_or_b32 v2, v3, 21, v2
                                        ; implicit-def: $vgpr3
	v_add_nc_u32_e32 v5, 0x38000000, v2
.LBB6_2904:                             ;   in Loop: Header=BB6_130 Depth=2
	s_and_not1_saveexec_b32 s41, s10
; %bb.2905:                             ;   in Loop: Header=BB6_130 Depth=2
	v_cmp_lt_i16_e64 s10, -1, v44
	v_mov_b32_e32 v2, 0x7f800000
	v_cmp_eq_u32_e32 vcc_lo, 0, v3
	s_delay_alu instid0(VALU_DEP_2) | instskip(NEXT) | instid1(VALU_DEP_1)
	v_cndmask_b32_e64 v2, 0xff800000, v2, s10
	v_cndmask_b32_e32 v5, 0x7f800001, v2, vcc_lo
; %bb.2906:                             ;   in Loop: Header=BB6_130 Depth=2
	s_or_b32 exec_lo, exec_lo, s41
.LBB6_2907:                             ;   in Loop: Header=BB6_130 Depth=2
	s_delay_alu instid0(SALU_CYCLE_1)
	s_or_b32 exec_lo, exec_lo, s40
.LBB6_2908:                             ;   in Loop: Header=BB6_130 Depth=2
	s_delay_alu instid0(SALU_CYCLE_1) | instskip(SKIP_2) | instid1(VALU_DEP_1)
	s_or_b32 exec_lo, exec_lo, s29
	v_lshrrev_b16 v2, 8, v19
	s_mov_b32 s29, exec_lo
	v_cmpx_ne_u16_e32 0, v2
	s_cbranch_execz .LBB6_2918
; %bb.2909:                             ;   in Loop: Header=BB6_130 Depth=2
	v_bfrev_b32_e32 v4, 1
	s_mov_b32 s40, exec_lo
	v_cmpx_ne_u16_e32 0x80, v2
	s_cbranch_execz .LBB6_2917
; %bb.2910:                             ;   in Loop: Header=BB6_130 Depth=2
	v_and_b32_e32 v44, 0xffff, v2
	s_delay_alu instid0(VALU_DEP_1) | instskip(SKIP_1) | instid1(VALU_DEP_2)
	v_and_b32_e32 v4, 0x7c, v44
	v_and_b32_e32 v3, 3, v44
	v_cmp_ne_u32_e32 vcc_lo, 0x7c, v4
                                        ; implicit-def: $vgpr4
	s_and_saveexec_b32 s10, vcc_lo
	s_delay_alu instid0(SALU_CYCLE_1)
	s_xor_b32 s10, exec_lo, s10
	s_cbranch_execz .LBB6_2914
; %bb.2911:                             ;   in Loop: Header=BB6_130 Depth=2
	v_bfe_u32 v4, v44, 2, 5
	s_mov_b32 s41, exec_lo
	s_delay_alu instid0(VALU_DEP_1)
	v_cmpx_eq_u32_e32 0, v4
	s_cbranch_execz .LBB6_2913
; %bb.2912:                             ;   in Loop: Header=BB6_130 Depth=2
	v_clz_i32_u32_e32 v3, v3
	s_delay_alu instid0(VALU_DEP_1) | instskip(SKIP_1) | instid1(VALU_DEP_2)
	v_min_u32_e32 v4, 32, v3
	v_mov_b32_e32 v3, v1
	v_subrev_nc_u32_e32 v44, 29, v4
	v_sub_nc_u32_e32 v4, 30, v4
	s_delay_alu instid0(VALU_DEP_2) | instskip(NEXT) | instid1(VALU_DEP_1)
	v_lshlrev_b64_e32 v[2:3], v44, v[2:3]
	v_and_b32_e32 v3, 3, v2
.LBB6_2913:                             ;   in Loop: Header=BB6_130 Depth=2
	s_or_b32 exec_lo, exec_lo, s41
	v_lshlrev_b32_e32 v2, 16, v19
	s_delay_alu instid0(VALU_DEP_1) | instskip(NEXT) | instid1(VALU_DEP_1)
	v_and_b32_e32 v2, 0x80000000, v2
	v_lshl_add_u32 v2, v4, 23, v2
	s_delay_alu instid0(VALU_DEP_1) | instskip(NEXT) | instid1(VALU_DEP_1)
	v_lshl_or_b32 v2, v3, 21, v2
                                        ; implicit-def: $vgpr3
	v_add_nc_u32_e32 v4, 0x38000000, v2
.LBB6_2914:                             ;   in Loop: Header=BB6_130 Depth=2
	s_and_not1_saveexec_b32 s41, s10
; %bb.2915:                             ;   in Loop: Header=BB6_130 Depth=2
	v_cmp_lt_i16_e64 s10, -1, v19
	v_mov_b32_e32 v2, 0x7f800000
	v_cmp_eq_u32_e32 vcc_lo, 0, v3
	s_delay_alu instid0(VALU_DEP_2) | instskip(NEXT) | instid1(VALU_DEP_1)
	v_cndmask_b32_e64 v2, 0xff800000, v2, s10
	v_cndmask_b32_e32 v4, 0x7f800001, v2, vcc_lo
; %bb.2916:                             ;   in Loop: Header=BB6_130 Depth=2
	s_or_b32 exec_lo, exec_lo, s41
.LBB6_2917:                             ;   in Loop: Header=BB6_130 Depth=2
	s_delay_alu instid0(SALU_CYCLE_1)
	s_or_b32 exec_lo, exec_lo, s40
.LBB6_2918:                             ;   in Loop: Header=BB6_130 Depth=2
	s_delay_alu instid0(SALU_CYCLE_1) | instskip(NEXT) | instid1(VALU_DEP_1)
	s_or_b32 exec_lo, exec_lo, s29
	v_add_f32_e32 v4, v5, v4
	v_dual_mov_b32 v63, v1 :: v_dual_mov_b32 v3, v1
                                        ; implicit-def: $vgpr44
	s_mov_b32 s10, exec_lo
	s_delay_alu instid0(VALU_DEP_2) | instskip(SKIP_2) | instid1(VALU_DEP_3)
	v_and_b32_e32 v62, 0x7f800000, v4
	v_and_b32_e32 v2, 0x7fffff, v4
	v_lshrrev_b32_e32 v5, 24, v4
	v_cmpx_ne_u64_e32 0x7f800000, v[62:63]
	s_xor_b32 s29, exec_lo, s10
	s_cbranch_execz .LBB6_2932
; %bb.2919:                             ;   in Loop: Header=BB6_130 Depth=2
	v_and_b32_e32 v62, 0x7fffffff, v4
	v_mov_b32_e32 v63, v1
	v_and_b32_e32 v56, 0x80, v5
                                        ; implicit-def: $vgpr44
	s_mov_b32 s10, exec_lo
	s_delay_alu instid0(VALU_DEP_2)
	v_cmpx_gt_u64_e32 0x47600001, v[62:63]
	s_xor_b32 s40, exec_lo, s10
	s_cbranch_execz .LBB6_2929
; %bb.2920:                             ;   in Loop: Header=BB6_130 Depth=2
	v_mov_b32_e32 v44, 0
	s_mov_b32 s41, exec_lo
	v_cmpx_ne_u32_e32 0, v4
	s_cbranch_execz .LBB6_2928
; %bb.2921:                             ;   in Loop: Header=BB6_130 Depth=2
	v_bfe_u32 v44, v4, 23, 8
	v_or_b32_e32 v5, 0x800000, v2
	s_delay_alu instid0(VALU_DEP_2) | instskip(SKIP_2) | instid1(VALU_DEP_2)
	v_cmp_gt_u32_e64 s10, 0x72, v44
	v_sub_nc_u32_e32 v4, 0x71, v44
	v_cmp_eq_u32_e32 vcc_lo, 0, v44
	v_dual_cndmask_b32 v4, 0, v4, s10 :: v_dual_cndmask_b32 v2, v5, v2, vcc_lo
	s_delay_alu instid0(VALU_DEP_1) | instskip(NEXT) | instid1(VALU_DEP_1)
	v_cndmask_b32_e64 v59, v4, 0x70, vcc_lo
	v_dual_add_nc_u32 v4, 21, v59 :: v_dual_add_nc_u32 v61, 20, v59
	s_delay_alu instid0(VALU_DEP_1) | instskip(NEXT) | instid1(VALU_DEP_2)
	v_lshlrev_b64_e64 v[4:5], v4, -1
	v_lshlrev_b64_e64 v[62:63], v61, 1
	s_delay_alu instid0(VALU_DEP_2) | instskip(SKIP_1) | instid1(VALU_DEP_4)
	v_bfi_b32 v4, v4, 0, v2
	v_lshrrev_b64 v[2:3], v59, v[2:3]
	v_bfi_b32 v5, v5, 0, 0
	s_delay_alu instid0(VALU_DEP_1) | instskip(NEXT) | instid1(VALU_DEP_3)
	v_cmp_eq_u64_e64 s10, v[4:5], v[62:63]
	v_mov_b64_e32 v[4:5], v[2:3]
	s_and_saveexec_b32 s42, s10
; %bb.2922:                             ;   in Loop: Header=BB6_130 Depth=2
	v_bfe_u32 v4, v2, 21, 1
	v_mov_b32_e32 v5, v1
	s_delay_alu instid0(VALU_DEP_1) | instskip(NEXT) | instid1(VALU_DEP_1)
	v_add_nc_u64_e32 v[4:5], v[2:3], v[4:5]
	v_add_nc_u64_e32 v[4:5], -1, v[4:5]
; %bb.2923:                             ;   in Loop: Header=BB6_130 Depth=2
	s_or_b32 exec_lo, exec_lo, s42
	v_add_nc_u32_e32 v3, 0xffffff81, v44
	v_lshrrev_b32_e32 v5, 23, v2
	s_mov_b32 s10, exec_lo
	s_delay_alu instid0(VALU_DEP_2) | instskip(NEXT) | instid1(VALU_DEP_1)
	v_cndmask_b32_e64 v3, v3, 0xffffff82, vcc_lo
	v_add3_u32 v44, v59, v3, v5
	v_and_b32_e32 v3, 0x1fffff, v4
                                        ; implicit-def: $vgpr4
	s_delay_alu instid0(VALU_DEP_1) | instskip(SKIP_1) | instid1(VALU_DEP_2)
	v_dual_add_nc_u32 v5, 14, v44 :: v_dual_add_nc_u32 v2, v3, v2
	v_mov_b32_e32 v3, v1
	v_cmpx_ne_u32_e32 0, v5
	s_xor_b32 s10, exec_lo, s10
; %bb.2924:                             ;   in Loop: Header=BB6_130 Depth=2
	s_delay_alu instid0(VALU_DEP_2) | instskip(SKIP_1) | instid1(VALU_DEP_1)
	v_cmp_lt_u64_e32 vcc_lo, 0xffffff, v[2:3]
	v_add_nc_u32_e32 v4, 15, v44
	v_cndmask_b32_e32 v4, v5, v4, vcc_lo
	v_cndmask_b32_e64 v5, 0, 1, vcc_lo
	s_delay_alu instid0(VALU_DEP_1)
	v_lshrrev_b64 v[2:3], v5, v[2:3]
; %bb.2925:                             ;   in Loop: Header=BB6_130 Depth=2
	s_and_not1_saveexec_b32 s10, s10
; %bb.2926:                             ;   in Loop: Header=BB6_130 Depth=2
	s_delay_alu instid0(VALU_DEP_1)
	v_bfe_u32 v4, v2, 23, 1
; %bb.2927:                             ;   in Loop: Header=BB6_130 Depth=2
	s_or_b32 exec_lo, exec_lo, s10
	s_delay_alu instid0(VALU_DEP_2) | instskip(NEXT) | instid1(VALU_DEP_2)
	v_lshrrev_b64 v[2:3], 21, v[2:3]
	v_cmp_gt_i32_e32 vcc_lo, 32, v4
	v_min_i32_e32 v5, 31, v4
	v_cmp_eq_u32_e64 s10, 0, v4
	s_delay_alu instid0(VALU_DEP_2) | instskip(SKIP_1) | instid1(VALU_DEP_2)
	v_dual_cndmask_b32 v3, 0, v3, vcc_lo :: v_dual_lshlrev_b32 v5, 2, v5
	v_cndmask_b32_e32 v2, 3, v2, vcc_lo
	v_and_b32_e32 v5, 0xfc, v5
	s_delay_alu instid0(VALU_DEP_2) | instskip(NEXT) | instid1(VALU_DEP_2)
	v_cmp_eq_u64_e32 vcc_lo, 0, v[2:3]
	v_and_or_b32 v2, v2, 3, v5
	s_and_b32 s10, s10, vcc_lo
	s_delay_alu instid0(VALU_DEP_1) | instid1(SALU_CYCLE_1)
	v_cndmask_b32_e64 v2, v2, 0, s10
	s_delay_alu instid0(VALU_DEP_1)
	v_or_b32_e32 v44, v2, v56
.LBB6_2928:                             ;   in Loop: Header=BB6_130 Depth=2
	s_or_b32 exec_lo, exec_lo, s41
                                        ; implicit-def: $vgpr56
.LBB6_2929:                             ;   in Loop: Header=BB6_130 Depth=2
	s_and_not1_saveexec_b32 s10, s40
; %bb.2930:                             ;   in Loop: Header=BB6_130 Depth=2
	v_or_b32_e32 v44, 0x7b, v56
; %bb.2931:                             ;   in Loop: Header=BB6_130 Depth=2
	s_or_b32 exec_lo, exec_lo, s10
                                        ; implicit-def: $vgpr4
                                        ; implicit-def: $vgpr2_vgpr3
                                        ; implicit-def: $vgpr5
.LBB6_2932:                             ;   in Loop: Header=BB6_130 Depth=2
	s_and_not1_saveexec_b32 s10, s29
	s_cbranch_execz .LBB6_2938
; %bb.2933:                             ;   in Loop: Header=BB6_130 Depth=2
	s_mov_b32 s29, exec_lo
                                        ; implicit-def: $vgpr44
	v_cmpx_ne_u64_e32 0, v[2:3]
	s_xor_b32 s29, exec_lo, s29
; %bb.2934:                             ;   in Loop: Header=BB6_130 Depth=2
	v_or_b32_e32 v44, 0x7f, v5
                                        ; implicit-def: $vgpr4
; %bb.2935:                             ;   in Loop: Header=BB6_130 Depth=2
	s_and_not1_saveexec_b32 s29, s29
; %bb.2936:                             ;   in Loop: Header=BB6_130 Depth=2
	v_cmp_lt_i32_e32 vcc_lo, -1, v4
	v_mov_b32_e32 v2, 0x7c
	s_delay_alu instid0(VALU_DEP_1)
	v_cndmask_b32_e32 v44, 0xfc, v2, vcc_lo
; %bb.2937:                             ;   in Loop: Header=BB6_130 Depth=2
	s_or_b32 exec_lo, exec_lo, s29
.LBB6_2938:                             ;   in Loop: Header=BB6_130 Depth=2
	s_delay_alu instid0(SALU_CYCLE_1) | instskip(SKIP_3) | instid1(VALU_DEP_2)
	s_or_b32 exec_lo, exec_lo, s10
	v_dual_mov_b32 v3, 0 :: v_dual_lshrrev_b32 v2, 16, v0
	v_mov_b32_e32 v4, 0
	s_mov_b32 s29, exec_lo
	v_and_b32_e32 v5, 0xff, v2
	s_delay_alu instid0(VALU_DEP_1)
	v_cmpx_ne_u16_e32 0, v5
	s_cbranch_execz .LBB6_2948
; %bb.2939:                             ;   in Loop: Header=BB6_130 Depth=2
	v_bfrev_b32_e32 v4, 1
	s_mov_b32 s40, exec_lo
	v_cmpx_ne_u16_e32 0x80, v5
	s_cbranch_execz .LBB6_2947
; %bb.2940:                             ;   in Loop: Header=BB6_130 Depth=2
	v_and_b32_e32 v4, 0x7c0000, v0
	v_bfe_u32 v5, v0, 16, 2
	s_delay_alu instid0(VALU_DEP_2) | instskip(SKIP_1) | instid1(SALU_CYCLE_1)
	v_cmp_ne_u32_e32 vcc_lo, 0x7c0000, v4
                                        ; implicit-def: $vgpr4
	s_and_saveexec_b32 s10, vcc_lo
	s_xor_b32 s10, exec_lo, s10
	s_cbranch_execz .LBB6_2944
; %bb.2941:                             ;   in Loop: Header=BB6_130 Depth=2
	v_bfe_u32 v4, v0, 18, 5
	s_mov_b32 s41, exec_lo
	s_delay_alu instid0(VALU_DEP_1)
	v_cmpx_eq_u32_e32 0, v4
; %bb.2942:                             ;   in Loop: Header=BB6_130 Depth=2
	v_clz_i32_u32_e32 v4, v5
	s_delay_alu instid0(VALU_DEP_1) | instskip(NEXT) | instid1(VALU_DEP_1)
	v_min_u32_e32 v4, 32, v4
	v_subrev_nc_u32_e32 v5, 29, v4
	s_delay_alu instid0(VALU_DEP_1) | instskip(NEXT) | instid1(VALU_DEP_1)
	v_lshlrev_b64_e32 v[62:63], v5, v[2:3]
	v_dual_sub_nc_u32 v4, 30, v4 :: v_dual_bitop2_b32 v5, 3, v62 bitop3:0x40
; %bb.2943:                             ;   in Loop: Header=BB6_130 Depth=2
	s_or_b32 exec_lo, exec_lo, s41
	v_lshlrev_b32_e32 v2, 24, v2
	s_delay_alu instid0(VALU_DEP_1) | instskip(NEXT) | instid1(VALU_DEP_1)
	v_and_b32_e32 v2, 0x80000000, v2
	v_lshl_add_u32 v2, v4, 23, v2
	s_delay_alu instid0(VALU_DEP_1) | instskip(NEXT) | instid1(VALU_DEP_1)
	v_lshl_or_b32 v2, v5, 21, v2
                                        ; implicit-def: $vgpr5
	v_add_nc_u32_e32 v4, 0x38000000, v2
                                        ; implicit-def: $vgpr2
.LBB6_2944:                             ;   in Loop: Header=BB6_130 Depth=2
	s_and_not1_saveexec_b32 s41, s10
; %bb.2945:                             ;   in Loop: Header=BB6_130 Depth=2
	v_bfe_i32 v2, v2, 0, 8
	v_cmp_eq_u32_e32 vcc_lo, 0, v5
	s_delay_alu instid0(VALU_DEP_2) | instskip(SKIP_1) | instid1(VALU_DEP_1)
	v_cmp_lt_i16_e64 s10, -1, v2
	v_mov_b32_e32 v2, 0x7f800000
	v_cndmask_b32_e64 v2, 0xff800000, v2, s10
	s_delay_alu instid0(VALU_DEP_1)
	v_cndmask_b32_e32 v4, 0x7f800001, v2, vcc_lo
; %bb.2946:                             ;   in Loop: Header=BB6_130 Depth=2
	s_or_b32 exec_lo, exec_lo, s41
.LBB6_2947:                             ;   in Loop: Header=BB6_130 Depth=2
	s_delay_alu instid0(SALU_CYCLE_1)
	s_or_b32 exec_lo, exec_lo, s40
.LBB6_2948:                             ;   in Loop: Header=BB6_130 Depth=2
	s_delay_alu instid0(SALU_CYCLE_1) | instskip(SKIP_2) | instid1(VALU_DEP_1)
	s_or_b32 exec_lo, exec_lo, s29
	v_lshrrev_b32_e32 v2, 16, v19
	s_mov_b32 s29, exec_lo
	v_and_b32_e32 v5, 0xff, v2
	s_delay_alu instid0(VALU_DEP_1)
	v_cmpx_ne_u16_e32 0, v5
	s_cbranch_execz .LBB6_2958
; %bb.2949:                             ;   in Loop: Header=BB6_130 Depth=2
	v_bfrev_b32_e32 v3, 1
	s_mov_b32 s40, exec_lo
	v_cmpx_ne_u16_e32 0x80, v5
	s_cbranch_execz .LBB6_2957
; %bb.2950:                             ;   in Loop: Header=BB6_130 Depth=2
	v_and_b32_e32 v3, 0x7c0000, v19
	v_bfe_u32 v5, v19, 16, 2
	s_delay_alu instid0(VALU_DEP_2) | instskip(SKIP_1) | instid1(SALU_CYCLE_1)
	v_cmp_ne_u32_e32 vcc_lo, 0x7c0000, v3
                                        ; implicit-def: $vgpr3
	s_and_saveexec_b32 s10, vcc_lo
	s_xor_b32 s10, exec_lo, s10
	s_cbranch_execz .LBB6_2954
; %bb.2951:                             ;   in Loop: Header=BB6_130 Depth=2
	v_bfe_u32 v3, v19, 18, 5
	s_mov_b32 s41, exec_lo
	s_delay_alu instid0(VALU_DEP_1)
	v_cmpx_eq_u32_e32 0, v3
; %bb.2952:                             ;   in Loop: Header=BB6_130 Depth=2
	v_clz_i32_u32_e32 v3, v5
	s_delay_alu instid0(VALU_DEP_1) | instskip(NEXT) | instid1(VALU_DEP_1)
	v_min_u32_e32 v3, 32, v3
	v_subrev_nc_u32_e32 v5, 29, v3
	s_delay_alu instid0(VALU_DEP_1) | instskip(NEXT) | instid1(VALU_DEP_1)
	v_lshlrev_b64_e32 v[62:63], v5, v[2:3]
	v_dual_sub_nc_u32 v3, 30, v3 :: v_dual_bitop2_b32 v5, 3, v62 bitop3:0x40
; %bb.2953:                             ;   in Loop: Header=BB6_130 Depth=2
	s_or_b32 exec_lo, exec_lo, s41
	v_lshlrev_b32_e32 v2, 24, v2
	s_delay_alu instid0(VALU_DEP_1) | instskip(NEXT) | instid1(VALU_DEP_1)
	v_and_b32_e32 v2, 0x80000000, v2
	v_lshl_add_u32 v2, v3, 23, v2
	s_delay_alu instid0(VALU_DEP_1) | instskip(NEXT) | instid1(VALU_DEP_1)
	v_lshl_or_b32 v2, v5, 21, v2
                                        ; implicit-def: $vgpr5
	v_add_nc_u32_e32 v3, 0x38000000, v2
                                        ; implicit-def: $vgpr2
.LBB6_2954:                             ;   in Loop: Header=BB6_130 Depth=2
	s_and_not1_saveexec_b32 s41, s10
; %bb.2955:                             ;   in Loop: Header=BB6_130 Depth=2
	v_bfe_i32 v2, v2, 0, 8
	v_cmp_eq_u32_e32 vcc_lo, 0, v5
	s_delay_alu instid0(VALU_DEP_2) | instskip(SKIP_1) | instid1(VALU_DEP_1)
	v_cmp_lt_i16_e64 s10, -1, v2
	v_mov_b32_e32 v2, 0x7f800000
	v_cndmask_b32_e64 v2, 0xff800000, v2, s10
	s_delay_alu instid0(VALU_DEP_1)
	v_cndmask_b32_e32 v3, 0x7f800001, v2, vcc_lo
; %bb.2956:                             ;   in Loop: Header=BB6_130 Depth=2
	s_or_b32 exec_lo, exec_lo, s41
.LBB6_2957:                             ;   in Loop: Header=BB6_130 Depth=2
	s_delay_alu instid0(SALU_CYCLE_1)
	s_or_b32 exec_lo, exec_lo, s40
.LBB6_2958:                             ;   in Loop: Header=BB6_130 Depth=2
	s_delay_alu instid0(SALU_CYCLE_1) | instskip(NEXT) | instid1(VALU_DEP_1)
	s_or_b32 exec_lo, exec_lo, s29
	v_dual_add_f32 v4, v4, v3 :: v_dual_mov_b32 v63, v1
	v_mov_b32_e32 v3, v1
                                        ; implicit-def: $vgpr56
	s_mov_b32 s10, exec_lo
	s_delay_alu instid0(VALU_DEP_2) | instskip(SKIP_2) | instid1(VALU_DEP_3)
	v_and_b32_e32 v62, 0x7f800000, v4
	v_and_b32_e32 v2, 0x7fffff, v4
	v_lshrrev_b32_e32 v5, 24, v4
	v_cmpx_ne_u64_e32 0x7f800000, v[62:63]
	s_xor_b32 s29, exec_lo, s10
	s_cbranch_execz .LBB6_2972
; %bb.2959:                             ;   in Loop: Header=BB6_130 Depth=2
	v_and_b32_e32 v62, 0x7fffffff, v4
	v_mov_b32_e32 v63, v1
	v_and_b32_e32 v59, 0x80, v5
                                        ; implicit-def: $vgpr56
	s_mov_b32 s10, exec_lo
	s_delay_alu instid0(VALU_DEP_2)
	v_cmpx_gt_u64_e32 0x47600001, v[62:63]
	s_xor_b32 s40, exec_lo, s10
	s_cbranch_execz .LBB6_2969
; %bb.2960:                             ;   in Loop: Header=BB6_130 Depth=2
	v_mov_b32_e32 v56, 0
	s_mov_b32 s41, exec_lo
	v_cmpx_ne_u32_e32 0, v4
	s_cbranch_execz .LBB6_2968
; %bb.2961:                             ;   in Loop: Header=BB6_130 Depth=2
	v_bfe_u32 v56, v4, 23, 8
	v_or_b32_e32 v5, 0x800000, v2
	s_delay_alu instid0(VALU_DEP_2) | instskip(SKIP_2) | instid1(VALU_DEP_2)
	v_cmp_gt_u32_e64 s10, 0x72, v56
	v_sub_nc_u32_e32 v4, 0x71, v56
	v_cmp_eq_u32_e32 vcc_lo, 0, v56
	v_dual_cndmask_b32 v4, 0, v4, s10 :: v_dual_cndmask_b32 v2, v5, v2, vcc_lo
	s_delay_alu instid0(VALU_DEP_1) | instskip(NEXT) | instid1(VALU_DEP_1)
	v_cndmask_b32_e64 v61, v4, 0x70, vcc_lo
	v_dual_add_nc_u32 v4, 21, v61 :: v_dual_add_nc_u32 v62, 20, v61
	s_delay_alu instid0(VALU_DEP_1) | instskip(NEXT) | instid1(VALU_DEP_2)
	v_lshlrev_b64_e64 v[4:5], v4, -1
	v_lshlrev_b64_e64 v[62:63], v62, 1
	s_delay_alu instid0(VALU_DEP_2) | instskip(SKIP_1) | instid1(VALU_DEP_4)
	v_bfi_b32 v4, v4, 0, v2
	v_lshrrev_b64 v[2:3], v61, v[2:3]
	v_bfi_b32 v5, v5, 0, 0
	s_delay_alu instid0(VALU_DEP_1) | instskip(NEXT) | instid1(VALU_DEP_3)
	v_cmp_eq_u64_e64 s10, v[4:5], v[62:63]
	v_mov_b64_e32 v[4:5], v[2:3]
	s_and_saveexec_b32 s42, s10
; %bb.2962:                             ;   in Loop: Header=BB6_130 Depth=2
	v_bfe_u32 v4, v2, 21, 1
	v_mov_b32_e32 v5, v1
	s_delay_alu instid0(VALU_DEP_1) | instskip(NEXT) | instid1(VALU_DEP_1)
	v_add_nc_u64_e32 v[4:5], v[2:3], v[4:5]
	v_add_nc_u64_e32 v[4:5], -1, v[4:5]
; %bb.2963:                             ;   in Loop: Header=BB6_130 Depth=2
	s_or_b32 exec_lo, exec_lo, s42
	v_add_nc_u32_e32 v3, 0xffffff81, v56
	v_lshrrev_b32_e32 v5, 23, v2
	s_mov_b32 s10, exec_lo
	s_delay_alu instid0(VALU_DEP_2) | instskip(NEXT) | instid1(VALU_DEP_1)
	v_cndmask_b32_e64 v3, v3, 0xffffff82, vcc_lo
	v_add3_u32 v56, v61, v3, v5
	v_and_b32_e32 v3, 0x1fffff, v4
                                        ; implicit-def: $vgpr4
	s_delay_alu instid0(VALU_DEP_1) | instskip(SKIP_1) | instid1(VALU_DEP_2)
	v_dual_add_nc_u32 v5, 14, v56 :: v_dual_add_nc_u32 v2, v3, v2
	v_mov_b32_e32 v3, v1
	v_cmpx_ne_u32_e32 0, v5
	s_xor_b32 s10, exec_lo, s10
; %bb.2964:                             ;   in Loop: Header=BB6_130 Depth=2
	s_delay_alu instid0(VALU_DEP_2) | instskip(SKIP_1) | instid1(VALU_DEP_1)
	v_cmp_lt_u64_e32 vcc_lo, 0xffffff, v[2:3]
	v_add_nc_u32_e32 v4, 15, v56
	v_cndmask_b32_e32 v4, v5, v4, vcc_lo
	v_cndmask_b32_e64 v5, 0, 1, vcc_lo
	s_delay_alu instid0(VALU_DEP_1)
	v_lshrrev_b64 v[2:3], v5, v[2:3]
; %bb.2965:                             ;   in Loop: Header=BB6_130 Depth=2
	s_and_not1_saveexec_b32 s10, s10
; %bb.2966:                             ;   in Loop: Header=BB6_130 Depth=2
	s_delay_alu instid0(VALU_DEP_1)
	v_bfe_u32 v4, v2, 23, 1
; %bb.2967:                             ;   in Loop: Header=BB6_130 Depth=2
	s_or_b32 exec_lo, exec_lo, s10
	s_delay_alu instid0(VALU_DEP_2) | instskip(NEXT) | instid1(VALU_DEP_2)
	v_lshrrev_b64 v[2:3], 21, v[2:3]
	v_cmp_gt_i32_e32 vcc_lo, 32, v4
	v_min_i32_e32 v5, 31, v4
	v_cmp_eq_u32_e64 s10, 0, v4
	s_delay_alu instid0(VALU_DEP_2) | instskip(SKIP_1) | instid1(VALU_DEP_2)
	v_dual_cndmask_b32 v3, 0, v3, vcc_lo :: v_dual_lshlrev_b32 v5, 2, v5
	v_cndmask_b32_e32 v2, 3, v2, vcc_lo
	v_and_b32_e32 v5, 0xfc, v5
	s_delay_alu instid0(VALU_DEP_2) | instskip(NEXT) | instid1(VALU_DEP_2)
	v_cmp_eq_u64_e32 vcc_lo, 0, v[2:3]
	v_and_or_b32 v2, v2, 3, v5
	s_and_b32 s10, s10, vcc_lo
	s_delay_alu instid0(VALU_DEP_1) | instid1(SALU_CYCLE_1)
	v_cndmask_b32_e64 v2, v2, 0, s10
	s_delay_alu instid0(VALU_DEP_1)
	v_or_b32_e32 v56, v2, v59
.LBB6_2968:                             ;   in Loop: Header=BB6_130 Depth=2
	s_or_b32 exec_lo, exec_lo, s41
                                        ; implicit-def: $vgpr59
.LBB6_2969:                             ;   in Loop: Header=BB6_130 Depth=2
	s_and_not1_saveexec_b32 s10, s40
; %bb.2970:                             ;   in Loop: Header=BB6_130 Depth=2
	v_or_b32_e32 v56, 0x7b, v59
; %bb.2971:                             ;   in Loop: Header=BB6_130 Depth=2
	s_or_b32 exec_lo, exec_lo, s10
                                        ; implicit-def: $vgpr4
                                        ; implicit-def: $vgpr2_vgpr3
                                        ; implicit-def: $vgpr5
.LBB6_2972:                             ;   in Loop: Header=BB6_130 Depth=2
	s_and_not1_saveexec_b32 s10, s29
	s_cbranch_execz .LBB6_2978
; %bb.2973:                             ;   in Loop: Header=BB6_130 Depth=2
	s_mov_b32 s29, exec_lo
                                        ; implicit-def: $vgpr56
	v_cmpx_ne_u64_e32 0, v[2:3]
	s_xor_b32 s29, exec_lo, s29
; %bb.2974:                             ;   in Loop: Header=BB6_130 Depth=2
	v_or_b32_e32 v56, 0x7f, v5
                                        ; implicit-def: $vgpr4
; %bb.2975:                             ;   in Loop: Header=BB6_130 Depth=2
	s_and_not1_saveexec_b32 s29, s29
; %bb.2976:                             ;   in Loop: Header=BB6_130 Depth=2
	v_cmp_lt_i32_e32 vcc_lo, -1, v4
	v_mov_b32_e32 v2, 0x7c
	s_delay_alu instid0(VALU_DEP_1)
	v_cndmask_b32_e32 v56, 0xfc, v2, vcc_lo
; %bb.2977:                             ;   in Loop: Header=BB6_130 Depth=2
	s_or_b32 exec_lo, exec_lo, s29
.LBB6_2978:                             ;   in Loop: Header=BB6_130 Depth=2
	s_delay_alu instid0(SALU_CYCLE_1)
	s_or_b32 exec_lo, exec_lo, s10
	v_dual_mov_b32 v3, 0 :: v_dual_mov_b32 v4, 0
	s_mov_b32 s29, exec_lo
	v_cmpx_lt_u32_e32 0xffffff, v0
	s_cbranch_execz .LBB6_2988
; %bb.2979:                             ;   in Loop: Header=BB6_130 Depth=2
	v_lshrrev_b32_e32 v2, 24, v0
	v_bfrev_b32_e32 v4, 1
	s_mov_b32 s40, exec_lo
	s_delay_alu instid0(VALU_DEP_2)
	v_cmpx_ne_u32_e32 0x80, v2
	s_cbranch_execz .LBB6_2987
; %bb.2980:                             ;   in Loop: Header=BB6_130 Depth=2
	v_and_b32_e32 v4, 0x7c000000, v0
	v_bfe_u32 v5, v0, 24, 2
	s_delay_alu instid0(VALU_DEP_2) | instskip(SKIP_1) | instid1(SALU_CYCLE_1)
	v_cmp_ne_u32_e32 vcc_lo, 0x7c000000, v4
                                        ; implicit-def: $vgpr4
	s_and_saveexec_b32 s10, vcc_lo
	s_xor_b32 s10, exec_lo, s10
	s_cbranch_execz .LBB6_2984
; %bb.2981:                             ;   in Loop: Header=BB6_130 Depth=2
	v_bfe_u32 v4, v0, 26, 5
	s_mov_b32 s41, exec_lo
	s_delay_alu instid0(VALU_DEP_1)
	v_cmpx_eq_u32_e32 0, v4
; %bb.2982:                             ;   in Loop: Header=BB6_130 Depth=2
	v_clz_i32_u32_e32 v4, v5
	s_delay_alu instid0(VALU_DEP_1) | instskip(NEXT) | instid1(VALU_DEP_1)
	v_min_u32_e32 v4, 32, v4
	v_subrev_nc_u32_e32 v5, 29, v4
	s_delay_alu instid0(VALU_DEP_1) | instskip(NEXT) | instid1(VALU_DEP_1)
	v_lshlrev_b64_e32 v[62:63], v5, v[2:3]
	v_dual_sub_nc_u32 v4, 30, v4 :: v_dual_bitop2_b32 v5, 3, v62 bitop3:0x40
; %bb.2983:                             ;   in Loop: Header=BB6_130 Depth=2
	s_or_b32 exec_lo, exec_lo, s41
	v_and_b32_e32 v0, 0x80000000, v0
	s_delay_alu instid0(VALU_DEP_1) | instskip(NEXT) | instid1(VALU_DEP_1)
	v_lshl_add_u32 v0, v4, 23, v0
	v_lshl_or_b32 v0, v5, 21, v0
                                        ; implicit-def: $vgpr5
	s_delay_alu instid0(VALU_DEP_1)
	v_add_nc_u32_e32 v4, 0x38000000, v0
.LBB6_2984:                             ;   in Loop: Header=BB6_130 Depth=2
	s_and_not1_saveexec_b32 s41, s10
; %bb.2985:                             ;   in Loop: Header=BB6_130 Depth=2
	v_cmp_lt_i32_e64 s10, -1, v0
	v_mov_b32_e32 v0, 0x7f800000
	v_cmp_eq_u32_e32 vcc_lo, 0, v5
	s_delay_alu instid0(VALU_DEP_2) | instskip(NEXT) | instid1(VALU_DEP_1)
	v_cndmask_b32_e64 v0, 0xff800000, v0, s10
	v_cndmask_b32_e32 v4, 0x7f800001, v0, vcc_lo
; %bb.2986:                             ;   in Loop: Header=BB6_130 Depth=2
	s_or_b32 exec_lo, exec_lo, s41
.LBB6_2987:                             ;   in Loop: Header=BB6_130 Depth=2
	s_delay_alu instid0(SALU_CYCLE_1)
	s_or_b32 exec_lo, exec_lo, s40
.LBB6_2988:                             ;   in Loop: Header=BB6_130 Depth=2
	s_delay_alu instid0(SALU_CYCLE_1) | instskip(NEXT) | instid1(SALU_CYCLE_1)
	s_or_b32 exec_lo, exec_lo, s29
	s_mov_b32 s29, exec_lo
	v_cmpx_lt_u64_e64 s[12:13], v[18:19]
	s_cbranch_execz .LBB6_2998
; %bb.2989:                             ;   in Loop: Header=BB6_130 Depth=2
	v_lshrrev_b32_e32 v0, 24, v19
	v_bfrev_b32_e32 v3, 1
	s_mov_b32 s40, exec_lo
	s_delay_alu instid0(VALU_DEP_2)
	v_cmpx_ne_u32_e32 0x80, v0
	s_cbranch_execz .LBB6_2997
; %bb.2990:                             ;   in Loop: Header=BB6_130 Depth=2
	v_and_b32_e32 v3, 0x7c000000, v19
	v_bfe_u32 v2, v19, 24, 2
	s_delay_alu instid0(VALU_DEP_2) | instskip(SKIP_1) | instid1(SALU_CYCLE_1)
	v_cmp_ne_u32_e32 vcc_lo, 0x7c000000, v3
                                        ; implicit-def: $vgpr3
	s_and_saveexec_b32 s10, vcc_lo
	s_xor_b32 s10, exec_lo, s10
	s_cbranch_execz .LBB6_2994
; %bb.2991:                             ;   in Loop: Header=BB6_130 Depth=2
	v_bfe_u32 v3, v19, 26, 5
	s_mov_b32 s41, exec_lo
	s_delay_alu instid0(VALU_DEP_1)
	v_cmpx_eq_u32_e32 0, v3
; %bb.2992:                             ;   in Loop: Header=BB6_130 Depth=2
	v_clz_i32_u32_e32 v2, v2
	s_delay_alu instid0(VALU_DEP_1) | instskip(NEXT) | instid1(VALU_DEP_1)
	v_min_u32_e32 v5, 32, v2
	v_subrev_nc_u32_e32 v2, 29, v5
	s_delay_alu instid0(VALU_DEP_1) | instskip(NEXT) | instid1(VALU_DEP_1)
	v_lshlrev_b64_e32 v[2:3], v2, v[0:1]
	v_dual_sub_nc_u32 v3, 30, v5 :: v_dual_bitop2_b32 v2, 3, v2 bitop3:0x40
; %bb.2993:                             ;   in Loop: Header=BB6_130 Depth=2
	s_or_b32 exec_lo, exec_lo, s41
	v_and_b32_e32 v0, 0x80000000, v19
	s_delay_alu instid0(VALU_DEP_1) | instskip(NEXT) | instid1(VALU_DEP_1)
	v_lshl_add_u32 v0, v3, 23, v0
	v_lshl_or_b32 v0, v2, 21, v0
                                        ; implicit-def: $vgpr2
	s_delay_alu instid0(VALU_DEP_1)
	v_add_nc_u32_e32 v3, 0x38000000, v0
.LBB6_2994:                             ;   in Loop: Header=BB6_130 Depth=2
	s_and_not1_saveexec_b32 s41, s10
; %bb.2995:                             ;   in Loop: Header=BB6_130 Depth=2
	v_cmp_lt_i64_e64 s10, -1, v[18:19]
	v_mov_b32_e32 v0, 0x7f800000
	v_cmp_eq_u32_e32 vcc_lo, 0, v2
	s_delay_alu instid0(VALU_DEP_2) | instskip(NEXT) | instid1(VALU_DEP_1)
	v_cndmask_b32_e64 v0, 0xff800000, v0, s10
	v_cndmask_b32_e32 v3, 0x7f800001, v0, vcc_lo
; %bb.2996:                             ;   in Loop: Header=BB6_130 Depth=2
	s_or_b32 exec_lo, exec_lo, s41
.LBB6_2997:                             ;   in Loop: Header=BB6_130 Depth=2
	s_delay_alu instid0(SALU_CYCLE_1)
	s_or_b32 exec_lo, exec_lo, s40
.LBB6_2998:                             ;   in Loop: Header=BB6_130 Depth=2
	s_delay_alu instid0(SALU_CYCLE_1) | instskip(NEXT) | instid1(VALU_DEP_1)
	s_or_b32 exec_lo, exec_lo, s29
	v_dual_add_f32 v2, v4, v3 :: v_dual_mov_b32 v5, v1
                                        ; implicit-def: $vgpr18
	s_mov_b32 s10, exec_lo
	s_delay_alu instid0(VALU_DEP_1) | instskip(SKIP_2) | instid1(VALU_DEP_3)
	v_and_b32_e32 v4, 0x7f800000, v2
	v_and_b32_e32 v0, 0x7fffff, v2
	v_lshrrev_b32_e32 v3, 24, v2
	v_cmpx_ne_u64_e32 0x7f800000, v[4:5]
	s_xor_b32 s29, exec_lo, s10
	s_cbranch_execz .LBB6_3012
; %bb.2999:                             ;   in Loop: Header=BB6_130 Depth=2
	v_and_b32_e32 v4, 0x7fffffff, v2
	v_mov_b32_e32 v5, v1
	v_and_b32_e32 v19, 0x80, v3
                                        ; implicit-def: $vgpr18
	s_mov_b32 s10, exec_lo
	s_delay_alu instid0(VALU_DEP_2)
	v_cmpx_gt_u64_e32 0x47600001, v[4:5]
	s_xor_b32 s40, exec_lo, s10
	s_cbranch_execz .LBB6_3009
; %bb.3000:                             ;   in Loop: Header=BB6_130 Depth=2
	v_mov_b32_e32 v18, 0
	s_mov_b32 s41, exec_lo
	v_cmpx_ne_u32_e32 0, v2
	s_cbranch_execz .LBB6_3008
; %bb.3001:                             ;   in Loop: Header=BB6_130 Depth=2
	v_bfe_u32 v18, v2, 23, 8
	v_or_b32_e32 v3, 0x800000, v0
	s_delay_alu instid0(VALU_DEP_2) | instskip(SKIP_2) | instid1(VALU_DEP_2)
	v_cmp_gt_u32_e64 s10, 0x72, v18
	v_sub_nc_u32_e32 v2, 0x71, v18
	v_cmp_eq_u32_e32 vcc_lo, 0, v18
	v_cndmask_b32_e64 v2, 0, v2, s10
	s_delay_alu instid0(VALU_DEP_1) | instskip(SKIP_1) | instid1(VALU_DEP_2)
	v_cndmask_b32_e64 v59, v2, 0x70, vcc_lo
	v_dual_cndmask_b32 v2, v3, v0 :: v_dual_mov_b32 v3, v1
	v_add_nc_u32_e32 v0, 21, v59
	s_delay_alu instid0(VALU_DEP_1) | instskip(SKIP_1) | instid1(VALU_DEP_1)
	v_lshlrev_b64_e64 v[4:5], v0, -1
	v_add_nc_u32_e32 v0, 20, v59
	v_lshlrev_b64_e64 v[62:63], v0, 1
	s_delay_alu instid0(VALU_DEP_3) | instskip(SKIP_2) | instid1(VALU_DEP_1)
	v_bfi_b32 v4, v4, 0, v2
	v_lshrrev_b64 v[2:3], v59, v[2:3]
	v_bfi_b32 v5, v5, 0, 0
	v_cmp_eq_u64_e64 s10, v[4:5], v[62:63]
	s_delay_alu instid0(VALU_DEP_3)
	v_mov_b64_e32 v[4:5], v[2:3]
	s_and_saveexec_b32 s42, s10
; %bb.3002:                             ;   in Loop: Header=BB6_130 Depth=2
	v_bfe_u32 v4, v2, 21, 1
	v_mov_b32_e32 v5, v1
	s_delay_alu instid0(VALU_DEP_1) | instskip(NEXT) | instid1(VALU_DEP_1)
	v_add_nc_u64_e32 v[4:5], v[2:3], v[4:5]
	v_add_nc_u64_e32 v[4:5], -1, v[4:5]
; %bb.3003:                             ;   in Loop: Header=BB6_130 Depth=2
	s_or_b32 exec_lo, exec_lo, s42
	v_add_nc_u32_e32 v0, 0xffffff81, v18
	v_lshrrev_b32_e32 v3, 23, v2
	s_mov_b32 s10, exec_lo
	s_delay_alu instid0(VALU_DEP_2) | instskip(NEXT) | instid1(VALU_DEP_1)
	v_cndmask_b32_e64 v0, v0, 0xffffff82, vcc_lo
	v_add3_u32 v18, v59, v0, v3
	v_and_b32_e32 v0, 0x1fffff, v4
                                        ; implicit-def: $vgpr4
	s_delay_alu instid0(VALU_DEP_2) | instskip(NEXT) | instid1(VALU_DEP_2)
	v_add_nc_u32_e32 v5, 14, v18
	v_add_nc_u32_e32 v0, v0, v2
                                        ; implicit-def: $vgpr2_vgpr3
	s_delay_alu instid0(VALU_DEP_2)
	v_cmpx_ne_u32_e32 0, v5
	s_xor_b32 s10, exec_lo, s10
; %bb.3004:                             ;   in Loop: Header=BB6_130 Depth=2
	s_delay_alu instid0(VALU_DEP_2) | instskip(SKIP_1) | instid1(VALU_DEP_1)
	v_cmp_lt_u64_e32 vcc_lo, 0xffffff, v[0:1]
	v_add_nc_u32_e32 v2, 15, v18
	v_cndmask_b32_e32 v4, v5, v2, vcc_lo
	v_cndmask_b32_e64 v2, 0, 1, vcc_lo
	s_delay_alu instid0(VALU_DEP_1)
	v_lshrrev_b64 v[2:3], v2, v[0:1]
; %bb.3005:                             ;   in Loop: Header=BB6_130 Depth=2
	s_and_not1_saveexec_b32 s10, s10
; %bb.3006:                             ;   in Loop: Header=BB6_130 Depth=2
	v_mov_b64_e32 v[2:3], v[0:1]
	v_bfe_u32 v4, v0, 23, 1
; %bb.3007:                             ;   in Loop: Header=BB6_130 Depth=2
	s_or_b32 exec_lo, exec_lo, s10
	s_delay_alu instid0(VALU_DEP_2) | instskip(NEXT) | instid1(VALU_DEP_2)
	v_lshrrev_b64 v[2:3], 21, v[2:3]
	v_cmp_gt_i32_e32 vcc_lo, 32, v4
	v_min_i32_e32 v0, 31, v4
	v_cmp_eq_u32_e64 s10, 0, v4
	s_delay_alu instid0(VALU_DEP_2) | instskip(SKIP_1) | instid1(VALU_DEP_2)
	v_dual_cndmask_b32 v3, 0, v3 :: v_dual_lshlrev_b32 v0, 2, v0
	v_cndmask_b32_e32 v2, 3, v2, vcc_lo
	v_and_b32_e32 v0, 0xfc, v0
	s_delay_alu instid0(VALU_DEP_2) | instskip(NEXT) | instid1(VALU_DEP_2)
	v_cmp_eq_u64_e32 vcc_lo, 0, v[2:3]
	v_and_or_b32 v0, v2, 3, v0
	s_and_b32 s10, s10, vcc_lo
	s_delay_alu instid0(VALU_DEP_1) | instid1(SALU_CYCLE_1)
	v_cndmask_b32_e64 v0, v0, 0, s10
	s_delay_alu instid0(VALU_DEP_1)
	v_or_b32_e32 v18, v0, v19
.LBB6_3008:                             ;   in Loop: Header=BB6_130 Depth=2
	s_or_b32 exec_lo, exec_lo, s41
                                        ; implicit-def: $vgpr19
.LBB6_3009:                             ;   in Loop: Header=BB6_130 Depth=2
	s_and_not1_saveexec_b32 s10, s40
; %bb.3010:                             ;   in Loop: Header=BB6_130 Depth=2
	v_or_b32_e32 v18, 0x7b, v19
; %bb.3011:                             ;   in Loop: Header=BB6_130 Depth=2
	s_or_b32 exec_lo, exec_lo, s10
                                        ; implicit-def: $vgpr2
                                        ; implicit-def: $vgpr3
.LBB6_3012:                             ;   in Loop: Header=BB6_130 Depth=2
	s_and_not1_saveexec_b32 s10, s29
	s_cbranch_execz .LBB6_3018
; %bb.3013:                             ;   in Loop: Header=BB6_130 Depth=2
	s_mov_b32 s29, exec_lo
                                        ; implicit-def: $vgpr18
	v_cmpx_ne_u64_e32 0, v[0:1]
	s_xor_b32 s29, exec_lo, s29
; %bb.3014:                             ;   in Loop: Header=BB6_130 Depth=2
	v_or_b32_e32 v18, 0x7f, v3
                                        ; implicit-def: $vgpr2
; %bb.3015:                             ;   in Loop: Header=BB6_130 Depth=2
	s_and_not1_saveexec_b32 s29, s29
; %bb.3016:                             ;   in Loop: Header=BB6_130 Depth=2
	v_cmp_lt_i32_e32 vcc_lo, -1, v2
	v_mov_b32_e32 v0, 0x7c
	s_delay_alu instid0(VALU_DEP_1)
	v_cndmask_b32_e32 v18, 0xfc, v0, vcc_lo
; %bb.3017:                             ;   in Loop: Header=BB6_130 Depth=2
	s_or_b32 exec_lo, exec_lo, s29
.LBB6_3018:                             ;   in Loop: Header=BB6_130 Depth=2
	s_delay_alu instid0(SALU_CYCLE_1) | instskip(SKIP_4) | instid1(VALU_DEP_2)
	s_or_b32 exec_lo, exec_lo, s10
	v_lshl_or_b32 v119, v119, 8, v116
	v_dual_lshlrev_b32 v0, 16, v43 :: v_dual_lshlrev_b32 v2, 24, v45
	s_mov_b32 s29, exec_lo
	v_mov_b32_e32 v3, 0
	v_or3_b32 v0, v0, v2, v119
	v_mov_b32_e32 v2, 0
	v_cmpx_ne_u32_e32 0, v116
	s_cbranch_execz .LBB6_3028
; %bb.3019:                             ;   in Loop: Header=BB6_130 Depth=2
	v_bfrev_b32_e32 v3, 1
	s_mov_b32 s40, exec_lo
	v_cmpx_ne_u32_e32 0x80, v116
	s_cbranch_execz .LBB6_3027
; %bb.3020:                             ;   in Loop: Header=BB6_130 Depth=2
	v_and_b32_e32 v3, 0x7c, v116
	v_and_b32_e32 v4, 3, v116
	s_delay_alu instid0(VALU_DEP_2) | instskip(SKIP_1) | instid1(SALU_CYCLE_1)
	v_cmp_ne_u32_e32 vcc_lo, 0x7c, v3
                                        ; implicit-def: $vgpr3
	s_and_saveexec_b32 s10, vcc_lo
	s_xor_b32 s10, exec_lo, s10
	s_cbranch_execz .LBB6_3024
; %bb.3021:                             ;   in Loop: Header=BB6_130 Depth=2
	v_bfe_u32 v3, v116, 2, 5
	s_mov_b32 s41, exec_lo
	s_delay_alu instid0(VALU_DEP_1)
	v_cmpx_eq_u32_e32 0, v3
; %bb.3022:                             ;   in Loop: Header=BB6_130 Depth=2
	v_clz_i32_u32_e32 v3, v4
	s_delay_alu instid0(VALU_DEP_1) | instskip(NEXT) | instid1(VALU_DEP_1)
	v_min_u32_e32 v3, 32, v3
	v_subrev_nc_u32_e32 v4, 29, v3
	s_delay_alu instid0(VALU_DEP_1) | instskip(NEXT) | instid1(VALU_DEP_1)
	v_lshlrev_b64_e32 v[4:5], v4, v[0:1]
	v_dual_sub_nc_u32 v3, 30, v3 :: v_dual_bitop2_b32 v4, 3, v4 bitop3:0x40
; %bb.3023:                             ;   in Loop: Header=BB6_130 Depth=2
	s_or_b32 exec_lo, exec_lo, s41
	v_lshlrev_b32_e32 v5, 24, v116
                                        ; implicit-def: $vgpr116
	s_delay_alu instid0(VALU_DEP_1) | instskip(NEXT) | instid1(VALU_DEP_1)
	v_and_b32_e32 v5, 0x80000000, v5
	v_lshl_add_u32 v3, v3, 23, v5
	s_delay_alu instid0(VALU_DEP_1) | instskip(NEXT) | instid1(VALU_DEP_1)
	v_lshl_or_b32 v3, v4, 21, v3
                                        ; implicit-def: $vgpr4
	v_add_nc_u32_e32 v3, 0x38000000, v3
.LBB6_3024:                             ;   in Loop: Header=BB6_130 Depth=2
	s_and_not1_saveexec_b32 s41, s10
; %bb.3025:                             ;   in Loop: Header=BB6_130 Depth=2
	v_and_b32_e32 v3, 0x80, v116
	v_cmp_eq_u32_e32 vcc_lo, 0, v4
	s_delay_alu instid0(VALU_DEP_2) | instskip(SKIP_1) | instid1(VALU_DEP_1)
	v_cmp_eq_u32_e64 s10, 0, v3
	v_mov_b32_e32 v3, 0x7f800000
	v_cndmask_b32_e64 v3, 0xff800000, v3, s10
	s_delay_alu instid0(VALU_DEP_1)
	v_cndmask_b32_e32 v3, 0x7f800001, v3, vcc_lo
; %bb.3026:                             ;   in Loop: Header=BB6_130 Depth=2
	s_or_b32 exec_lo, exec_lo, s41
.LBB6_3027:                             ;   in Loop: Header=BB6_130 Depth=2
	s_delay_alu instid0(SALU_CYCLE_1)
	s_or_b32 exec_lo, exec_lo, s40
.LBB6_3028:                             ;   in Loop: Header=BB6_130 Depth=2
	s_delay_alu instid0(SALU_CYCLE_1) | instskip(SKIP_2) | instid1(VALU_DEP_1)
	s_or_b32 exec_lo, exec_lo, s29
	v_and_b32_e32 v4, 0xff, v20
	s_mov_b32 s29, exec_lo
	v_cmpx_ne_u16_e32 0, v4
	s_cbranch_execz .LBB6_3038
; %bb.3029:                             ;   in Loop: Header=BB6_130 Depth=2
	v_bfe_i32 v5, v20, 0, 8
	v_bfrev_b32_e32 v2, 1
	s_mov_b32 s40, exec_lo
	s_delay_alu instid0(VALU_DEP_2)
	v_cmpx_ne_u16_e32 0xff80, v5
	s_cbranch_execz .LBB6_3037
; %bb.3030:                             ;   in Loop: Header=BB6_130 Depth=2
	v_and_b32_e32 v2, 0x7c, v20
	v_and_b32_e32 v4, 3, v20
	s_delay_alu instid0(VALU_DEP_2) | instskip(SKIP_1) | instid1(SALU_CYCLE_1)
	v_cmp_ne_u32_e32 vcc_lo, 0x7c, v2
                                        ; implicit-def: $vgpr2
	s_and_saveexec_b32 s10, vcc_lo
	s_xor_b32 s10, exec_lo, s10
	s_cbranch_execz .LBB6_3034
; %bb.3031:                             ;   in Loop: Header=BB6_130 Depth=2
	v_bfe_u32 v2, v20, 2, 5
	s_mov_b32 s41, exec_lo
	s_delay_alu instid0(VALU_DEP_1)
	v_cmpx_eq_u32_e32 0, v2
; %bb.3032:                             ;   in Loop: Header=BB6_130 Depth=2
	v_clz_i32_u32_e32 v2, v4
	s_delay_alu instid0(VALU_DEP_1) | instskip(NEXT) | instid1(VALU_DEP_1)
	v_min_u32_e32 v2, 32, v2
	v_subrev_nc_u32_e32 v4, 29, v2
	s_delay_alu instid0(VALU_DEP_1) | instskip(NEXT) | instid1(VALU_DEP_1)
	v_lshlrev_b64_e32 v[4:5], v4, v[20:21]
	v_dual_sub_nc_u32 v2, 30, v2 :: v_dual_bitop2_b32 v4, 3, v4 bitop3:0x40
; %bb.3033:                             ;   in Loop: Header=BB6_130 Depth=2
	s_or_b32 exec_lo, exec_lo, s41
	v_lshlrev_b32_e32 v5, 24, v20
	s_delay_alu instid0(VALU_DEP_1) | instskip(NEXT) | instid1(VALU_DEP_1)
	v_and_b32_e32 v5, 0x80000000, v5
	v_lshl_add_u32 v2, v2, 23, v5
                                        ; implicit-def: $vgpr5
	s_delay_alu instid0(VALU_DEP_1) | instskip(NEXT) | instid1(VALU_DEP_1)
	v_lshl_or_b32 v2, v4, 21, v2
                                        ; implicit-def: $vgpr4
	v_add_nc_u32_e32 v2, 0x38000000, v2
.LBB6_3034:                             ;   in Loop: Header=BB6_130 Depth=2
	s_and_not1_saveexec_b32 s41, s10
; %bb.3035:                             ;   in Loop: Header=BB6_130 Depth=2
	v_cmp_lt_i16_e64 s10, -1, v5
	v_mov_b32_e32 v2, 0x7f800000
	v_cmp_eq_u32_e32 vcc_lo, 0, v4
	s_delay_alu instid0(VALU_DEP_2) | instskip(NEXT) | instid1(VALU_DEP_1)
	v_cndmask_b32_e64 v2, 0xff800000, v2, s10
	v_cndmask_b32_e32 v2, 0x7f800001, v2, vcc_lo
; %bb.3036:                             ;   in Loop: Header=BB6_130 Depth=2
	s_or_b32 exec_lo, exec_lo, s41
.LBB6_3037:                             ;   in Loop: Header=BB6_130 Depth=2
	s_delay_alu instid0(SALU_CYCLE_1)
	s_or_b32 exec_lo, exec_lo, s40
.LBB6_3038:                             ;   in Loop: Header=BB6_130 Depth=2
	s_delay_alu instid0(SALU_CYCLE_1) | instskip(NEXT) | instid1(VALU_DEP_1)
	s_or_b32 exec_lo, exec_lo, s29
	v_dual_add_f32 v4, v3, v2 :: v_dual_mov_b32 v63, v1
	v_mov_b32_e32 v3, v1
                                        ; implicit-def: $vgpr19
	s_mov_b32 s10, exec_lo
	s_delay_alu instid0(VALU_DEP_2) | instskip(SKIP_2) | instid1(VALU_DEP_3)
	v_and_b32_e32 v62, 0x7f800000, v4
	v_and_b32_e32 v2, 0x7fffff, v4
	v_lshrrev_b32_e32 v5, 24, v4
	v_cmpx_ne_u64_e32 0x7f800000, v[62:63]
	s_xor_b32 s29, exec_lo, s10
	s_cbranch_execz .LBB6_3052
; %bb.3039:                             ;   in Loop: Header=BB6_130 Depth=2
	v_and_b32_e32 v62, 0x7fffffff, v4
	v_mov_b32_e32 v63, v1
	v_and_b32_e32 v116, 0x80, v5
                                        ; implicit-def: $vgpr19
	s_mov_b32 s10, exec_lo
	s_delay_alu instid0(VALU_DEP_2)
	v_cmpx_gt_u64_e32 0x47600001, v[62:63]
	s_xor_b32 s40, exec_lo, s10
	s_cbranch_execz .LBB6_3049
; %bb.3040:                             ;   in Loop: Header=BB6_130 Depth=2
	v_mov_b32_e32 v19, 0
	s_mov_b32 s41, exec_lo
	v_cmpx_ne_u32_e32 0, v4
	s_cbranch_execz .LBB6_3048
; %bb.3041:                             ;   in Loop: Header=BB6_130 Depth=2
	v_bfe_u32 v19, v4, 23, 8
	v_or_b32_e32 v5, 0x800000, v2
	s_delay_alu instid0(VALU_DEP_2) | instskip(SKIP_2) | instid1(VALU_DEP_2)
	v_cmp_gt_u32_e64 s10, 0x72, v19
	v_sub_nc_u32_e32 v4, 0x71, v19
	v_cmp_eq_u32_e32 vcc_lo, 0, v19
	v_dual_cndmask_b32 v4, 0, v4, s10 :: v_dual_cndmask_b32 v2, v5, v2, vcc_lo
	s_delay_alu instid0(VALU_DEP_1) | instskip(NEXT) | instid1(VALU_DEP_1)
	v_cndmask_b32_e64 v43, v4, 0x70, vcc_lo
	v_dual_add_nc_u32 v4, 21, v43 :: v_dual_add_nc_u32 v45, 20, v43
	s_delay_alu instid0(VALU_DEP_1) | instskip(NEXT) | instid1(VALU_DEP_2)
	v_lshlrev_b64_e64 v[4:5], v4, -1
	v_lshlrev_b64_e64 v[62:63], v45, 1
	s_delay_alu instid0(VALU_DEP_2) | instskip(SKIP_1) | instid1(VALU_DEP_4)
	v_bfi_b32 v4, v4, 0, v2
	v_lshrrev_b64 v[2:3], v43, v[2:3]
	v_bfi_b32 v5, v5, 0, 0
	s_delay_alu instid0(VALU_DEP_1) | instskip(NEXT) | instid1(VALU_DEP_3)
	v_cmp_eq_u64_e64 s10, v[4:5], v[62:63]
	v_mov_b64_e32 v[4:5], v[2:3]
	s_and_saveexec_b32 s42, s10
; %bb.3042:                             ;   in Loop: Header=BB6_130 Depth=2
	v_bfe_u32 v4, v2, 21, 1
	v_mov_b32_e32 v5, v1
	s_delay_alu instid0(VALU_DEP_1) | instskip(NEXT) | instid1(VALU_DEP_1)
	v_add_nc_u64_e32 v[4:5], v[2:3], v[4:5]
	v_add_nc_u64_e32 v[4:5], -1, v[4:5]
; %bb.3043:                             ;   in Loop: Header=BB6_130 Depth=2
	s_or_b32 exec_lo, exec_lo, s42
	v_add_nc_u32_e32 v3, 0xffffff81, v19
	v_lshrrev_b32_e32 v5, 23, v2
	s_mov_b32 s10, exec_lo
	s_delay_alu instid0(VALU_DEP_2) | instskip(NEXT) | instid1(VALU_DEP_1)
	v_cndmask_b32_e64 v3, v3, 0xffffff82, vcc_lo
	v_add3_u32 v19, v43, v3, v5
	v_and_b32_e32 v3, 0x1fffff, v4
                                        ; implicit-def: $vgpr4
	s_delay_alu instid0(VALU_DEP_1) | instskip(SKIP_1) | instid1(VALU_DEP_2)
	v_dual_add_nc_u32 v5, 14, v19 :: v_dual_add_nc_u32 v2, v3, v2
	v_mov_b32_e32 v3, v1
	v_cmpx_ne_u32_e32 0, v5
	s_xor_b32 s10, exec_lo, s10
; %bb.3044:                             ;   in Loop: Header=BB6_130 Depth=2
	s_delay_alu instid0(VALU_DEP_2) | instskip(SKIP_1) | instid1(VALU_DEP_1)
	v_cmp_lt_u64_e32 vcc_lo, 0xffffff, v[2:3]
	v_add_nc_u32_e32 v4, 15, v19
	v_cndmask_b32_e32 v4, v5, v4, vcc_lo
	v_cndmask_b32_e64 v5, 0, 1, vcc_lo
	s_delay_alu instid0(VALU_DEP_1)
	v_lshrrev_b64 v[2:3], v5, v[2:3]
; %bb.3045:                             ;   in Loop: Header=BB6_130 Depth=2
	s_and_not1_saveexec_b32 s10, s10
; %bb.3046:                             ;   in Loop: Header=BB6_130 Depth=2
	s_delay_alu instid0(VALU_DEP_1)
	v_bfe_u32 v4, v2, 23, 1
; %bb.3047:                             ;   in Loop: Header=BB6_130 Depth=2
	s_or_b32 exec_lo, exec_lo, s10
	s_delay_alu instid0(VALU_DEP_2) | instskip(NEXT) | instid1(VALU_DEP_2)
	v_lshrrev_b64 v[2:3], 21, v[2:3]
	v_cmp_gt_i32_e32 vcc_lo, 32, v4
	v_min_i32_e32 v5, 31, v4
	v_cmp_eq_u32_e64 s10, 0, v4
	s_delay_alu instid0(VALU_DEP_2) | instskip(SKIP_1) | instid1(VALU_DEP_2)
	v_dual_cndmask_b32 v3, 0, v3, vcc_lo :: v_dual_lshlrev_b32 v5, 2, v5
	v_cndmask_b32_e32 v2, 3, v2, vcc_lo
	v_and_b32_e32 v5, 0xfc, v5
	s_delay_alu instid0(VALU_DEP_2) | instskip(NEXT) | instid1(VALU_DEP_2)
	v_cmp_eq_u64_e32 vcc_lo, 0, v[2:3]
	v_and_or_b32 v2, v2, 3, v5
	s_and_b32 s10, s10, vcc_lo
	s_delay_alu instid0(VALU_DEP_1) | instid1(SALU_CYCLE_1)
	v_cndmask_b32_e64 v2, v2, 0, s10
	s_delay_alu instid0(VALU_DEP_1)
	v_or_b32_e32 v19, v2, v116
.LBB6_3048:                             ;   in Loop: Header=BB6_130 Depth=2
	s_or_b32 exec_lo, exec_lo, s41
                                        ; implicit-def: $vgpr116
.LBB6_3049:                             ;   in Loop: Header=BB6_130 Depth=2
	s_and_not1_saveexec_b32 s10, s40
; %bb.3050:                             ;   in Loop: Header=BB6_130 Depth=2
	v_or_b32_e32 v19, 0x7b, v116
; %bb.3051:                             ;   in Loop: Header=BB6_130 Depth=2
	s_or_b32 exec_lo, exec_lo, s10
                                        ; implicit-def: $vgpr4
                                        ; implicit-def: $vgpr2_vgpr3
                                        ; implicit-def: $vgpr5
.LBB6_3052:                             ;   in Loop: Header=BB6_130 Depth=2
	s_and_not1_saveexec_b32 s10, s29
	s_cbranch_execz .LBB6_3058
; %bb.3053:                             ;   in Loop: Header=BB6_130 Depth=2
	s_mov_b32 s29, exec_lo
                                        ; implicit-def: $vgpr19
	v_cmpx_ne_u64_e32 0, v[2:3]
	s_xor_b32 s29, exec_lo, s29
; %bb.3054:                             ;   in Loop: Header=BB6_130 Depth=2
	v_or_b32_e32 v19, 0x7f, v5
                                        ; implicit-def: $vgpr4
; %bb.3055:                             ;   in Loop: Header=BB6_130 Depth=2
	s_and_not1_saveexec_b32 s29, s29
; %bb.3056:                             ;   in Loop: Header=BB6_130 Depth=2
	v_cmp_lt_i32_e32 vcc_lo, -1, v4
	v_mov_b32_e32 v2, 0x7c
	s_delay_alu instid0(VALU_DEP_1)
	v_cndmask_b32_e32 v19, 0xfc, v2, vcc_lo
; %bb.3057:                             ;   in Loop: Header=BB6_130 Depth=2
	s_or_b32 exec_lo, exec_lo, s29
.LBB6_3058:                             ;   in Loop: Header=BB6_130 Depth=2
	s_delay_alu instid0(SALU_CYCLE_1) | instskip(SKIP_3) | instid1(VALU_DEP_2)
	s_or_b32 exec_lo, exec_lo, s10
	v_lshrrev_b16 v2, 8, v119
	v_dual_mov_b32 v4, 0 :: v_dual_mov_b32 v5, 0
	s_mov_b32 s29, exec_lo
	v_cmpx_ne_u16_e32 0, v2
	s_cbranch_execz .LBB6_3068
; %bb.3059:                             ;   in Loop: Header=BB6_130 Depth=2
	v_bfrev_b32_e32 v5, 1
	s_mov_b32 s40, exec_lo
	v_cmpx_ne_u16_e32 0x80, v2
	s_cbranch_execz .LBB6_3067
; %bb.3060:                             ;   in Loop: Header=BB6_130 Depth=2
	v_and_b32_e32 v116, 0xffff, v2
	s_delay_alu instid0(VALU_DEP_1) | instskip(SKIP_1) | instid1(VALU_DEP_2)
	v_and_b32_e32 v5, 0x7c, v116
	v_and_b32_e32 v3, 3, v116
	v_cmp_ne_u32_e32 vcc_lo, 0x7c, v5
                                        ; implicit-def: $vgpr5
	s_and_saveexec_b32 s10, vcc_lo
	s_delay_alu instid0(SALU_CYCLE_1)
	s_xor_b32 s10, exec_lo, s10
	s_cbranch_execz .LBB6_3064
; %bb.3061:                             ;   in Loop: Header=BB6_130 Depth=2
	v_bfe_u32 v5, v116, 2, 5
	s_mov_b32 s41, exec_lo
	s_delay_alu instid0(VALU_DEP_1)
	v_cmpx_eq_u32_e32 0, v5
	s_cbranch_execz .LBB6_3063
; %bb.3062:                             ;   in Loop: Header=BB6_130 Depth=2
	v_clz_i32_u32_e32 v3, v3
	s_delay_alu instid0(VALU_DEP_1) | instskip(SKIP_1) | instid1(VALU_DEP_2)
	v_min_u32_e32 v5, 32, v3
	v_mov_b32_e32 v3, v1
	v_subrev_nc_u32_e32 v116, 29, v5
	v_sub_nc_u32_e32 v5, 30, v5
	s_delay_alu instid0(VALU_DEP_2) | instskip(NEXT) | instid1(VALU_DEP_1)
	v_lshlrev_b64_e32 v[2:3], v116, v[2:3]
	v_and_b32_e32 v3, 3, v2
.LBB6_3063:                             ;   in Loop: Header=BB6_130 Depth=2
	s_or_b32 exec_lo, exec_lo, s41
	v_lshlrev_b32_e32 v2, 16, v119
                                        ; implicit-def: $vgpr119
	s_delay_alu instid0(VALU_DEP_1) | instskip(NEXT) | instid1(VALU_DEP_1)
	v_and_b32_e32 v2, 0x80000000, v2
	v_lshl_add_u32 v2, v5, 23, v2
	s_delay_alu instid0(VALU_DEP_1) | instskip(NEXT) | instid1(VALU_DEP_1)
	v_lshl_or_b32 v2, v3, 21, v2
                                        ; implicit-def: $vgpr3
	v_add_nc_u32_e32 v5, 0x38000000, v2
.LBB6_3064:                             ;   in Loop: Header=BB6_130 Depth=2
	s_and_not1_saveexec_b32 s41, s10
; %bb.3065:                             ;   in Loop: Header=BB6_130 Depth=2
	v_cmp_lt_i16_e64 s10, -1, v119
	v_mov_b32_e32 v2, 0x7f800000
	v_cmp_eq_u32_e32 vcc_lo, 0, v3
	s_delay_alu instid0(VALU_DEP_2) | instskip(NEXT) | instid1(VALU_DEP_1)
	v_cndmask_b32_e64 v2, 0xff800000, v2, s10
	v_cndmask_b32_e32 v5, 0x7f800001, v2, vcc_lo
; %bb.3066:                             ;   in Loop: Header=BB6_130 Depth=2
	s_or_b32 exec_lo, exec_lo, s41
.LBB6_3067:                             ;   in Loop: Header=BB6_130 Depth=2
	s_delay_alu instid0(SALU_CYCLE_1)
	s_or_b32 exec_lo, exec_lo, s40
.LBB6_3068:                             ;   in Loop: Header=BB6_130 Depth=2
	s_delay_alu instid0(SALU_CYCLE_1) | instskip(SKIP_2) | instid1(VALU_DEP_1)
	s_or_b32 exec_lo, exec_lo, s29
	v_lshrrev_b16 v2, 8, v20
	s_mov_b32 s29, exec_lo
	v_cmpx_ne_u16_e32 0, v2
	s_cbranch_execz .LBB6_3078
; %bb.3069:                             ;   in Loop: Header=BB6_130 Depth=2
	v_bfrev_b32_e32 v4, 1
	s_mov_b32 s40, exec_lo
	v_cmpx_ne_u16_e32 0x80, v2
	s_cbranch_execz .LBB6_3077
; %bb.3070:                             ;   in Loop: Header=BB6_130 Depth=2
	v_and_b32_e32 v116, 0xffff, v2
	s_delay_alu instid0(VALU_DEP_1) | instskip(SKIP_1) | instid1(VALU_DEP_2)
	v_and_b32_e32 v4, 0x7c, v116
	v_and_b32_e32 v3, 3, v116
	v_cmp_ne_u32_e32 vcc_lo, 0x7c, v4
                                        ; implicit-def: $vgpr4
	s_and_saveexec_b32 s10, vcc_lo
	s_delay_alu instid0(SALU_CYCLE_1)
	s_xor_b32 s10, exec_lo, s10
	s_cbranch_execz .LBB6_3074
; %bb.3071:                             ;   in Loop: Header=BB6_130 Depth=2
	v_bfe_u32 v4, v116, 2, 5
	s_mov_b32 s41, exec_lo
	s_delay_alu instid0(VALU_DEP_1)
	v_cmpx_eq_u32_e32 0, v4
	s_cbranch_execz .LBB6_3073
; %bb.3072:                             ;   in Loop: Header=BB6_130 Depth=2
	v_clz_i32_u32_e32 v3, v3
	s_delay_alu instid0(VALU_DEP_1) | instskip(SKIP_1) | instid1(VALU_DEP_2)
	v_min_u32_e32 v4, 32, v3
	v_mov_b32_e32 v3, v1
	v_subrev_nc_u32_e32 v116, 29, v4
	v_sub_nc_u32_e32 v4, 30, v4
	s_delay_alu instid0(VALU_DEP_2) | instskip(NEXT) | instid1(VALU_DEP_1)
	v_lshlrev_b64_e32 v[2:3], v116, v[2:3]
	v_and_b32_e32 v3, 3, v2
.LBB6_3073:                             ;   in Loop: Header=BB6_130 Depth=2
	s_or_b32 exec_lo, exec_lo, s41
	v_lshlrev_b32_e32 v2, 16, v20
	s_delay_alu instid0(VALU_DEP_1) | instskip(NEXT) | instid1(VALU_DEP_1)
	v_and_b32_e32 v2, 0x80000000, v2
	v_lshl_add_u32 v2, v4, 23, v2
	s_delay_alu instid0(VALU_DEP_1) | instskip(NEXT) | instid1(VALU_DEP_1)
	v_lshl_or_b32 v2, v3, 21, v2
                                        ; implicit-def: $vgpr3
	v_add_nc_u32_e32 v4, 0x38000000, v2
.LBB6_3074:                             ;   in Loop: Header=BB6_130 Depth=2
	s_and_not1_saveexec_b32 s41, s10
; %bb.3075:                             ;   in Loop: Header=BB6_130 Depth=2
	v_cmp_lt_i16_e64 s10, -1, v20
	v_mov_b32_e32 v2, 0x7f800000
	v_cmp_eq_u32_e32 vcc_lo, 0, v3
	s_delay_alu instid0(VALU_DEP_2) | instskip(NEXT) | instid1(VALU_DEP_1)
	v_cndmask_b32_e64 v2, 0xff800000, v2, s10
	v_cndmask_b32_e32 v4, 0x7f800001, v2, vcc_lo
; %bb.3076:                             ;   in Loop: Header=BB6_130 Depth=2
	s_or_b32 exec_lo, exec_lo, s41
.LBB6_3077:                             ;   in Loop: Header=BB6_130 Depth=2
	s_delay_alu instid0(SALU_CYCLE_1)
	s_or_b32 exec_lo, exec_lo, s40
.LBB6_3078:                             ;   in Loop: Header=BB6_130 Depth=2
	s_delay_alu instid0(SALU_CYCLE_1) | instskip(NEXT) | instid1(VALU_DEP_1)
	s_or_b32 exec_lo, exec_lo, s29
	v_add_f32_e32 v4, v5, v4
	v_dual_mov_b32 v63, v1 :: v_dual_mov_b32 v3, v1
                                        ; implicit-def: $vgpr116
	s_mov_b32 s10, exec_lo
	s_delay_alu instid0(VALU_DEP_2) | instskip(SKIP_2) | instid1(VALU_DEP_3)
	v_and_b32_e32 v62, 0x7f800000, v4
	v_and_b32_e32 v2, 0x7fffff, v4
	v_lshrrev_b32_e32 v5, 24, v4
	v_cmpx_ne_u64_e32 0x7f800000, v[62:63]
	s_xor_b32 s29, exec_lo, s10
	s_cbranch_execz .LBB6_3092
; %bb.3079:                             ;   in Loop: Header=BB6_130 Depth=2
	v_and_b32_e32 v62, 0x7fffffff, v4
	v_mov_b32_e32 v63, v1
	v_and_b32_e32 v119, 0x80, v5
                                        ; implicit-def: $vgpr116
	s_mov_b32 s10, exec_lo
	s_delay_alu instid0(VALU_DEP_2)
	v_cmpx_gt_u64_e32 0x47600001, v[62:63]
	s_xor_b32 s40, exec_lo, s10
	s_cbranch_execz .LBB6_3089
; %bb.3080:                             ;   in Loop: Header=BB6_130 Depth=2
	v_mov_b32_e32 v116, 0
	s_mov_b32 s41, exec_lo
	v_cmpx_ne_u32_e32 0, v4
	s_cbranch_execz .LBB6_3088
; %bb.3081:                             ;   in Loop: Header=BB6_130 Depth=2
	v_bfe_u32 v116, v4, 23, 8
	v_or_b32_e32 v5, 0x800000, v2
	s_delay_alu instid0(VALU_DEP_2) | instskip(SKIP_2) | instid1(VALU_DEP_2)
	v_cmp_gt_u32_e64 s10, 0x72, v116
	v_sub_nc_u32_e32 v4, 0x71, v116
	v_cmp_eq_u32_e32 vcc_lo, 0, v116
	v_dual_cndmask_b32 v4, 0, v4, s10 :: v_dual_cndmask_b32 v2, v5, v2, vcc_lo
	s_delay_alu instid0(VALU_DEP_1) | instskip(NEXT) | instid1(VALU_DEP_1)
	v_cndmask_b32_e64 v43, v4, 0x70, vcc_lo
	v_dual_add_nc_u32 v4, 21, v43 :: v_dual_add_nc_u32 v45, 20, v43
	s_delay_alu instid0(VALU_DEP_1) | instskip(NEXT) | instid1(VALU_DEP_2)
	v_lshlrev_b64_e64 v[4:5], v4, -1
	v_lshlrev_b64_e64 v[62:63], v45, 1
	s_delay_alu instid0(VALU_DEP_2) | instskip(SKIP_1) | instid1(VALU_DEP_4)
	v_bfi_b32 v4, v4, 0, v2
	v_lshrrev_b64 v[2:3], v43, v[2:3]
	v_bfi_b32 v5, v5, 0, 0
	s_delay_alu instid0(VALU_DEP_1) | instskip(NEXT) | instid1(VALU_DEP_3)
	v_cmp_eq_u64_e64 s10, v[4:5], v[62:63]
	v_mov_b64_e32 v[4:5], v[2:3]
	s_and_saveexec_b32 s42, s10
; %bb.3082:                             ;   in Loop: Header=BB6_130 Depth=2
	v_bfe_u32 v4, v2, 21, 1
	v_mov_b32_e32 v5, v1
	s_delay_alu instid0(VALU_DEP_1) | instskip(NEXT) | instid1(VALU_DEP_1)
	v_add_nc_u64_e32 v[4:5], v[2:3], v[4:5]
	v_add_nc_u64_e32 v[4:5], -1, v[4:5]
; %bb.3083:                             ;   in Loop: Header=BB6_130 Depth=2
	s_or_b32 exec_lo, exec_lo, s42
	v_add_nc_u32_e32 v3, 0xffffff81, v116
	v_lshrrev_b32_e32 v5, 23, v2
	s_mov_b32 s10, exec_lo
	s_delay_alu instid0(VALU_DEP_2) | instskip(NEXT) | instid1(VALU_DEP_1)
	v_cndmask_b32_e64 v3, v3, 0xffffff82, vcc_lo
	v_add3_u32 v116, v43, v3, v5
	v_and_b32_e32 v3, 0x1fffff, v4
                                        ; implicit-def: $vgpr4
	s_delay_alu instid0(VALU_DEP_1) | instskip(SKIP_1) | instid1(VALU_DEP_2)
	v_dual_add_nc_u32 v5, 14, v116 :: v_dual_add_nc_u32 v2, v3, v2
	v_mov_b32_e32 v3, v1
	v_cmpx_ne_u32_e32 0, v5
	s_xor_b32 s10, exec_lo, s10
; %bb.3084:                             ;   in Loop: Header=BB6_130 Depth=2
	s_delay_alu instid0(VALU_DEP_2) | instskip(SKIP_1) | instid1(VALU_DEP_1)
	v_cmp_lt_u64_e32 vcc_lo, 0xffffff, v[2:3]
	v_add_nc_u32_e32 v4, 15, v116
	v_cndmask_b32_e32 v4, v5, v4, vcc_lo
	v_cndmask_b32_e64 v5, 0, 1, vcc_lo
	s_delay_alu instid0(VALU_DEP_1)
	v_lshrrev_b64 v[2:3], v5, v[2:3]
; %bb.3085:                             ;   in Loop: Header=BB6_130 Depth=2
	s_and_not1_saveexec_b32 s10, s10
; %bb.3086:                             ;   in Loop: Header=BB6_130 Depth=2
	s_delay_alu instid0(VALU_DEP_1)
	v_bfe_u32 v4, v2, 23, 1
; %bb.3087:                             ;   in Loop: Header=BB6_130 Depth=2
	s_or_b32 exec_lo, exec_lo, s10
	s_delay_alu instid0(VALU_DEP_2) | instskip(NEXT) | instid1(VALU_DEP_2)
	v_lshrrev_b64 v[2:3], 21, v[2:3]
	v_cmp_gt_i32_e32 vcc_lo, 32, v4
	v_min_i32_e32 v5, 31, v4
	v_cmp_eq_u32_e64 s10, 0, v4
	s_delay_alu instid0(VALU_DEP_2) | instskip(SKIP_1) | instid1(VALU_DEP_2)
	v_dual_cndmask_b32 v3, 0, v3, vcc_lo :: v_dual_lshlrev_b32 v5, 2, v5
	v_cndmask_b32_e32 v2, 3, v2, vcc_lo
	v_and_b32_e32 v5, 0xfc, v5
	s_delay_alu instid0(VALU_DEP_2) | instskip(NEXT) | instid1(VALU_DEP_2)
	v_cmp_eq_u64_e32 vcc_lo, 0, v[2:3]
	v_and_or_b32 v2, v2, 3, v5
	s_and_b32 s10, s10, vcc_lo
	s_delay_alu instid0(VALU_DEP_1) | instid1(SALU_CYCLE_1)
	v_cndmask_b32_e64 v2, v2, 0, s10
	s_delay_alu instid0(VALU_DEP_1)
	v_or_b32_e32 v116, v2, v119
.LBB6_3088:                             ;   in Loop: Header=BB6_130 Depth=2
	s_or_b32 exec_lo, exec_lo, s41
                                        ; implicit-def: $vgpr119
.LBB6_3089:                             ;   in Loop: Header=BB6_130 Depth=2
	s_and_not1_saveexec_b32 s10, s40
; %bb.3090:                             ;   in Loop: Header=BB6_130 Depth=2
	v_or_b32_e32 v116, 0x7b, v119
; %bb.3091:                             ;   in Loop: Header=BB6_130 Depth=2
	s_or_b32 exec_lo, exec_lo, s10
                                        ; implicit-def: $vgpr4
                                        ; implicit-def: $vgpr2_vgpr3
                                        ; implicit-def: $vgpr5
.LBB6_3092:                             ;   in Loop: Header=BB6_130 Depth=2
	s_and_not1_saveexec_b32 s10, s29
	s_cbranch_execz .LBB6_3098
; %bb.3093:                             ;   in Loop: Header=BB6_130 Depth=2
	s_mov_b32 s29, exec_lo
                                        ; implicit-def: $vgpr116
	v_cmpx_ne_u64_e32 0, v[2:3]
	s_xor_b32 s29, exec_lo, s29
; %bb.3094:                             ;   in Loop: Header=BB6_130 Depth=2
	v_or_b32_e32 v116, 0x7f, v5
                                        ; implicit-def: $vgpr4
; %bb.3095:                             ;   in Loop: Header=BB6_130 Depth=2
	s_and_not1_saveexec_b32 s29, s29
; %bb.3096:                             ;   in Loop: Header=BB6_130 Depth=2
	v_cmp_lt_i32_e32 vcc_lo, -1, v4
	v_mov_b32_e32 v2, 0x7c
	s_delay_alu instid0(VALU_DEP_1)
	v_cndmask_b32_e32 v116, 0xfc, v2, vcc_lo
; %bb.3097:                             ;   in Loop: Header=BB6_130 Depth=2
	s_or_b32 exec_lo, exec_lo, s29
.LBB6_3098:                             ;   in Loop: Header=BB6_130 Depth=2
	s_delay_alu instid0(SALU_CYCLE_1) | instskip(SKIP_3) | instid1(VALU_DEP_2)
	s_or_b32 exec_lo, exec_lo, s10
	v_dual_mov_b32 v3, 0 :: v_dual_lshrrev_b32 v2, 16, v0
	v_mov_b32_e32 v4, 0
	s_mov_b32 s29, exec_lo
	v_and_b32_e32 v5, 0xff, v2
	s_delay_alu instid0(VALU_DEP_1)
	v_cmpx_ne_u16_e32 0, v5
	s_cbranch_execz .LBB6_3108
; %bb.3099:                             ;   in Loop: Header=BB6_130 Depth=2
	v_bfrev_b32_e32 v4, 1
	s_mov_b32 s40, exec_lo
	v_cmpx_ne_u16_e32 0x80, v5
	s_cbranch_execz .LBB6_3107
; %bb.3100:                             ;   in Loop: Header=BB6_130 Depth=2
	v_and_b32_e32 v4, 0x7c0000, v0
	v_bfe_u32 v5, v0, 16, 2
	s_delay_alu instid0(VALU_DEP_2) | instskip(SKIP_1) | instid1(SALU_CYCLE_1)
	v_cmp_ne_u32_e32 vcc_lo, 0x7c0000, v4
                                        ; implicit-def: $vgpr4
	s_and_saveexec_b32 s10, vcc_lo
	s_xor_b32 s10, exec_lo, s10
	s_cbranch_execz .LBB6_3104
; %bb.3101:                             ;   in Loop: Header=BB6_130 Depth=2
	v_bfe_u32 v4, v0, 18, 5
	s_mov_b32 s41, exec_lo
	s_delay_alu instid0(VALU_DEP_1)
	v_cmpx_eq_u32_e32 0, v4
; %bb.3102:                             ;   in Loop: Header=BB6_130 Depth=2
	v_clz_i32_u32_e32 v4, v5
	s_delay_alu instid0(VALU_DEP_1) | instskip(NEXT) | instid1(VALU_DEP_1)
	v_min_u32_e32 v4, 32, v4
	v_subrev_nc_u32_e32 v5, 29, v4
	s_delay_alu instid0(VALU_DEP_1) | instskip(NEXT) | instid1(VALU_DEP_1)
	v_lshlrev_b64_e32 v[62:63], v5, v[2:3]
	v_dual_sub_nc_u32 v4, 30, v4 :: v_dual_bitop2_b32 v5, 3, v62 bitop3:0x40
; %bb.3103:                             ;   in Loop: Header=BB6_130 Depth=2
	s_or_b32 exec_lo, exec_lo, s41
	v_lshlrev_b32_e32 v2, 24, v2
	s_delay_alu instid0(VALU_DEP_1) | instskip(NEXT) | instid1(VALU_DEP_1)
	v_and_b32_e32 v2, 0x80000000, v2
	v_lshl_add_u32 v2, v4, 23, v2
	s_delay_alu instid0(VALU_DEP_1) | instskip(NEXT) | instid1(VALU_DEP_1)
	v_lshl_or_b32 v2, v5, 21, v2
                                        ; implicit-def: $vgpr5
	v_add_nc_u32_e32 v4, 0x38000000, v2
                                        ; implicit-def: $vgpr2
.LBB6_3104:                             ;   in Loop: Header=BB6_130 Depth=2
	s_and_not1_saveexec_b32 s41, s10
; %bb.3105:                             ;   in Loop: Header=BB6_130 Depth=2
	v_bfe_i32 v2, v2, 0, 8
	v_cmp_eq_u32_e32 vcc_lo, 0, v5
	s_delay_alu instid0(VALU_DEP_2) | instskip(SKIP_1) | instid1(VALU_DEP_1)
	v_cmp_lt_i16_e64 s10, -1, v2
	v_mov_b32_e32 v2, 0x7f800000
	v_cndmask_b32_e64 v2, 0xff800000, v2, s10
	s_delay_alu instid0(VALU_DEP_1)
	v_cndmask_b32_e32 v4, 0x7f800001, v2, vcc_lo
; %bb.3106:                             ;   in Loop: Header=BB6_130 Depth=2
	s_or_b32 exec_lo, exec_lo, s41
.LBB6_3107:                             ;   in Loop: Header=BB6_130 Depth=2
	s_delay_alu instid0(SALU_CYCLE_1)
	s_or_b32 exec_lo, exec_lo, s40
.LBB6_3108:                             ;   in Loop: Header=BB6_130 Depth=2
	s_delay_alu instid0(SALU_CYCLE_1) | instskip(SKIP_2) | instid1(VALU_DEP_1)
	s_or_b32 exec_lo, exec_lo, s29
	v_lshrrev_b32_e32 v2, 16, v20
	s_mov_b32 s29, exec_lo
	v_and_b32_e32 v5, 0xff, v2
	s_delay_alu instid0(VALU_DEP_1)
	v_cmpx_ne_u16_e32 0, v5
	s_cbranch_execz .LBB6_3118
; %bb.3109:                             ;   in Loop: Header=BB6_130 Depth=2
	v_bfrev_b32_e32 v3, 1
	s_mov_b32 s40, exec_lo
	v_cmpx_ne_u16_e32 0x80, v5
	s_cbranch_execz .LBB6_3117
; %bb.3110:                             ;   in Loop: Header=BB6_130 Depth=2
	v_and_b32_e32 v3, 0x7c0000, v20
	v_bfe_u32 v5, v20, 16, 2
	s_delay_alu instid0(VALU_DEP_2) | instskip(SKIP_1) | instid1(SALU_CYCLE_1)
	v_cmp_ne_u32_e32 vcc_lo, 0x7c0000, v3
                                        ; implicit-def: $vgpr3
	s_and_saveexec_b32 s10, vcc_lo
	s_xor_b32 s10, exec_lo, s10
	s_cbranch_execz .LBB6_3114
; %bb.3111:                             ;   in Loop: Header=BB6_130 Depth=2
	v_bfe_u32 v3, v20, 18, 5
	s_mov_b32 s41, exec_lo
	s_delay_alu instid0(VALU_DEP_1)
	v_cmpx_eq_u32_e32 0, v3
; %bb.3112:                             ;   in Loop: Header=BB6_130 Depth=2
	v_clz_i32_u32_e32 v3, v5
	s_delay_alu instid0(VALU_DEP_1) | instskip(NEXT) | instid1(VALU_DEP_1)
	v_min_u32_e32 v3, 32, v3
	v_subrev_nc_u32_e32 v5, 29, v3
	s_delay_alu instid0(VALU_DEP_1) | instskip(NEXT) | instid1(VALU_DEP_1)
	v_lshlrev_b64_e32 v[62:63], v5, v[2:3]
	v_dual_sub_nc_u32 v3, 30, v3 :: v_dual_bitop2_b32 v5, 3, v62 bitop3:0x40
; %bb.3113:                             ;   in Loop: Header=BB6_130 Depth=2
	s_or_b32 exec_lo, exec_lo, s41
	v_lshlrev_b32_e32 v2, 24, v2
	s_delay_alu instid0(VALU_DEP_1) | instskip(NEXT) | instid1(VALU_DEP_1)
	v_and_b32_e32 v2, 0x80000000, v2
	v_lshl_add_u32 v2, v3, 23, v2
	s_delay_alu instid0(VALU_DEP_1) | instskip(NEXT) | instid1(VALU_DEP_1)
	v_lshl_or_b32 v2, v5, 21, v2
                                        ; implicit-def: $vgpr5
	v_add_nc_u32_e32 v3, 0x38000000, v2
                                        ; implicit-def: $vgpr2
.LBB6_3114:                             ;   in Loop: Header=BB6_130 Depth=2
	s_and_not1_saveexec_b32 s41, s10
; %bb.3115:                             ;   in Loop: Header=BB6_130 Depth=2
	v_bfe_i32 v2, v2, 0, 8
	v_cmp_eq_u32_e32 vcc_lo, 0, v5
	s_delay_alu instid0(VALU_DEP_2) | instskip(SKIP_1) | instid1(VALU_DEP_1)
	v_cmp_lt_i16_e64 s10, -1, v2
	v_mov_b32_e32 v2, 0x7f800000
	v_cndmask_b32_e64 v2, 0xff800000, v2, s10
	s_delay_alu instid0(VALU_DEP_1)
	v_cndmask_b32_e32 v3, 0x7f800001, v2, vcc_lo
; %bb.3116:                             ;   in Loop: Header=BB6_130 Depth=2
	s_or_b32 exec_lo, exec_lo, s41
.LBB6_3117:                             ;   in Loop: Header=BB6_130 Depth=2
	s_delay_alu instid0(SALU_CYCLE_1)
	s_or_b32 exec_lo, exec_lo, s40
.LBB6_3118:                             ;   in Loop: Header=BB6_130 Depth=2
	s_delay_alu instid0(SALU_CYCLE_1) | instskip(NEXT) | instid1(VALU_DEP_1)
	s_or_b32 exec_lo, exec_lo, s29
	v_dual_add_f32 v4, v4, v3 :: v_dual_mov_b32 v63, v1
	v_mov_b32_e32 v3, v1
                                        ; implicit-def: $vgpr119
	s_mov_b32 s10, exec_lo
	s_delay_alu instid0(VALU_DEP_2) | instskip(SKIP_2) | instid1(VALU_DEP_3)
	v_and_b32_e32 v62, 0x7f800000, v4
	v_and_b32_e32 v2, 0x7fffff, v4
	v_lshrrev_b32_e32 v5, 24, v4
	v_cmpx_ne_u64_e32 0x7f800000, v[62:63]
	s_xor_b32 s29, exec_lo, s10
	s_cbranch_execz .LBB6_3132
; %bb.3119:                             ;   in Loop: Header=BB6_130 Depth=2
	v_and_b32_e32 v62, 0x7fffffff, v4
	v_mov_b32_e32 v63, v1
	v_and_b32_e32 v43, 0x80, v5
                                        ; implicit-def: $vgpr119
	s_mov_b32 s10, exec_lo
	s_delay_alu instid0(VALU_DEP_2)
	v_cmpx_gt_u64_e32 0x47600001, v[62:63]
	s_xor_b32 s40, exec_lo, s10
	s_cbranch_execz .LBB6_3129
; %bb.3120:                             ;   in Loop: Header=BB6_130 Depth=2
	v_mov_b32_e32 v119, 0
	s_mov_b32 s41, exec_lo
	v_cmpx_ne_u32_e32 0, v4
	s_cbranch_execz .LBB6_3128
; %bb.3121:                             ;   in Loop: Header=BB6_130 Depth=2
	v_bfe_u32 v119, v4, 23, 8
	v_or_b32_e32 v5, 0x800000, v2
	s_delay_alu instid0(VALU_DEP_2) | instskip(SKIP_2) | instid1(VALU_DEP_2)
	v_cmp_gt_u32_e64 s10, 0x72, v119
	v_sub_nc_u32_e32 v4, 0x71, v119
	v_cmp_eq_u32_e32 vcc_lo, 0, v119
	v_dual_cndmask_b32 v4, 0, v4, s10 :: v_dual_cndmask_b32 v2, v5, v2, vcc_lo
	s_delay_alu instid0(VALU_DEP_1) | instskip(NEXT) | instid1(VALU_DEP_1)
	v_cndmask_b32_e64 v45, v4, 0x70, vcc_lo
	v_dual_add_nc_u32 v4, 21, v45 :: v_dual_add_nc_u32 v59, 20, v45
	s_delay_alu instid0(VALU_DEP_1) | instskip(NEXT) | instid1(VALU_DEP_2)
	v_lshlrev_b64_e64 v[4:5], v4, -1
	v_lshlrev_b64_e64 v[62:63], v59, 1
	s_delay_alu instid0(VALU_DEP_2) | instskip(SKIP_1) | instid1(VALU_DEP_4)
	v_bfi_b32 v4, v4, 0, v2
	v_lshrrev_b64 v[2:3], v45, v[2:3]
	v_bfi_b32 v5, v5, 0, 0
	s_delay_alu instid0(VALU_DEP_1) | instskip(NEXT) | instid1(VALU_DEP_3)
	v_cmp_eq_u64_e64 s10, v[4:5], v[62:63]
	v_mov_b64_e32 v[4:5], v[2:3]
	s_and_saveexec_b32 s42, s10
; %bb.3122:                             ;   in Loop: Header=BB6_130 Depth=2
	v_bfe_u32 v4, v2, 21, 1
	v_mov_b32_e32 v5, v1
	s_delay_alu instid0(VALU_DEP_1) | instskip(NEXT) | instid1(VALU_DEP_1)
	v_add_nc_u64_e32 v[4:5], v[2:3], v[4:5]
	v_add_nc_u64_e32 v[4:5], -1, v[4:5]
; %bb.3123:                             ;   in Loop: Header=BB6_130 Depth=2
	s_or_b32 exec_lo, exec_lo, s42
	v_add_nc_u32_e32 v3, 0xffffff81, v119
	v_lshrrev_b32_e32 v5, 23, v2
	s_mov_b32 s10, exec_lo
	s_delay_alu instid0(VALU_DEP_2) | instskip(NEXT) | instid1(VALU_DEP_1)
	v_cndmask_b32_e64 v3, v3, 0xffffff82, vcc_lo
	v_add3_u32 v119, v45, v3, v5
	v_and_b32_e32 v3, 0x1fffff, v4
                                        ; implicit-def: $vgpr4
	s_delay_alu instid0(VALU_DEP_1) | instskip(SKIP_1) | instid1(VALU_DEP_2)
	v_dual_add_nc_u32 v5, 14, v119 :: v_dual_add_nc_u32 v2, v3, v2
	v_mov_b32_e32 v3, v1
	v_cmpx_ne_u32_e32 0, v5
	s_xor_b32 s10, exec_lo, s10
; %bb.3124:                             ;   in Loop: Header=BB6_130 Depth=2
	s_delay_alu instid0(VALU_DEP_2) | instskip(SKIP_1) | instid1(VALU_DEP_1)
	v_cmp_lt_u64_e32 vcc_lo, 0xffffff, v[2:3]
	v_add_nc_u32_e32 v4, 15, v119
	v_cndmask_b32_e32 v4, v5, v4, vcc_lo
	v_cndmask_b32_e64 v5, 0, 1, vcc_lo
	s_delay_alu instid0(VALU_DEP_1)
	v_lshrrev_b64 v[2:3], v5, v[2:3]
; %bb.3125:                             ;   in Loop: Header=BB6_130 Depth=2
	s_and_not1_saveexec_b32 s10, s10
; %bb.3126:                             ;   in Loop: Header=BB6_130 Depth=2
	s_delay_alu instid0(VALU_DEP_1)
	v_bfe_u32 v4, v2, 23, 1
; %bb.3127:                             ;   in Loop: Header=BB6_130 Depth=2
	s_or_b32 exec_lo, exec_lo, s10
	s_delay_alu instid0(VALU_DEP_2) | instskip(NEXT) | instid1(VALU_DEP_2)
	v_lshrrev_b64 v[2:3], 21, v[2:3]
	v_cmp_gt_i32_e32 vcc_lo, 32, v4
	v_min_i32_e32 v5, 31, v4
	v_cmp_eq_u32_e64 s10, 0, v4
	s_delay_alu instid0(VALU_DEP_2) | instskip(SKIP_1) | instid1(VALU_DEP_2)
	v_dual_cndmask_b32 v3, 0, v3, vcc_lo :: v_dual_lshlrev_b32 v5, 2, v5
	v_cndmask_b32_e32 v2, 3, v2, vcc_lo
	v_and_b32_e32 v5, 0xfc, v5
	s_delay_alu instid0(VALU_DEP_2) | instskip(NEXT) | instid1(VALU_DEP_2)
	v_cmp_eq_u64_e32 vcc_lo, 0, v[2:3]
	v_and_or_b32 v2, v2, 3, v5
	s_and_b32 s10, s10, vcc_lo
	s_delay_alu instid0(VALU_DEP_1) | instid1(SALU_CYCLE_1)
	v_cndmask_b32_e64 v2, v2, 0, s10
	s_delay_alu instid0(VALU_DEP_1)
	v_or_b32_e32 v119, v2, v43
.LBB6_3128:                             ;   in Loop: Header=BB6_130 Depth=2
	s_or_b32 exec_lo, exec_lo, s41
                                        ; implicit-def: $vgpr43
.LBB6_3129:                             ;   in Loop: Header=BB6_130 Depth=2
	s_and_not1_saveexec_b32 s10, s40
; %bb.3130:                             ;   in Loop: Header=BB6_130 Depth=2
	v_or_b32_e32 v119, 0x7b, v43
; %bb.3131:                             ;   in Loop: Header=BB6_130 Depth=2
	s_or_b32 exec_lo, exec_lo, s10
                                        ; implicit-def: $vgpr4
                                        ; implicit-def: $vgpr2_vgpr3
                                        ; implicit-def: $vgpr5
.LBB6_3132:                             ;   in Loop: Header=BB6_130 Depth=2
	s_and_not1_saveexec_b32 s10, s29
	s_cbranch_execz .LBB6_3138
; %bb.3133:                             ;   in Loop: Header=BB6_130 Depth=2
	s_mov_b32 s29, exec_lo
                                        ; implicit-def: $vgpr119
	v_cmpx_ne_u64_e32 0, v[2:3]
	s_xor_b32 s29, exec_lo, s29
; %bb.3134:                             ;   in Loop: Header=BB6_130 Depth=2
	v_or_b32_e32 v119, 0x7f, v5
                                        ; implicit-def: $vgpr4
; %bb.3135:                             ;   in Loop: Header=BB6_130 Depth=2
	s_and_not1_saveexec_b32 s29, s29
; %bb.3136:                             ;   in Loop: Header=BB6_130 Depth=2
	v_cmp_lt_i32_e32 vcc_lo, -1, v4
	v_mov_b32_e32 v2, 0x7c
	s_delay_alu instid0(VALU_DEP_1)
	v_cndmask_b32_e32 v119, 0xfc, v2, vcc_lo
; %bb.3137:                             ;   in Loop: Header=BB6_130 Depth=2
	s_or_b32 exec_lo, exec_lo, s29
.LBB6_3138:                             ;   in Loop: Header=BB6_130 Depth=2
	s_delay_alu instid0(SALU_CYCLE_1)
	s_or_b32 exec_lo, exec_lo, s10
	v_dual_mov_b32 v3, 0 :: v_dual_mov_b32 v4, 0
	s_mov_b32 s29, exec_lo
	v_cmpx_lt_u32_e32 0xffffff, v0
	s_cbranch_execz .LBB6_3148
; %bb.3139:                             ;   in Loop: Header=BB6_130 Depth=2
	v_lshrrev_b32_e32 v2, 24, v0
	v_bfrev_b32_e32 v4, 1
	s_mov_b32 s40, exec_lo
	s_delay_alu instid0(VALU_DEP_2)
	v_cmpx_ne_u32_e32 0x80, v2
	s_cbranch_execz .LBB6_3147
; %bb.3140:                             ;   in Loop: Header=BB6_130 Depth=2
	v_and_b32_e32 v4, 0x7c000000, v0
	v_bfe_u32 v5, v0, 24, 2
	s_delay_alu instid0(VALU_DEP_2) | instskip(SKIP_1) | instid1(SALU_CYCLE_1)
	v_cmp_ne_u32_e32 vcc_lo, 0x7c000000, v4
                                        ; implicit-def: $vgpr4
	s_and_saveexec_b32 s10, vcc_lo
	s_xor_b32 s10, exec_lo, s10
	s_cbranch_execz .LBB6_3144
; %bb.3141:                             ;   in Loop: Header=BB6_130 Depth=2
	v_bfe_u32 v4, v0, 26, 5
	s_mov_b32 s41, exec_lo
	s_delay_alu instid0(VALU_DEP_1)
	v_cmpx_eq_u32_e32 0, v4
; %bb.3142:                             ;   in Loop: Header=BB6_130 Depth=2
	v_clz_i32_u32_e32 v4, v5
	s_delay_alu instid0(VALU_DEP_1) | instskip(NEXT) | instid1(VALU_DEP_1)
	v_min_u32_e32 v4, 32, v4
	v_subrev_nc_u32_e32 v5, 29, v4
	s_delay_alu instid0(VALU_DEP_1) | instskip(NEXT) | instid1(VALU_DEP_1)
	v_lshlrev_b64_e32 v[62:63], v5, v[2:3]
	v_dual_sub_nc_u32 v4, 30, v4 :: v_dual_bitop2_b32 v5, 3, v62 bitop3:0x40
; %bb.3143:                             ;   in Loop: Header=BB6_130 Depth=2
	s_or_b32 exec_lo, exec_lo, s41
	v_and_b32_e32 v0, 0x80000000, v0
	s_delay_alu instid0(VALU_DEP_1) | instskip(NEXT) | instid1(VALU_DEP_1)
	v_lshl_add_u32 v0, v4, 23, v0
	v_lshl_or_b32 v0, v5, 21, v0
                                        ; implicit-def: $vgpr5
	s_delay_alu instid0(VALU_DEP_1)
	v_add_nc_u32_e32 v4, 0x38000000, v0
.LBB6_3144:                             ;   in Loop: Header=BB6_130 Depth=2
	s_and_not1_saveexec_b32 s41, s10
; %bb.3145:                             ;   in Loop: Header=BB6_130 Depth=2
	v_cmp_lt_i32_e64 s10, -1, v0
	v_mov_b32_e32 v0, 0x7f800000
	v_cmp_eq_u32_e32 vcc_lo, 0, v5
	s_delay_alu instid0(VALU_DEP_2) | instskip(NEXT) | instid1(VALU_DEP_1)
	v_cndmask_b32_e64 v0, 0xff800000, v0, s10
	v_cndmask_b32_e32 v4, 0x7f800001, v0, vcc_lo
; %bb.3146:                             ;   in Loop: Header=BB6_130 Depth=2
	s_or_b32 exec_lo, exec_lo, s41
.LBB6_3147:                             ;   in Loop: Header=BB6_130 Depth=2
	s_delay_alu instid0(SALU_CYCLE_1)
	s_or_b32 exec_lo, exec_lo, s40
.LBB6_3148:                             ;   in Loop: Header=BB6_130 Depth=2
	s_delay_alu instid0(SALU_CYCLE_1) | instskip(NEXT) | instid1(SALU_CYCLE_1)
	s_or_b32 exec_lo, exec_lo, s29
	s_mov_b32 s29, exec_lo
	v_cmpx_lt_u32_e32 0xffffff, v20
	s_cbranch_execz .LBB6_3158
; %bb.3149:                             ;   in Loop: Header=BB6_130 Depth=2
	v_lshrrev_b32_e32 v0, 24, v20
	v_bfrev_b32_e32 v3, 1
	s_mov_b32 s40, exec_lo
	s_delay_alu instid0(VALU_DEP_2)
	v_cmpx_ne_u32_e32 0x80, v0
	s_cbranch_execz .LBB6_3157
; %bb.3150:                             ;   in Loop: Header=BB6_130 Depth=2
	v_and_b32_e32 v3, 0x7c000000, v20
	v_bfe_u32 v2, v20, 24, 2
	s_delay_alu instid0(VALU_DEP_2) | instskip(SKIP_1) | instid1(SALU_CYCLE_1)
	v_cmp_ne_u32_e32 vcc_lo, 0x7c000000, v3
                                        ; implicit-def: $vgpr3
	s_and_saveexec_b32 s10, vcc_lo
	s_xor_b32 s10, exec_lo, s10
	s_cbranch_execz .LBB6_3154
; %bb.3151:                             ;   in Loop: Header=BB6_130 Depth=2
	v_bfe_u32 v3, v20, 26, 5
	s_mov_b32 s41, exec_lo
	s_delay_alu instid0(VALU_DEP_1)
	v_cmpx_eq_u32_e32 0, v3
; %bb.3152:                             ;   in Loop: Header=BB6_130 Depth=2
	v_clz_i32_u32_e32 v2, v2
	s_delay_alu instid0(VALU_DEP_1) | instskip(NEXT) | instid1(VALU_DEP_1)
	v_min_u32_e32 v5, 32, v2
	v_subrev_nc_u32_e32 v2, 29, v5
	s_delay_alu instid0(VALU_DEP_1) | instskip(NEXT) | instid1(VALU_DEP_1)
	v_lshlrev_b64_e32 v[2:3], v2, v[0:1]
	v_dual_sub_nc_u32 v3, 30, v5 :: v_dual_bitop2_b32 v2, 3, v2 bitop3:0x40
; %bb.3153:                             ;   in Loop: Header=BB6_130 Depth=2
	s_or_b32 exec_lo, exec_lo, s41
	v_and_b32_e32 v0, 0x80000000, v20
	s_delay_alu instid0(VALU_DEP_1) | instskip(NEXT) | instid1(VALU_DEP_1)
	v_lshl_add_u32 v0, v3, 23, v0
	v_lshl_or_b32 v0, v2, 21, v0
                                        ; implicit-def: $vgpr2
	s_delay_alu instid0(VALU_DEP_1)
	v_add_nc_u32_e32 v3, 0x38000000, v0
.LBB6_3154:                             ;   in Loop: Header=BB6_130 Depth=2
	s_and_not1_saveexec_b32 s41, s10
; %bb.3155:                             ;   in Loop: Header=BB6_130 Depth=2
	v_cmp_lt_i32_e64 s10, -1, v20
	v_mov_b32_e32 v0, 0x7f800000
	v_cmp_eq_u32_e32 vcc_lo, 0, v2
	s_delay_alu instid0(VALU_DEP_2) | instskip(NEXT) | instid1(VALU_DEP_1)
	v_cndmask_b32_e64 v0, 0xff800000, v0, s10
	v_cndmask_b32_e32 v3, 0x7f800001, v0, vcc_lo
; %bb.3156:                             ;   in Loop: Header=BB6_130 Depth=2
	s_or_b32 exec_lo, exec_lo, s41
.LBB6_3157:                             ;   in Loop: Header=BB6_130 Depth=2
	s_delay_alu instid0(SALU_CYCLE_1)
	s_or_b32 exec_lo, exec_lo, s40
.LBB6_3158:                             ;   in Loop: Header=BB6_130 Depth=2
	s_delay_alu instid0(SALU_CYCLE_1) | instskip(NEXT) | instid1(VALU_DEP_1)
	s_or_b32 exec_lo, exec_lo, s29
	v_dual_add_f32 v2, v4, v3 :: v_dual_mov_b32 v5, v1
                                        ; implicit-def: $vgpr43
	s_mov_b32 s10, exec_lo
	s_delay_alu instid0(VALU_DEP_1) | instskip(SKIP_2) | instid1(VALU_DEP_3)
	v_and_b32_e32 v4, 0x7f800000, v2
	v_and_b32_e32 v0, 0x7fffff, v2
	v_lshrrev_b32_e32 v3, 24, v2
	v_cmpx_ne_u64_e32 0x7f800000, v[4:5]
	s_xor_b32 s29, exec_lo, s10
	s_cbranch_execz .LBB6_3172
; %bb.3159:                             ;   in Loop: Header=BB6_130 Depth=2
	v_and_b32_e32 v4, 0x7fffffff, v2
	v_mov_b32_e32 v5, v1
	v_and_b32_e32 v45, 0x80, v3
                                        ; implicit-def: $vgpr43
	s_mov_b32 s10, exec_lo
	s_delay_alu instid0(VALU_DEP_2)
	v_cmpx_gt_u64_e32 0x47600001, v[4:5]
	s_xor_b32 s40, exec_lo, s10
	s_cbranch_execz .LBB6_3169
; %bb.3160:                             ;   in Loop: Header=BB6_130 Depth=2
	v_mov_b32_e32 v43, 0
	s_mov_b32 s41, exec_lo
	v_cmpx_ne_u32_e32 0, v2
	s_cbranch_execz .LBB6_3168
; %bb.3161:                             ;   in Loop: Header=BB6_130 Depth=2
	v_bfe_u32 v43, v2, 23, 8
	v_or_b32_e32 v3, 0x800000, v0
	s_delay_alu instid0(VALU_DEP_2) | instskip(SKIP_2) | instid1(VALU_DEP_2)
	v_cmp_gt_u32_e64 s10, 0x72, v43
	v_sub_nc_u32_e32 v2, 0x71, v43
	v_cmp_eq_u32_e32 vcc_lo, 0, v43
	v_cndmask_b32_e64 v2, 0, v2, s10
	s_delay_alu instid0(VALU_DEP_1) | instskip(SKIP_1) | instid1(VALU_DEP_2)
	v_cndmask_b32_e64 v59, v2, 0x70, vcc_lo
	v_dual_cndmask_b32 v2, v3, v0 :: v_dual_mov_b32 v3, v1
	v_add_nc_u32_e32 v0, 21, v59
	s_delay_alu instid0(VALU_DEP_1) | instskip(SKIP_1) | instid1(VALU_DEP_1)
	v_lshlrev_b64_e64 v[4:5], v0, -1
	v_add_nc_u32_e32 v0, 20, v59
	v_lshlrev_b64_e64 v[62:63], v0, 1
	s_delay_alu instid0(VALU_DEP_3) | instskip(SKIP_2) | instid1(VALU_DEP_1)
	v_bfi_b32 v4, v4, 0, v2
	v_lshrrev_b64 v[2:3], v59, v[2:3]
	v_bfi_b32 v5, v5, 0, 0
	v_cmp_eq_u64_e64 s10, v[4:5], v[62:63]
	s_delay_alu instid0(VALU_DEP_3)
	v_mov_b64_e32 v[4:5], v[2:3]
	s_and_saveexec_b32 s42, s10
; %bb.3162:                             ;   in Loop: Header=BB6_130 Depth=2
	v_bfe_u32 v4, v2, 21, 1
	v_mov_b32_e32 v5, v1
	s_delay_alu instid0(VALU_DEP_1) | instskip(NEXT) | instid1(VALU_DEP_1)
	v_add_nc_u64_e32 v[4:5], v[2:3], v[4:5]
	v_add_nc_u64_e32 v[4:5], -1, v[4:5]
; %bb.3163:                             ;   in Loop: Header=BB6_130 Depth=2
	s_or_b32 exec_lo, exec_lo, s42
	v_add_nc_u32_e32 v0, 0xffffff81, v43
	s_delay_alu instid0(VALU_DEP_2) | instskip(SKIP_2) | instid1(VALU_DEP_3)
	v_and_b32_e32 v4, 0x1fffff, v4
	v_lshrrev_b32_e32 v3, 23, v2
	s_mov_b32 s10, exec_lo
	v_cndmask_b32_e64 v0, v0, 0xffffff82, vcc_lo
	s_delay_alu instid0(VALU_DEP_1) | instskip(SKIP_1) | instid1(VALU_DEP_2)
	v_add3_u32 v43, v59, v0, v3
	v_add_nc_u32_e32 v0, v4, v2
                                        ; implicit-def: $vgpr2_vgpr3
                                        ; implicit-def: $vgpr4
	v_add_nc_u32_e32 v5, 14, v43
	s_delay_alu instid0(VALU_DEP_1)
	v_cmpx_ne_u32_e32 0, v5
	s_xor_b32 s10, exec_lo, s10
; %bb.3164:                             ;   in Loop: Header=BB6_130 Depth=2
	s_delay_alu instid0(VALU_DEP_3) | instskip(SKIP_1) | instid1(VALU_DEP_1)
	v_cmp_lt_u64_e32 vcc_lo, 0xffffff, v[0:1]
	v_add_nc_u32_e32 v2, 15, v43
	v_cndmask_b32_e32 v4, v5, v2, vcc_lo
	v_cndmask_b32_e64 v2, 0, 1, vcc_lo
	s_delay_alu instid0(VALU_DEP_1)
	v_lshrrev_b64 v[2:3], v2, v[0:1]
; %bb.3165:                             ;   in Loop: Header=BB6_130 Depth=2
	s_and_not1_saveexec_b32 s10, s10
; %bb.3166:                             ;   in Loop: Header=BB6_130 Depth=2
	v_mov_b64_e32 v[2:3], v[0:1]
	v_bfe_u32 v4, v0, 23, 1
; %bb.3167:                             ;   in Loop: Header=BB6_130 Depth=2
	s_or_b32 exec_lo, exec_lo, s10
	s_delay_alu instid0(VALU_DEP_2) | instskip(NEXT) | instid1(VALU_DEP_2)
	v_lshrrev_b64 v[2:3], 21, v[2:3]
	v_cmp_gt_i32_e32 vcc_lo, 32, v4
	v_min_i32_e32 v0, 31, v4
	v_cmp_eq_u32_e64 s10, 0, v4
	s_delay_alu instid0(VALU_DEP_2) | instskip(SKIP_1) | instid1(VALU_DEP_2)
	v_dual_cndmask_b32 v3, 0, v3 :: v_dual_lshlrev_b32 v0, 2, v0
	v_cndmask_b32_e32 v2, 3, v2, vcc_lo
	v_and_b32_e32 v0, 0xfc, v0
	s_delay_alu instid0(VALU_DEP_2) | instskip(NEXT) | instid1(VALU_DEP_2)
	v_cmp_eq_u64_e32 vcc_lo, 0, v[2:3]
	v_and_or_b32 v0, v2, 3, v0
	s_and_b32 s10, s10, vcc_lo
	s_delay_alu instid0(VALU_DEP_1) | instid1(SALU_CYCLE_1)
	v_cndmask_b32_e64 v0, v0, 0, s10
	s_delay_alu instid0(VALU_DEP_1)
	v_or_b32_e32 v43, v0, v45
.LBB6_3168:                             ;   in Loop: Header=BB6_130 Depth=2
	s_or_b32 exec_lo, exec_lo, s41
                                        ; implicit-def: $vgpr45
.LBB6_3169:                             ;   in Loop: Header=BB6_130 Depth=2
	s_and_not1_saveexec_b32 s10, s40
; %bb.3170:                             ;   in Loop: Header=BB6_130 Depth=2
	v_or_b32_e32 v43, 0x7b, v45
; %bb.3171:                             ;   in Loop: Header=BB6_130 Depth=2
	s_or_b32 exec_lo, exec_lo, s10
                                        ; implicit-def: $vgpr2
                                        ; implicit-def: $vgpr3
.LBB6_3172:                             ;   in Loop: Header=BB6_130 Depth=2
	s_and_not1_saveexec_b32 s10, s29
	s_cbranch_execz .LBB6_3178
; %bb.3173:                             ;   in Loop: Header=BB6_130 Depth=2
	s_mov_b32 s29, exec_lo
                                        ; implicit-def: $vgpr43
	v_cmpx_ne_u64_e32 0, v[0:1]
	s_xor_b32 s29, exec_lo, s29
; %bb.3174:                             ;   in Loop: Header=BB6_130 Depth=2
	v_or_b32_e32 v43, 0x7f, v3
                                        ; implicit-def: $vgpr2
; %bb.3175:                             ;   in Loop: Header=BB6_130 Depth=2
	s_and_not1_saveexec_b32 s29, s29
; %bb.3176:                             ;   in Loop: Header=BB6_130 Depth=2
	v_cmp_lt_i32_e32 vcc_lo, -1, v2
	v_mov_b32_e32 v0, 0x7c
	s_delay_alu instid0(VALU_DEP_1)
	v_cndmask_b32_e32 v43, 0xfc, v0, vcc_lo
; %bb.3177:                             ;   in Loop: Header=BB6_130 Depth=2
	s_or_b32 exec_lo, exec_lo, s29
.LBB6_3178:                             ;   in Loop: Header=BB6_130 Depth=2
	s_delay_alu instid0(SALU_CYCLE_1) | instskip(SKIP_4) | instid1(VALU_DEP_2)
	s_or_b32 exec_lo, exec_lo, s10
	v_dual_lshlrev_b32 v0, 24, v40 :: v_dual_lshlrev_b32 v2, 16, v117
	v_lshl_or_b32 v96, v96, 8, v85
	v_mov_b32_e32 v3, 0
	s_mov_b32 s29, exec_lo
	v_or3_b32 v0, v2, v0, v96
	v_mov_b32_e32 v2, 0
	v_cmpx_ne_u32_e32 0, v85
	s_cbranch_execz .LBB6_3188
; %bb.3179:                             ;   in Loop: Header=BB6_130 Depth=2
	v_bfrev_b32_e32 v2, 1
	s_mov_b32 s40, exec_lo
	v_cmpx_ne_u32_e32 0x80, v85
	s_cbranch_execz .LBB6_3187
; %bb.3180:                             ;   in Loop: Header=BB6_130 Depth=2
	v_and_b32_e32 v2, 0x7c, v85
	v_and_b32_e32 v4, 3, v85
	s_delay_alu instid0(VALU_DEP_2) | instskip(SKIP_1) | instid1(SALU_CYCLE_1)
	v_cmp_ne_u32_e32 vcc_lo, 0x7c, v2
                                        ; implicit-def: $vgpr2
	s_and_saveexec_b32 s10, vcc_lo
	s_xor_b32 s10, exec_lo, s10
	s_cbranch_execz .LBB6_3184
; %bb.3181:                             ;   in Loop: Header=BB6_130 Depth=2
	v_bfe_u32 v2, v85, 2, 5
	s_mov_b32 s41, exec_lo
	s_delay_alu instid0(VALU_DEP_1)
	v_cmpx_eq_u32_e32 0, v2
; %bb.3182:                             ;   in Loop: Header=BB6_130 Depth=2
	v_clz_i32_u32_e32 v2, v4
	s_delay_alu instid0(VALU_DEP_1) | instskip(NEXT) | instid1(VALU_DEP_1)
	v_min_u32_e32 v2, 32, v2
	v_subrev_nc_u32_e32 v4, 29, v2
	s_delay_alu instid0(VALU_DEP_1) | instskip(NEXT) | instid1(VALU_DEP_1)
	v_lshlrev_b64_e32 v[4:5], v4, v[0:1]
	v_dual_sub_nc_u32 v2, 30, v2 :: v_dual_bitop2_b32 v4, 3, v4 bitop3:0x40
; %bb.3183:                             ;   in Loop: Header=BB6_130 Depth=2
	s_or_b32 exec_lo, exec_lo, s41
	v_lshlrev_b32_e32 v5, 24, v85
                                        ; implicit-def: $vgpr85
	s_delay_alu instid0(VALU_DEP_1) | instskip(NEXT) | instid1(VALU_DEP_1)
	v_and_b32_e32 v5, 0x80000000, v5
	v_lshl_add_u32 v2, v2, 23, v5
	s_delay_alu instid0(VALU_DEP_1) | instskip(NEXT) | instid1(VALU_DEP_1)
	v_lshl_or_b32 v2, v4, 21, v2
                                        ; implicit-def: $vgpr4
	v_add_nc_u32_e32 v2, 0x38000000, v2
.LBB6_3184:                             ;   in Loop: Header=BB6_130 Depth=2
	s_and_not1_saveexec_b32 s41, s10
; %bb.3185:                             ;   in Loop: Header=BB6_130 Depth=2
	v_and_b32_e32 v2, 0x80, v85
	v_cmp_eq_u32_e32 vcc_lo, 0, v4
	s_delay_alu instid0(VALU_DEP_2) | instskip(SKIP_1) | instid1(VALU_DEP_1)
	v_cmp_eq_u32_e64 s10, 0, v2
	v_mov_b32_e32 v2, 0x7f800000
	v_cndmask_b32_e64 v2, 0xff800000, v2, s10
	s_delay_alu instid0(VALU_DEP_1)
	v_cndmask_b32_e32 v2, 0x7f800001, v2, vcc_lo
; %bb.3186:                             ;   in Loop: Header=BB6_130 Depth=2
	s_or_b32 exec_lo, exec_lo, s41
.LBB6_3187:                             ;   in Loop: Header=BB6_130 Depth=2
	s_delay_alu instid0(SALU_CYCLE_1)
	s_or_b32 exec_lo, exec_lo, s40
.LBB6_3188:                             ;   in Loop: Header=BB6_130 Depth=2
	s_delay_alu instid0(SALU_CYCLE_1) | instskip(SKIP_2) | instid1(VALU_DEP_1)
	s_or_b32 exec_lo, exec_lo, s29
	v_and_b32_e32 v4, 0xff, v21
	s_mov_b32 s29, exec_lo
	v_cmpx_ne_u16_e32 0, v4
	s_cbranch_execz .LBB6_3198
; %bb.3189:                             ;   in Loop: Header=BB6_130 Depth=2
	v_bfrev_b32_e32 v3, 1
	s_mov_b32 s40, exec_lo
	v_cmpx_ne_u16_e32 0x80, v4
	s_cbranch_execz .LBB6_3197
; %bb.3190:                             ;   in Loop: Header=BB6_130 Depth=2
	v_and_b32_e32 v3, 0x7c, v21
	v_and_b32_e32 v4, 3, v21
	s_delay_alu instid0(VALU_DEP_2) | instskip(SKIP_1) | instid1(SALU_CYCLE_1)
	v_cmp_ne_u32_e32 vcc_lo, 0x7c, v3
                                        ; implicit-def: $vgpr3
	s_and_saveexec_b32 s10, vcc_lo
	s_xor_b32 s10, exec_lo, s10
	s_cbranch_execz .LBB6_3194
; %bb.3191:                             ;   in Loop: Header=BB6_130 Depth=2
	v_bfe_u32 v3, v21, 2, 5
	s_mov_b32 s41, exec_lo
	s_delay_alu instid0(VALU_DEP_1)
	v_cmpx_eq_u32_e32 0, v3
; %bb.3192:                             ;   in Loop: Header=BB6_130 Depth=2
	v_clz_i32_u32_e32 v3, v4
	v_dual_mov_b32 v4, v21 :: v_dual_mov_b32 v5, v1
	s_delay_alu instid0(VALU_DEP_2) | instskip(NEXT) | instid1(VALU_DEP_1)
	v_min_u32_e32 v3, 32, v3
	v_subrev_nc_u32_e32 v85, 29, v3
	s_delay_alu instid0(VALU_DEP_1) | instskip(NEXT) | instid1(VALU_DEP_1)
	v_lshlrev_b64_e32 v[4:5], v85, v[4:5]
	v_dual_sub_nc_u32 v3, 30, v3 :: v_dual_bitop2_b32 v4, 3, v4 bitop3:0x40
; %bb.3193:                             ;   in Loop: Header=BB6_130 Depth=2
	s_or_b32 exec_lo, exec_lo, s41
	v_lshlrev_b32_e32 v5, 24, v21
	s_delay_alu instid0(VALU_DEP_1) | instskip(NEXT) | instid1(VALU_DEP_1)
	v_and_b32_e32 v5, 0x80000000, v5
	v_lshl_add_u32 v3, v3, 23, v5
	s_delay_alu instid0(VALU_DEP_1) | instskip(NEXT) | instid1(VALU_DEP_1)
	v_lshl_or_b32 v3, v4, 21, v3
                                        ; implicit-def: $vgpr4
	v_add_nc_u32_e32 v3, 0x38000000, v3
.LBB6_3194:                             ;   in Loop: Header=BB6_130 Depth=2
	s_and_not1_saveexec_b32 s41, s10
; %bb.3195:                             ;   in Loop: Header=BB6_130 Depth=2
	v_bfe_i32 v3, v21, 0, 8
	v_cmp_eq_u32_e32 vcc_lo, 0, v4
	s_delay_alu instid0(VALU_DEP_2) | instskip(SKIP_1) | instid1(VALU_DEP_1)
	v_cmp_lt_i16_e64 s10, -1, v3
	v_mov_b32_e32 v3, 0x7f800000
	v_cndmask_b32_e64 v3, 0xff800000, v3, s10
	s_delay_alu instid0(VALU_DEP_1)
	v_cndmask_b32_e32 v3, 0x7f800001, v3, vcc_lo
; %bb.3196:                             ;   in Loop: Header=BB6_130 Depth=2
	s_or_b32 exec_lo, exec_lo, s41
.LBB6_3197:                             ;   in Loop: Header=BB6_130 Depth=2
	s_delay_alu instid0(SALU_CYCLE_1)
	s_or_b32 exec_lo, exec_lo, s40
.LBB6_3198:                             ;   in Loop: Header=BB6_130 Depth=2
	s_delay_alu instid0(SALU_CYCLE_1) | instskip(NEXT) | instid1(VALU_DEP_1)
	s_or_b32 exec_lo, exec_lo, s29
	v_dual_add_f32 v4, v2, v3 :: v_dual_mov_b32 v63, v1
	v_mov_b32_e32 v3, v1
                                        ; implicit-def: $vgpr85
	s_mov_b32 s10, exec_lo
	s_delay_alu instid0(VALU_DEP_2) | instskip(SKIP_2) | instid1(VALU_DEP_3)
	v_and_b32_e32 v62, 0x7f800000, v4
	v_and_b32_e32 v2, 0x7fffff, v4
	v_lshrrev_b32_e32 v5, 24, v4
	v_cmpx_ne_u64_e32 0x7f800000, v[62:63]
	s_xor_b32 s29, exec_lo, s10
	s_cbranch_execz .LBB6_3212
; %bb.3199:                             ;   in Loop: Header=BB6_130 Depth=2
	v_and_b32_e32 v62, 0x7fffffff, v4
	v_mov_b32_e32 v63, v1
	v_and_b32_e32 v117, 0x80, v5
                                        ; implicit-def: $vgpr85
	s_mov_b32 s10, exec_lo
	s_delay_alu instid0(VALU_DEP_2)
	v_cmpx_gt_u64_e32 0x47600001, v[62:63]
	s_xor_b32 s40, exec_lo, s10
	s_cbranch_execz .LBB6_3209
; %bb.3200:                             ;   in Loop: Header=BB6_130 Depth=2
	v_mov_b32_e32 v85, 0
	s_mov_b32 s41, exec_lo
	v_cmpx_ne_u32_e32 0, v4
	s_cbranch_execz .LBB6_3208
; %bb.3201:                             ;   in Loop: Header=BB6_130 Depth=2
	v_bfe_u32 v85, v4, 23, 8
	v_or_b32_e32 v5, 0x800000, v2
	s_delay_alu instid0(VALU_DEP_2) | instskip(SKIP_2) | instid1(VALU_DEP_2)
	v_cmp_gt_u32_e64 s10, 0x72, v85
	v_sub_nc_u32_e32 v4, 0x71, v85
	v_cmp_eq_u32_e32 vcc_lo, 0, v85
	v_dual_cndmask_b32 v4, 0, v4, s10 :: v_dual_cndmask_b32 v2, v5, v2, vcc_lo
	s_delay_alu instid0(VALU_DEP_1) | instskip(NEXT) | instid1(VALU_DEP_1)
	v_cndmask_b32_e64 v40, v4, 0x70, vcc_lo
	v_dual_add_nc_u32 v4, 21, v40 :: v_dual_add_nc_u32 v45, 20, v40
	s_delay_alu instid0(VALU_DEP_1) | instskip(NEXT) | instid1(VALU_DEP_2)
	v_lshlrev_b64_e64 v[4:5], v4, -1
	v_lshlrev_b64_e64 v[62:63], v45, 1
	s_delay_alu instid0(VALU_DEP_2) | instskip(SKIP_1) | instid1(VALU_DEP_4)
	v_bfi_b32 v4, v4, 0, v2
	v_lshrrev_b64 v[2:3], v40, v[2:3]
	v_bfi_b32 v5, v5, 0, 0
	s_delay_alu instid0(VALU_DEP_1) | instskip(NEXT) | instid1(VALU_DEP_3)
	v_cmp_eq_u64_e64 s10, v[4:5], v[62:63]
	v_mov_b64_e32 v[4:5], v[2:3]
	s_and_saveexec_b32 s42, s10
; %bb.3202:                             ;   in Loop: Header=BB6_130 Depth=2
	v_bfe_u32 v4, v2, 21, 1
	v_mov_b32_e32 v5, v1
	s_delay_alu instid0(VALU_DEP_1) | instskip(NEXT) | instid1(VALU_DEP_1)
	v_add_nc_u64_e32 v[4:5], v[2:3], v[4:5]
	v_add_nc_u64_e32 v[4:5], -1, v[4:5]
; %bb.3203:                             ;   in Loop: Header=BB6_130 Depth=2
	s_or_b32 exec_lo, exec_lo, s42
	v_add_nc_u32_e32 v3, 0xffffff81, v85
	v_lshrrev_b32_e32 v5, 23, v2
	s_mov_b32 s10, exec_lo
	s_delay_alu instid0(VALU_DEP_2) | instskip(NEXT) | instid1(VALU_DEP_1)
	v_cndmask_b32_e64 v3, v3, 0xffffff82, vcc_lo
	v_add3_u32 v85, v40, v3, v5
	v_and_b32_e32 v3, 0x1fffff, v4
                                        ; implicit-def: $vgpr4
	s_delay_alu instid0(VALU_DEP_1) | instskip(SKIP_1) | instid1(VALU_DEP_2)
	v_dual_add_nc_u32 v5, 14, v85 :: v_dual_add_nc_u32 v2, v3, v2
	v_mov_b32_e32 v3, v1
	v_cmpx_ne_u32_e32 0, v5
	s_xor_b32 s10, exec_lo, s10
; %bb.3204:                             ;   in Loop: Header=BB6_130 Depth=2
	s_delay_alu instid0(VALU_DEP_2) | instskip(SKIP_1) | instid1(VALU_DEP_1)
	v_cmp_lt_u64_e32 vcc_lo, 0xffffff, v[2:3]
	v_add_nc_u32_e32 v4, 15, v85
	v_cndmask_b32_e32 v4, v5, v4, vcc_lo
	v_cndmask_b32_e64 v5, 0, 1, vcc_lo
	s_delay_alu instid0(VALU_DEP_1)
	v_lshrrev_b64 v[2:3], v5, v[2:3]
; %bb.3205:                             ;   in Loop: Header=BB6_130 Depth=2
	s_and_not1_saveexec_b32 s10, s10
; %bb.3206:                             ;   in Loop: Header=BB6_130 Depth=2
	s_delay_alu instid0(VALU_DEP_1)
	v_bfe_u32 v4, v2, 23, 1
; %bb.3207:                             ;   in Loop: Header=BB6_130 Depth=2
	s_or_b32 exec_lo, exec_lo, s10
	s_delay_alu instid0(VALU_DEP_2) | instskip(NEXT) | instid1(VALU_DEP_2)
	v_lshrrev_b64 v[2:3], 21, v[2:3]
	v_cmp_gt_i32_e32 vcc_lo, 32, v4
	v_min_i32_e32 v5, 31, v4
	v_cmp_eq_u32_e64 s10, 0, v4
	s_delay_alu instid0(VALU_DEP_2) | instskip(SKIP_1) | instid1(VALU_DEP_2)
	v_dual_cndmask_b32 v3, 0, v3, vcc_lo :: v_dual_lshlrev_b32 v5, 2, v5
	v_cndmask_b32_e32 v2, 3, v2, vcc_lo
	v_and_b32_e32 v5, 0xfc, v5
	s_delay_alu instid0(VALU_DEP_2) | instskip(NEXT) | instid1(VALU_DEP_2)
	v_cmp_eq_u64_e32 vcc_lo, 0, v[2:3]
	v_and_or_b32 v2, v2, 3, v5
	s_and_b32 s10, s10, vcc_lo
	s_delay_alu instid0(VALU_DEP_1) | instid1(SALU_CYCLE_1)
	v_cndmask_b32_e64 v2, v2, 0, s10
	s_delay_alu instid0(VALU_DEP_1)
	v_or_b32_e32 v85, v2, v117
.LBB6_3208:                             ;   in Loop: Header=BB6_130 Depth=2
	s_or_b32 exec_lo, exec_lo, s41
                                        ; implicit-def: $vgpr117
.LBB6_3209:                             ;   in Loop: Header=BB6_130 Depth=2
	s_and_not1_saveexec_b32 s10, s40
; %bb.3210:                             ;   in Loop: Header=BB6_130 Depth=2
	v_or_b32_e32 v85, 0x7b, v117
; %bb.3211:                             ;   in Loop: Header=BB6_130 Depth=2
	s_or_b32 exec_lo, exec_lo, s10
                                        ; implicit-def: $vgpr4
                                        ; implicit-def: $vgpr2_vgpr3
                                        ; implicit-def: $vgpr5
.LBB6_3212:                             ;   in Loop: Header=BB6_130 Depth=2
	s_and_not1_saveexec_b32 s10, s29
	s_cbranch_execz .LBB6_3218
; %bb.3213:                             ;   in Loop: Header=BB6_130 Depth=2
	s_mov_b32 s29, exec_lo
                                        ; implicit-def: $vgpr85
	v_cmpx_ne_u64_e32 0, v[2:3]
	s_xor_b32 s29, exec_lo, s29
; %bb.3214:                             ;   in Loop: Header=BB6_130 Depth=2
	v_or_b32_e32 v85, 0x7f, v5
                                        ; implicit-def: $vgpr4
; %bb.3215:                             ;   in Loop: Header=BB6_130 Depth=2
	s_and_not1_saveexec_b32 s29, s29
; %bb.3216:                             ;   in Loop: Header=BB6_130 Depth=2
	v_cmp_lt_i32_e32 vcc_lo, -1, v4
	v_mov_b32_e32 v2, 0x7c
	s_delay_alu instid0(VALU_DEP_1)
	v_cndmask_b32_e32 v85, 0xfc, v2, vcc_lo
; %bb.3217:                             ;   in Loop: Header=BB6_130 Depth=2
	s_or_b32 exec_lo, exec_lo, s29
.LBB6_3218:                             ;   in Loop: Header=BB6_130 Depth=2
	s_delay_alu instid0(SALU_CYCLE_1) | instskip(SKIP_3) | instid1(VALU_DEP_2)
	s_or_b32 exec_lo, exec_lo, s10
	v_lshrrev_b16 v2, 8, v96
	v_dual_mov_b32 v4, 0 :: v_dual_mov_b32 v5, 0
	s_mov_b32 s29, exec_lo
	v_cmpx_ne_u16_e32 0, v2
	s_cbranch_execz .LBB6_3228
; %bb.3219:                             ;   in Loop: Header=BB6_130 Depth=2
	v_bfrev_b32_e32 v5, 1
	s_mov_b32 s40, exec_lo
	v_cmpx_ne_u16_e32 0x80, v2
	s_cbranch_execz .LBB6_3227
; %bb.3220:                             ;   in Loop: Header=BB6_130 Depth=2
	v_and_b32_e32 v117, 0xffff, v2
	s_delay_alu instid0(VALU_DEP_1) | instskip(SKIP_1) | instid1(VALU_DEP_2)
	v_and_b32_e32 v5, 0x7c, v117
	v_and_b32_e32 v3, 3, v117
	v_cmp_ne_u32_e32 vcc_lo, 0x7c, v5
                                        ; implicit-def: $vgpr5
	s_and_saveexec_b32 s10, vcc_lo
	s_delay_alu instid0(SALU_CYCLE_1)
	s_xor_b32 s10, exec_lo, s10
	s_cbranch_execz .LBB6_3224
; %bb.3221:                             ;   in Loop: Header=BB6_130 Depth=2
	v_bfe_u32 v5, v117, 2, 5
	s_mov_b32 s41, exec_lo
	s_delay_alu instid0(VALU_DEP_1)
	v_cmpx_eq_u32_e32 0, v5
	s_cbranch_execz .LBB6_3223
; %bb.3222:                             ;   in Loop: Header=BB6_130 Depth=2
	v_clz_i32_u32_e32 v3, v3
	s_delay_alu instid0(VALU_DEP_1) | instskip(SKIP_1) | instid1(VALU_DEP_2)
	v_min_u32_e32 v5, 32, v3
	v_mov_b32_e32 v3, v1
	v_subrev_nc_u32_e32 v117, 29, v5
	v_sub_nc_u32_e32 v5, 30, v5
	s_delay_alu instid0(VALU_DEP_2) | instskip(NEXT) | instid1(VALU_DEP_1)
	v_lshlrev_b64_e32 v[2:3], v117, v[2:3]
	v_and_b32_e32 v3, 3, v2
.LBB6_3223:                             ;   in Loop: Header=BB6_130 Depth=2
	s_or_b32 exec_lo, exec_lo, s41
	v_lshlrev_b32_e32 v2, 16, v96
                                        ; implicit-def: $vgpr96
	s_delay_alu instid0(VALU_DEP_1) | instskip(NEXT) | instid1(VALU_DEP_1)
	v_and_b32_e32 v2, 0x80000000, v2
	v_lshl_add_u32 v2, v5, 23, v2
	s_delay_alu instid0(VALU_DEP_1) | instskip(NEXT) | instid1(VALU_DEP_1)
	v_lshl_or_b32 v2, v3, 21, v2
                                        ; implicit-def: $vgpr3
	v_add_nc_u32_e32 v5, 0x38000000, v2
.LBB6_3224:                             ;   in Loop: Header=BB6_130 Depth=2
	s_and_not1_saveexec_b32 s41, s10
; %bb.3225:                             ;   in Loop: Header=BB6_130 Depth=2
	v_cmp_lt_i16_e64 s10, -1, v96
	v_mov_b32_e32 v2, 0x7f800000
	v_cmp_eq_u32_e32 vcc_lo, 0, v3
	s_delay_alu instid0(VALU_DEP_2) | instskip(NEXT) | instid1(VALU_DEP_1)
	v_cndmask_b32_e64 v2, 0xff800000, v2, s10
	v_cndmask_b32_e32 v5, 0x7f800001, v2, vcc_lo
; %bb.3226:                             ;   in Loop: Header=BB6_130 Depth=2
	s_or_b32 exec_lo, exec_lo, s41
.LBB6_3227:                             ;   in Loop: Header=BB6_130 Depth=2
	s_delay_alu instid0(SALU_CYCLE_1)
	s_or_b32 exec_lo, exec_lo, s40
.LBB6_3228:                             ;   in Loop: Header=BB6_130 Depth=2
	s_delay_alu instid0(SALU_CYCLE_1) | instskip(SKIP_2) | instid1(VALU_DEP_1)
	s_or_b32 exec_lo, exec_lo, s29
	v_lshrrev_b16 v2, 8, v21
	s_mov_b32 s29, exec_lo
	v_cmpx_ne_u16_e32 0, v2
	s_cbranch_execz .LBB6_3238
; %bb.3229:                             ;   in Loop: Header=BB6_130 Depth=2
	v_bfrev_b32_e32 v4, 1
	s_mov_b32 s40, exec_lo
	v_cmpx_ne_u16_e32 0x80, v2
	s_cbranch_execz .LBB6_3237
; %bb.3230:                             ;   in Loop: Header=BB6_130 Depth=2
	v_and_b32_e32 v96, 0xffff, v2
	s_delay_alu instid0(VALU_DEP_1) | instskip(SKIP_1) | instid1(VALU_DEP_2)
	v_and_b32_e32 v4, 0x7c, v96
	v_and_b32_e32 v3, 3, v96
	v_cmp_ne_u32_e32 vcc_lo, 0x7c, v4
                                        ; implicit-def: $vgpr4
	s_and_saveexec_b32 s10, vcc_lo
	s_delay_alu instid0(SALU_CYCLE_1)
	s_xor_b32 s10, exec_lo, s10
	s_cbranch_execz .LBB6_3234
; %bb.3231:                             ;   in Loop: Header=BB6_130 Depth=2
	v_bfe_u32 v4, v96, 2, 5
	s_mov_b32 s41, exec_lo
	s_delay_alu instid0(VALU_DEP_1)
	v_cmpx_eq_u32_e32 0, v4
	s_cbranch_execz .LBB6_3233
; %bb.3232:                             ;   in Loop: Header=BB6_130 Depth=2
	v_clz_i32_u32_e32 v3, v3
	s_delay_alu instid0(VALU_DEP_1) | instskip(SKIP_1) | instid1(VALU_DEP_2)
	v_min_u32_e32 v4, 32, v3
	v_mov_b32_e32 v3, v1
	v_subrev_nc_u32_e32 v96, 29, v4
	v_sub_nc_u32_e32 v4, 30, v4
	s_delay_alu instid0(VALU_DEP_2) | instskip(NEXT) | instid1(VALU_DEP_1)
	v_lshlrev_b64_e32 v[2:3], v96, v[2:3]
	v_and_b32_e32 v3, 3, v2
.LBB6_3233:                             ;   in Loop: Header=BB6_130 Depth=2
	s_or_b32 exec_lo, exec_lo, s41
	v_lshlrev_b32_e32 v2, 16, v21
	s_delay_alu instid0(VALU_DEP_1) | instskip(NEXT) | instid1(VALU_DEP_1)
	v_and_b32_e32 v2, 0x80000000, v2
	v_lshl_add_u32 v2, v4, 23, v2
	s_delay_alu instid0(VALU_DEP_1) | instskip(NEXT) | instid1(VALU_DEP_1)
	v_lshl_or_b32 v2, v3, 21, v2
                                        ; implicit-def: $vgpr3
	v_add_nc_u32_e32 v4, 0x38000000, v2
.LBB6_3234:                             ;   in Loop: Header=BB6_130 Depth=2
	s_and_not1_saveexec_b32 s41, s10
; %bb.3235:                             ;   in Loop: Header=BB6_130 Depth=2
	v_cmp_lt_i16_e64 s10, -1, v21
	v_mov_b32_e32 v2, 0x7f800000
	v_cmp_eq_u32_e32 vcc_lo, 0, v3
	s_delay_alu instid0(VALU_DEP_2) | instskip(NEXT) | instid1(VALU_DEP_1)
	v_cndmask_b32_e64 v2, 0xff800000, v2, s10
	v_cndmask_b32_e32 v4, 0x7f800001, v2, vcc_lo
; %bb.3236:                             ;   in Loop: Header=BB6_130 Depth=2
	s_or_b32 exec_lo, exec_lo, s41
.LBB6_3237:                             ;   in Loop: Header=BB6_130 Depth=2
	s_delay_alu instid0(SALU_CYCLE_1)
	s_or_b32 exec_lo, exec_lo, s40
.LBB6_3238:                             ;   in Loop: Header=BB6_130 Depth=2
	s_delay_alu instid0(SALU_CYCLE_1) | instskip(NEXT) | instid1(VALU_DEP_1)
	s_or_b32 exec_lo, exec_lo, s29
	v_add_f32_e32 v4, v5, v4
	v_dual_mov_b32 v63, v1 :: v_dual_mov_b32 v3, v1
                                        ; implicit-def: $vgpr96
	s_mov_b32 s10, exec_lo
	s_delay_alu instid0(VALU_DEP_2) | instskip(SKIP_2) | instid1(VALU_DEP_3)
	v_and_b32_e32 v62, 0x7f800000, v4
	v_and_b32_e32 v2, 0x7fffff, v4
	v_lshrrev_b32_e32 v5, 24, v4
	v_cmpx_ne_u64_e32 0x7f800000, v[62:63]
	s_xor_b32 s29, exec_lo, s10
	s_cbranch_execz .LBB6_3252
; %bb.3239:                             ;   in Loop: Header=BB6_130 Depth=2
	v_and_b32_e32 v62, 0x7fffffff, v4
	v_mov_b32_e32 v63, v1
	v_and_b32_e32 v117, 0x80, v5
                                        ; implicit-def: $vgpr96
	s_mov_b32 s10, exec_lo
	s_delay_alu instid0(VALU_DEP_2)
	v_cmpx_gt_u64_e32 0x47600001, v[62:63]
	s_xor_b32 s40, exec_lo, s10
	s_cbranch_execz .LBB6_3249
; %bb.3240:                             ;   in Loop: Header=BB6_130 Depth=2
	v_mov_b32_e32 v96, 0
	s_mov_b32 s41, exec_lo
	v_cmpx_ne_u32_e32 0, v4
	s_cbranch_execz .LBB6_3248
; %bb.3241:                             ;   in Loop: Header=BB6_130 Depth=2
	v_bfe_u32 v96, v4, 23, 8
	v_or_b32_e32 v5, 0x800000, v2
	s_delay_alu instid0(VALU_DEP_2) | instskip(SKIP_2) | instid1(VALU_DEP_2)
	v_cmp_gt_u32_e64 s10, 0x72, v96
	v_sub_nc_u32_e32 v4, 0x71, v96
	v_cmp_eq_u32_e32 vcc_lo, 0, v96
	v_dual_cndmask_b32 v4, 0, v4, s10 :: v_dual_cndmask_b32 v2, v5, v2, vcc_lo
	s_delay_alu instid0(VALU_DEP_1) | instskip(NEXT) | instid1(VALU_DEP_1)
	v_cndmask_b32_e64 v40, v4, 0x70, vcc_lo
	v_dual_add_nc_u32 v4, 21, v40 :: v_dual_add_nc_u32 v45, 20, v40
	s_delay_alu instid0(VALU_DEP_1) | instskip(NEXT) | instid1(VALU_DEP_2)
	v_lshlrev_b64_e64 v[4:5], v4, -1
	v_lshlrev_b64_e64 v[62:63], v45, 1
	s_delay_alu instid0(VALU_DEP_2) | instskip(SKIP_1) | instid1(VALU_DEP_4)
	v_bfi_b32 v4, v4, 0, v2
	v_lshrrev_b64 v[2:3], v40, v[2:3]
	v_bfi_b32 v5, v5, 0, 0
	s_delay_alu instid0(VALU_DEP_1) | instskip(NEXT) | instid1(VALU_DEP_3)
	v_cmp_eq_u64_e64 s10, v[4:5], v[62:63]
	v_mov_b64_e32 v[4:5], v[2:3]
	s_and_saveexec_b32 s42, s10
; %bb.3242:                             ;   in Loop: Header=BB6_130 Depth=2
	v_bfe_u32 v4, v2, 21, 1
	v_mov_b32_e32 v5, v1
	s_delay_alu instid0(VALU_DEP_1) | instskip(NEXT) | instid1(VALU_DEP_1)
	v_add_nc_u64_e32 v[4:5], v[2:3], v[4:5]
	v_add_nc_u64_e32 v[4:5], -1, v[4:5]
; %bb.3243:                             ;   in Loop: Header=BB6_130 Depth=2
	s_or_b32 exec_lo, exec_lo, s42
	v_add_nc_u32_e32 v3, 0xffffff81, v96
	v_lshrrev_b32_e32 v5, 23, v2
	s_mov_b32 s10, exec_lo
	s_delay_alu instid0(VALU_DEP_2) | instskip(NEXT) | instid1(VALU_DEP_1)
	v_cndmask_b32_e64 v3, v3, 0xffffff82, vcc_lo
	v_add3_u32 v96, v40, v3, v5
	v_and_b32_e32 v3, 0x1fffff, v4
                                        ; implicit-def: $vgpr4
	s_delay_alu instid0(VALU_DEP_1) | instskip(SKIP_1) | instid1(VALU_DEP_2)
	v_dual_add_nc_u32 v5, 14, v96 :: v_dual_add_nc_u32 v2, v3, v2
	v_mov_b32_e32 v3, v1
	v_cmpx_ne_u32_e32 0, v5
	s_xor_b32 s10, exec_lo, s10
; %bb.3244:                             ;   in Loop: Header=BB6_130 Depth=2
	s_delay_alu instid0(VALU_DEP_2) | instskip(SKIP_1) | instid1(VALU_DEP_1)
	v_cmp_lt_u64_e32 vcc_lo, 0xffffff, v[2:3]
	v_add_nc_u32_e32 v4, 15, v96
	v_cndmask_b32_e32 v4, v5, v4, vcc_lo
	v_cndmask_b32_e64 v5, 0, 1, vcc_lo
	s_delay_alu instid0(VALU_DEP_1)
	v_lshrrev_b64 v[2:3], v5, v[2:3]
; %bb.3245:                             ;   in Loop: Header=BB6_130 Depth=2
	s_and_not1_saveexec_b32 s10, s10
; %bb.3246:                             ;   in Loop: Header=BB6_130 Depth=2
	s_delay_alu instid0(VALU_DEP_1)
	v_bfe_u32 v4, v2, 23, 1
; %bb.3247:                             ;   in Loop: Header=BB6_130 Depth=2
	s_or_b32 exec_lo, exec_lo, s10
	s_delay_alu instid0(VALU_DEP_2) | instskip(NEXT) | instid1(VALU_DEP_2)
	v_lshrrev_b64 v[2:3], 21, v[2:3]
	v_cmp_gt_i32_e32 vcc_lo, 32, v4
	v_min_i32_e32 v5, 31, v4
	v_cmp_eq_u32_e64 s10, 0, v4
	s_delay_alu instid0(VALU_DEP_2) | instskip(SKIP_1) | instid1(VALU_DEP_2)
	v_dual_cndmask_b32 v3, 0, v3, vcc_lo :: v_dual_lshlrev_b32 v5, 2, v5
	v_cndmask_b32_e32 v2, 3, v2, vcc_lo
	v_and_b32_e32 v5, 0xfc, v5
	s_delay_alu instid0(VALU_DEP_2) | instskip(NEXT) | instid1(VALU_DEP_2)
	v_cmp_eq_u64_e32 vcc_lo, 0, v[2:3]
	v_and_or_b32 v2, v2, 3, v5
	s_and_b32 s10, s10, vcc_lo
	s_delay_alu instid0(VALU_DEP_1) | instid1(SALU_CYCLE_1)
	v_cndmask_b32_e64 v2, v2, 0, s10
	s_delay_alu instid0(VALU_DEP_1)
	v_or_b32_e32 v96, v2, v117
.LBB6_3248:                             ;   in Loop: Header=BB6_130 Depth=2
	s_or_b32 exec_lo, exec_lo, s41
                                        ; implicit-def: $vgpr117
.LBB6_3249:                             ;   in Loop: Header=BB6_130 Depth=2
	s_and_not1_saveexec_b32 s10, s40
; %bb.3250:                             ;   in Loop: Header=BB6_130 Depth=2
	v_or_b32_e32 v96, 0x7b, v117
; %bb.3251:                             ;   in Loop: Header=BB6_130 Depth=2
	s_or_b32 exec_lo, exec_lo, s10
                                        ; implicit-def: $vgpr4
                                        ; implicit-def: $vgpr2_vgpr3
                                        ; implicit-def: $vgpr5
.LBB6_3252:                             ;   in Loop: Header=BB6_130 Depth=2
	s_and_not1_saveexec_b32 s10, s29
	s_cbranch_execz .LBB6_3258
; %bb.3253:                             ;   in Loop: Header=BB6_130 Depth=2
	s_mov_b32 s29, exec_lo
                                        ; implicit-def: $vgpr96
	v_cmpx_ne_u64_e32 0, v[2:3]
	s_xor_b32 s29, exec_lo, s29
; %bb.3254:                             ;   in Loop: Header=BB6_130 Depth=2
	v_or_b32_e32 v96, 0x7f, v5
                                        ; implicit-def: $vgpr4
; %bb.3255:                             ;   in Loop: Header=BB6_130 Depth=2
	s_and_not1_saveexec_b32 s29, s29
; %bb.3256:                             ;   in Loop: Header=BB6_130 Depth=2
	v_cmp_lt_i32_e32 vcc_lo, -1, v4
	v_mov_b32_e32 v2, 0x7c
	s_delay_alu instid0(VALU_DEP_1)
	v_cndmask_b32_e32 v96, 0xfc, v2, vcc_lo
; %bb.3257:                             ;   in Loop: Header=BB6_130 Depth=2
	s_or_b32 exec_lo, exec_lo, s29
.LBB6_3258:                             ;   in Loop: Header=BB6_130 Depth=2
	s_delay_alu instid0(SALU_CYCLE_1) | instskip(SKIP_3) | instid1(VALU_DEP_2)
	s_or_b32 exec_lo, exec_lo, s10
	v_dual_mov_b32 v3, 0 :: v_dual_lshrrev_b32 v2, 16, v0
	v_mov_b32_e32 v4, 0
	s_mov_b32 s29, exec_lo
	v_and_b32_e32 v5, 0xff, v2
	s_delay_alu instid0(VALU_DEP_1)
	v_cmpx_ne_u16_e32 0, v5
	s_cbranch_execz .LBB6_3268
; %bb.3259:                             ;   in Loop: Header=BB6_130 Depth=2
	v_bfrev_b32_e32 v4, 1
	s_mov_b32 s40, exec_lo
	v_cmpx_ne_u16_e32 0x80, v5
	s_cbranch_execz .LBB6_3267
; %bb.3260:                             ;   in Loop: Header=BB6_130 Depth=2
	v_and_b32_e32 v4, 0x7c0000, v0
	v_bfe_u32 v5, v0, 16, 2
	s_delay_alu instid0(VALU_DEP_2) | instskip(SKIP_1) | instid1(SALU_CYCLE_1)
	v_cmp_ne_u32_e32 vcc_lo, 0x7c0000, v4
                                        ; implicit-def: $vgpr4
	s_and_saveexec_b32 s10, vcc_lo
	s_xor_b32 s10, exec_lo, s10
	s_cbranch_execz .LBB6_3264
; %bb.3261:                             ;   in Loop: Header=BB6_130 Depth=2
	v_bfe_u32 v4, v0, 18, 5
	s_mov_b32 s41, exec_lo
	s_delay_alu instid0(VALU_DEP_1)
	v_cmpx_eq_u32_e32 0, v4
; %bb.3262:                             ;   in Loop: Header=BB6_130 Depth=2
	v_clz_i32_u32_e32 v4, v5
	s_delay_alu instid0(VALU_DEP_1) | instskip(NEXT) | instid1(VALU_DEP_1)
	v_min_u32_e32 v4, 32, v4
	v_subrev_nc_u32_e32 v5, 29, v4
	s_delay_alu instid0(VALU_DEP_1) | instskip(NEXT) | instid1(VALU_DEP_1)
	v_lshlrev_b64_e32 v[62:63], v5, v[2:3]
	v_dual_sub_nc_u32 v4, 30, v4 :: v_dual_bitop2_b32 v5, 3, v62 bitop3:0x40
; %bb.3263:                             ;   in Loop: Header=BB6_130 Depth=2
	s_or_b32 exec_lo, exec_lo, s41
	v_lshlrev_b32_e32 v2, 24, v2
	s_delay_alu instid0(VALU_DEP_1) | instskip(NEXT) | instid1(VALU_DEP_1)
	v_and_b32_e32 v2, 0x80000000, v2
	v_lshl_add_u32 v2, v4, 23, v2
	s_delay_alu instid0(VALU_DEP_1) | instskip(NEXT) | instid1(VALU_DEP_1)
	v_lshl_or_b32 v2, v5, 21, v2
                                        ; implicit-def: $vgpr5
	v_add_nc_u32_e32 v4, 0x38000000, v2
                                        ; implicit-def: $vgpr2
.LBB6_3264:                             ;   in Loop: Header=BB6_130 Depth=2
	s_and_not1_saveexec_b32 s41, s10
; %bb.3265:                             ;   in Loop: Header=BB6_130 Depth=2
	v_bfe_i32 v2, v2, 0, 8
	v_cmp_eq_u32_e32 vcc_lo, 0, v5
	s_delay_alu instid0(VALU_DEP_2) | instskip(SKIP_1) | instid1(VALU_DEP_1)
	v_cmp_lt_i16_e64 s10, -1, v2
	v_mov_b32_e32 v2, 0x7f800000
	v_cndmask_b32_e64 v2, 0xff800000, v2, s10
	s_delay_alu instid0(VALU_DEP_1)
	v_cndmask_b32_e32 v4, 0x7f800001, v2, vcc_lo
; %bb.3266:                             ;   in Loop: Header=BB6_130 Depth=2
	s_or_b32 exec_lo, exec_lo, s41
.LBB6_3267:                             ;   in Loop: Header=BB6_130 Depth=2
	s_delay_alu instid0(SALU_CYCLE_1)
	s_or_b32 exec_lo, exec_lo, s40
.LBB6_3268:                             ;   in Loop: Header=BB6_130 Depth=2
	s_delay_alu instid0(SALU_CYCLE_1) | instskip(SKIP_2) | instid1(VALU_DEP_1)
	s_or_b32 exec_lo, exec_lo, s29
	v_lshrrev_b32_e32 v2, 16, v21
	s_mov_b32 s29, exec_lo
	v_and_b32_e32 v5, 0xff, v2
	s_delay_alu instid0(VALU_DEP_1)
	v_cmpx_ne_u16_e32 0, v5
	s_cbranch_execz .LBB6_3278
; %bb.3269:                             ;   in Loop: Header=BB6_130 Depth=2
	v_bfrev_b32_e32 v3, 1
	s_mov_b32 s40, exec_lo
	v_cmpx_ne_u16_e32 0x80, v5
	s_cbranch_execz .LBB6_3277
; %bb.3270:                             ;   in Loop: Header=BB6_130 Depth=2
	v_and_b32_e32 v3, 0x7c0000, v21
	v_bfe_u32 v5, v21, 16, 2
	s_delay_alu instid0(VALU_DEP_2) | instskip(SKIP_1) | instid1(SALU_CYCLE_1)
	v_cmp_ne_u32_e32 vcc_lo, 0x7c0000, v3
                                        ; implicit-def: $vgpr3
	s_and_saveexec_b32 s10, vcc_lo
	s_xor_b32 s10, exec_lo, s10
	s_cbranch_execz .LBB6_3274
; %bb.3271:                             ;   in Loop: Header=BB6_130 Depth=2
	v_bfe_u32 v3, v21, 18, 5
	s_mov_b32 s41, exec_lo
	s_delay_alu instid0(VALU_DEP_1)
	v_cmpx_eq_u32_e32 0, v3
; %bb.3272:                             ;   in Loop: Header=BB6_130 Depth=2
	v_clz_i32_u32_e32 v3, v5
	s_delay_alu instid0(VALU_DEP_1) | instskip(NEXT) | instid1(VALU_DEP_1)
	v_min_u32_e32 v3, 32, v3
	v_subrev_nc_u32_e32 v5, 29, v3
	s_delay_alu instid0(VALU_DEP_1) | instskip(NEXT) | instid1(VALU_DEP_1)
	v_lshlrev_b64_e32 v[62:63], v5, v[2:3]
	v_dual_sub_nc_u32 v3, 30, v3 :: v_dual_bitop2_b32 v5, 3, v62 bitop3:0x40
; %bb.3273:                             ;   in Loop: Header=BB6_130 Depth=2
	s_or_b32 exec_lo, exec_lo, s41
	v_lshlrev_b32_e32 v2, 24, v2
	s_delay_alu instid0(VALU_DEP_1) | instskip(NEXT) | instid1(VALU_DEP_1)
	v_and_b32_e32 v2, 0x80000000, v2
	v_lshl_add_u32 v2, v3, 23, v2
	s_delay_alu instid0(VALU_DEP_1) | instskip(NEXT) | instid1(VALU_DEP_1)
	v_lshl_or_b32 v2, v5, 21, v2
                                        ; implicit-def: $vgpr5
	v_add_nc_u32_e32 v3, 0x38000000, v2
                                        ; implicit-def: $vgpr2
.LBB6_3274:                             ;   in Loop: Header=BB6_130 Depth=2
	s_and_not1_saveexec_b32 s41, s10
; %bb.3275:                             ;   in Loop: Header=BB6_130 Depth=2
	v_bfe_i32 v2, v2, 0, 8
	v_cmp_eq_u32_e32 vcc_lo, 0, v5
	s_delay_alu instid0(VALU_DEP_2) | instskip(SKIP_1) | instid1(VALU_DEP_1)
	v_cmp_lt_i16_e64 s10, -1, v2
	v_mov_b32_e32 v2, 0x7f800000
	v_cndmask_b32_e64 v2, 0xff800000, v2, s10
	s_delay_alu instid0(VALU_DEP_1)
	v_cndmask_b32_e32 v3, 0x7f800001, v2, vcc_lo
; %bb.3276:                             ;   in Loop: Header=BB6_130 Depth=2
	s_or_b32 exec_lo, exec_lo, s41
.LBB6_3277:                             ;   in Loop: Header=BB6_130 Depth=2
	s_delay_alu instid0(SALU_CYCLE_1)
	s_or_b32 exec_lo, exec_lo, s40
.LBB6_3278:                             ;   in Loop: Header=BB6_130 Depth=2
	s_delay_alu instid0(SALU_CYCLE_1) | instskip(NEXT) | instid1(VALU_DEP_1)
	s_or_b32 exec_lo, exec_lo, s29
	v_dual_add_f32 v4, v4, v3 :: v_dual_mov_b32 v63, v1
	v_mov_b32_e32 v3, v1
                                        ; implicit-def: $vgpr117
	s_mov_b32 s10, exec_lo
	s_delay_alu instid0(VALU_DEP_2) | instskip(SKIP_2) | instid1(VALU_DEP_3)
	v_and_b32_e32 v62, 0x7f800000, v4
	v_and_b32_e32 v2, 0x7fffff, v4
	v_lshrrev_b32_e32 v5, 24, v4
	v_cmpx_ne_u64_e32 0x7f800000, v[62:63]
	s_xor_b32 s29, exec_lo, s10
	s_cbranch_execz .LBB6_3292
; %bb.3279:                             ;   in Loop: Header=BB6_130 Depth=2
	v_and_b32_e32 v62, 0x7fffffff, v4
	v_mov_b32_e32 v63, v1
	v_and_b32_e32 v40, 0x80, v5
                                        ; implicit-def: $vgpr117
	s_mov_b32 s10, exec_lo
	s_delay_alu instid0(VALU_DEP_2)
	v_cmpx_gt_u64_e32 0x47600001, v[62:63]
	s_xor_b32 s40, exec_lo, s10
	s_cbranch_execz .LBB6_3289
; %bb.3280:                             ;   in Loop: Header=BB6_130 Depth=2
	v_mov_b32_e32 v117, 0
	s_mov_b32 s41, exec_lo
	v_cmpx_ne_u32_e32 0, v4
	s_cbranch_execz .LBB6_3288
; %bb.3281:                             ;   in Loop: Header=BB6_130 Depth=2
	v_bfe_u32 v117, v4, 23, 8
	v_or_b32_e32 v5, 0x800000, v2
	s_delay_alu instid0(VALU_DEP_2) | instskip(SKIP_2) | instid1(VALU_DEP_2)
	v_cmp_gt_u32_e64 s10, 0x72, v117
	v_sub_nc_u32_e32 v4, 0x71, v117
	v_cmp_eq_u32_e32 vcc_lo, 0, v117
	v_dual_cndmask_b32 v4, 0, v4, s10 :: v_dual_cndmask_b32 v2, v5, v2, vcc_lo
	s_delay_alu instid0(VALU_DEP_1) | instskip(NEXT) | instid1(VALU_DEP_1)
	v_cndmask_b32_e64 v45, v4, 0x70, vcc_lo
	v_dual_add_nc_u32 v4, 21, v45 :: v_dual_add_nc_u32 v59, 20, v45
	s_delay_alu instid0(VALU_DEP_1) | instskip(NEXT) | instid1(VALU_DEP_2)
	v_lshlrev_b64_e64 v[4:5], v4, -1
	v_lshlrev_b64_e64 v[62:63], v59, 1
	s_delay_alu instid0(VALU_DEP_2) | instskip(SKIP_1) | instid1(VALU_DEP_4)
	v_bfi_b32 v4, v4, 0, v2
	v_lshrrev_b64 v[2:3], v45, v[2:3]
	v_bfi_b32 v5, v5, 0, 0
	s_delay_alu instid0(VALU_DEP_1) | instskip(NEXT) | instid1(VALU_DEP_3)
	v_cmp_eq_u64_e64 s10, v[4:5], v[62:63]
	v_mov_b64_e32 v[4:5], v[2:3]
	s_and_saveexec_b32 s42, s10
; %bb.3282:                             ;   in Loop: Header=BB6_130 Depth=2
	v_bfe_u32 v4, v2, 21, 1
	v_mov_b32_e32 v5, v1
	s_delay_alu instid0(VALU_DEP_1) | instskip(NEXT) | instid1(VALU_DEP_1)
	v_add_nc_u64_e32 v[4:5], v[2:3], v[4:5]
	v_add_nc_u64_e32 v[4:5], -1, v[4:5]
; %bb.3283:                             ;   in Loop: Header=BB6_130 Depth=2
	s_or_b32 exec_lo, exec_lo, s42
	v_add_nc_u32_e32 v3, 0xffffff81, v117
	v_lshrrev_b32_e32 v5, 23, v2
	s_mov_b32 s10, exec_lo
	s_delay_alu instid0(VALU_DEP_2) | instskip(NEXT) | instid1(VALU_DEP_1)
	v_cndmask_b32_e64 v3, v3, 0xffffff82, vcc_lo
	v_add3_u32 v117, v45, v3, v5
	v_and_b32_e32 v3, 0x1fffff, v4
                                        ; implicit-def: $vgpr4
	s_delay_alu instid0(VALU_DEP_1) | instskip(SKIP_1) | instid1(VALU_DEP_2)
	v_dual_add_nc_u32 v5, 14, v117 :: v_dual_add_nc_u32 v2, v3, v2
	v_mov_b32_e32 v3, v1
	v_cmpx_ne_u32_e32 0, v5
	s_xor_b32 s10, exec_lo, s10
; %bb.3284:                             ;   in Loop: Header=BB6_130 Depth=2
	s_delay_alu instid0(VALU_DEP_2) | instskip(SKIP_1) | instid1(VALU_DEP_1)
	v_cmp_lt_u64_e32 vcc_lo, 0xffffff, v[2:3]
	v_add_nc_u32_e32 v4, 15, v117
	v_cndmask_b32_e32 v4, v5, v4, vcc_lo
	v_cndmask_b32_e64 v5, 0, 1, vcc_lo
	s_delay_alu instid0(VALU_DEP_1)
	v_lshrrev_b64 v[2:3], v5, v[2:3]
; %bb.3285:                             ;   in Loop: Header=BB6_130 Depth=2
	s_and_not1_saveexec_b32 s10, s10
; %bb.3286:                             ;   in Loop: Header=BB6_130 Depth=2
	s_delay_alu instid0(VALU_DEP_1)
	v_bfe_u32 v4, v2, 23, 1
; %bb.3287:                             ;   in Loop: Header=BB6_130 Depth=2
	s_or_b32 exec_lo, exec_lo, s10
	s_delay_alu instid0(VALU_DEP_2) | instskip(NEXT) | instid1(VALU_DEP_2)
	v_lshrrev_b64 v[2:3], 21, v[2:3]
	v_cmp_gt_i32_e32 vcc_lo, 32, v4
	v_min_i32_e32 v5, 31, v4
	v_cmp_eq_u32_e64 s10, 0, v4
	s_delay_alu instid0(VALU_DEP_2) | instskip(SKIP_1) | instid1(VALU_DEP_2)
	v_dual_cndmask_b32 v3, 0, v3, vcc_lo :: v_dual_lshlrev_b32 v5, 2, v5
	v_cndmask_b32_e32 v2, 3, v2, vcc_lo
	v_and_b32_e32 v5, 0xfc, v5
	s_delay_alu instid0(VALU_DEP_2) | instskip(NEXT) | instid1(VALU_DEP_2)
	v_cmp_eq_u64_e32 vcc_lo, 0, v[2:3]
	v_and_or_b32 v2, v2, 3, v5
	s_and_b32 s10, s10, vcc_lo
	s_delay_alu instid0(VALU_DEP_1) | instid1(SALU_CYCLE_1)
	v_cndmask_b32_e64 v2, v2, 0, s10
	s_delay_alu instid0(VALU_DEP_1)
	v_or_b32_e32 v117, v2, v40
.LBB6_3288:                             ;   in Loop: Header=BB6_130 Depth=2
	s_or_b32 exec_lo, exec_lo, s41
                                        ; implicit-def: $vgpr40
.LBB6_3289:                             ;   in Loop: Header=BB6_130 Depth=2
	s_and_not1_saveexec_b32 s10, s40
; %bb.3290:                             ;   in Loop: Header=BB6_130 Depth=2
	v_or_b32_e32 v117, 0x7b, v40
; %bb.3291:                             ;   in Loop: Header=BB6_130 Depth=2
	s_or_b32 exec_lo, exec_lo, s10
                                        ; implicit-def: $vgpr4
                                        ; implicit-def: $vgpr2_vgpr3
                                        ; implicit-def: $vgpr5
.LBB6_3292:                             ;   in Loop: Header=BB6_130 Depth=2
	s_and_not1_saveexec_b32 s10, s29
	s_cbranch_execz .LBB6_3298
; %bb.3293:                             ;   in Loop: Header=BB6_130 Depth=2
	s_mov_b32 s29, exec_lo
                                        ; implicit-def: $vgpr117
	v_cmpx_ne_u64_e32 0, v[2:3]
	s_xor_b32 s29, exec_lo, s29
; %bb.3294:                             ;   in Loop: Header=BB6_130 Depth=2
	v_or_b32_e32 v117, 0x7f, v5
                                        ; implicit-def: $vgpr4
; %bb.3295:                             ;   in Loop: Header=BB6_130 Depth=2
	s_and_not1_saveexec_b32 s29, s29
; %bb.3296:                             ;   in Loop: Header=BB6_130 Depth=2
	v_cmp_lt_i32_e32 vcc_lo, -1, v4
	v_mov_b32_e32 v2, 0x7c
	s_delay_alu instid0(VALU_DEP_1)
	v_cndmask_b32_e32 v117, 0xfc, v2, vcc_lo
; %bb.3297:                             ;   in Loop: Header=BB6_130 Depth=2
	s_or_b32 exec_lo, exec_lo, s29
.LBB6_3298:                             ;   in Loop: Header=BB6_130 Depth=2
	s_delay_alu instid0(SALU_CYCLE_1)
	s_or_b32 exec_lo, exec_lo, s10
	v_dual_mov_b32 v3, 0 :: v_dual_mov_b32 v4, 0
	s_mov_b32 s29, exec_lo
	v_cmpx_lt_u32_e32 0xffffff, v0
	s_cbranch_execz .LBB6_3308
; %bb.3299:                             ;   in Loop: Header=BB6_130 Depth=2
	v_lshrrev_b32_e32 v2, 24, v0
	v_bfrev_b32_e32 v4, 1
	s_mov_b32 s40, exec_lo
	s_delay_alu instid0(VALU_DEP_2)
	v_cmpx_ne_u32_e32 0x80, v2
	s_cbranch_execz .LBB6_3307
; %bb.3300:                             ;   in Loop: Header=BB6_130 Depth=2
	v_and_b32_e32 v4, 0x7c000000, v0
	v_bfe_u32 v5, v0, 24, 2
	s_delay_alu instid0(VALU_DEP_2) | instskip(SKIP_1) | instid1(SALU_CYCLE_1)
	v_cmp_ne_u32_e32 vcc_lo, 0x7c000000, v4
                                        ; implicit-def: $vgpr4
	s_and_saveexec_b32 s10, vcc_lo
	s_xor_b32 s10, exec_lo, s10
	s_cbranch_execz .LBB6_3304
; %bb.3301:                             ;   in Loop: Header=BB6_130 Depth=2
	v_bfe_u32 v4, v0, 26, 5
	s_mov_b32 s41, exec_lo
	s_delay_alu instid0(VALU_DEP_1)
	v_cmpx_eq_u32_e32 0, v4
; %bb.3302:                             ;   in Loop: Header=BB6_130 Depth=2
	v_clz_i32_u32_e32 v4, v5
	s_delay_alu instid0(VALU_DEP_1) | instskip(NEXT) | instid1(VALU_DEP_1)
	v_min_u32_e32 v4, 32, v4
	v_subrev_nc_u32_e32 v5, 29, v4
	s_delay_alu instid0(VALU_DEP_1) | instskip(NEXT) | instid1(VALU_DEP_1)
	v_lshlrev_b64_e32 v[62:63], v5, v[2:3]
	v_dual_sub_nc_u32 v4, 30, v4 :: v_dual_bitop2_b32 v5, 3, v62 bitop3:0x40
; %bb.3303:                             ;   in Loop: Header=BB6_130 Depth=2
	s_or_b32 exec_lo, exec_lo, s41
	v_and_b32_e32 v0, 0x80000000, v0
	s_delay_alu instid0(VALU_DEP_1) | instskip(NEXT) | instid1(VALU_DEP_1)
	v_lshl_add_u32 v0, v4, 23, v0
	v_lshl_or_b32 v0, v5, 21, v0
                                        ; implicit-def: $vgpr5
	s_delay_alu instid0(VALU_DEP_1)
	v_add_nc_u32_e32 v4, 0x38000000, v0
.LBB6_3304:                             ;   in Loop: Header=BB6_130 Depth=2
	s_and_not1_saveexec_b32 s41, s10
; %bb.3305:                             ;   in Loop: Header=BB6_130 Depth=2
	v_cmp_lt_i32_e64 s10, -1, v0
	v_mov_b32_e32 v0, 0x7f800000
	v_cmp_eq_u32_e32 vcc_lo, 0, v5
	s_delay_alu instid0(VALU_DEP_2) | instskip(NEXT) | instid1(VALU_DEP_1)
	v_cndmask_b32_e64 v0, 0xff800000, v0, s10
	v_cndmask_b32_e32 v4, 0x7f800001, v0, vcc_lo
; %bb.3306:                             ;   in Loop: Header=BB6_130 Depth=2
	s_or_b32 exec_lo, exec_lo, s41
.LBB6_3307:                             ;   in Loop: Header=BB6_130 Depth=2
	s_delay_alu instid0(SALU_CYCLE_1)
	s_or_b32 exec_lo, exec_lo, s40
.LBB6_3308:                             ;   in Loop: Header=BB6_130 Depth=2
	s_delay_alu instid0(SALU_CYCLE_1) | instskip(NEXT) | instid1(SALU_CYCLE_1)
	s_or_b32 exec_lo, exec_lo, s29
	s_mov_b32 s29, exec_lo
	v_cmpx_lt_u64_e64 s[12:13], v[20:21]
	s_cbranch_execz .LBB6_3318
; %bb.3309:                             ;   in Loop: Header=BB6_130 Depth=2
	v_lshrrev_b32_e32 v0, 24, v21
	v_bfrev_b32_e32 v3, 1
	s_mov_b32 s40, exec_lo
	s_delay_alu instid0(VALU_DEP_2)
	v_cmpx_ne_u32_e32 0x80, v0
	s_cbranch_execz .LBB6_3317
; %bb.3310:                             ;   in Loop: Header=BB6_130 Depth=2
	v_and_b32_e32 v3, 0x7c000000, v21
	v_bfe_u32 v2, v21, 24, 2
	s_delay_alu instid0(VALU_DEP_2) | instskip(SKIP_1) | instid1(SALU_CYCLE_1)
	v_cmp_ne_u32_e32 vcc_lo, 0x7c000000, v3
                                        ; implicit-def: $vgpr3
	s_and_saveexec_b32 s10, vcc_lo
	s_xor_b32 s10, exec_lo, s10
	s_cbranch_execz .LBB6_3314
; %bb.3311:                             ;   in Loop: Header=BB6_130 Depth=2
	v_bfe_u32 v3, v21, 26, 5
	s_mov_b32 s41, exec_lo
	s_delay_alu instid0(VALU_DEP_1)
	v_cmpx_eq_u32_e32 0, v3
; %bb.3312:                             ;   in Loop: Header=BB6_130 Depth=2
	v_clz_i32_u32_e32 v2, v2
	s_delay_alu instid0(VALU_DEP_1) | instskip(NEXT) | instid1(VALU_DEP_1)
	v_min_u32_e32 v5, 32, v2
	v_subrev_nc_u32_e32 v2, 29, v5
	s_delay_alu instid0(VALU_DEP_1) | instskip(NEXT) | instid1(VALU_DEP_1)
	v_lshlrev_b64_e32 v[2:3], v2, v[0:1]
	v_dual_sub_nc_u32 v3, 30, v5 :: v_dual_bitop2_b32 v2, 3, v2 bitop3:0x40
; %bb.3313:                             ;   in Loop: Header=BB6_130 Depth=2
	s_or_b32 exec_lo, exec_lo, s41
	v_and_b32_e32 v0, 0x80000000, v21
                                        ; implicit-def: $vgpr20_vgpr21
	s_delay_alu instid0(VALU_DEP_1) | instskip(NEXT) | instid1(VALU_DEP_1)
	v_lshl_add_u32 v0, v3, 23, v0
	v_lshl_or_b32 v0, v2, 21, v0
                                        ; implicit-def: $vgpr2
	s_delay_alu instid0(VALU_DEP_1)
	v_add_nc_u32_e32 v3, 0x38000000, v0
.LBB6_3314:                             ;   in Loop: Header=BB6_130 Depth=2
	s_and_not1_saveexec_b32 s41, s10
; %bb.3315:                             ;   in Loop: Header=BB6_130 Depth=2
	v_cmp_lt_i64_e64 s10, -1, v[20:21]
	v_mov_b32_e32 v0, 0x7f800000
	v_cmp_eq_u32_e32 vcc_lo, 0, v2
	s_delay_alu instid0(VALU_DEP_2) | instskip(NEXT) | instid1(VALU_DEP_1)
	v_cndmask_b32_e64 v0, 0xff800000, v0, s10
	v_cndmask_b32_e32 v3, 0x7f800001, v0, vcc_lo
; %bb.3316:                             ;   in Loop: Header=BB6_130 Depth=2
	s_or_b32 exec_lo, exec_lo, s41
.LBB6_3317:                             ;   in Loop: Header=BB6_130 Depth=2
	s_delay_alu instid0(SALU_CYCLE_1)
	s_or_b32 exec_lo, exec_lo, s40
.LBB6_3318:                             ;   in Loop: Header=BB6_130 Depth=2
	s_delay_alu instid0(SALU_CYCLE_1) | instskip(NEXT) | instid1(VALU_DEP_1)
	s_or_b32 exec_lo, exec_lo, s29
	v_dual_add_f32 v2, v4, v3 :: v_dual_mov_b32 v5, v1
                                        ; implicit-def: $vgpr20
	s_mov_b32 s10, exec_lo
	s_delay_alu instid0(VALU_DEP_1) | instskip(SKIP_2) | instid1(VALU_DEP_3)
	v_and_b32_e32 v4, 0x7f800000, v2
	v_and_b32_e32 v0, 0x7fffff, v2
	v_lshrrev_b32_e32 v3, 24, v2
	v_cmpx_ne_u64_e32 0x7f800000, v[4:5]
	s_xor_b32 s29, exec_lo, s10
	s_cbranch_execz .LBB6_3332
; %bb.3319:                             ;   in Loop: Header=BB6_130 Depth=2
	v_and_b32_e32 v4, 0x7fffffff, v2
	v_mov_b32_e32 v5, v1
	v_and_b32_e32 v21, 0x80, v3
                                        ; implicit-def: $vgpr20
	s_mov_b32 s10, exec_lo
	s_delay_alu instid0(VALU_DEP_2)
	v_cmpx_gt_u64_e32 0x47600001, v[4:5]
	s_xor_b32 s40, exec_lo, s10
	s_cbranch_execz .LBB6_3329
; %bb.3320:                             ;   in Loop: Header=BB6_130 Depth=2
	v_mov_b32_e32 v20, 0
	s_mov_b32 s41, exec_lo
	v_cmpx_ne_u32_e32 0, v2
	s_cbranch_execz .LBB6_3328
; %bb.3321:                             ;   in Loop: Header=BB6_130 Depth=2
	v_bfe_u32 v20, v2, 23, 8
	v_or_b32_e32 v3, 0x800000, v0
	s_delay_alu instid0(VALU_DEP_2) | instskip(SKIP_2) | instid1(VALU_DEP_2)
	v_cmp_gt_u32_e64 s10, 0x72, v20
	v_sub_nc_u32_e32 v2, 0x71, v20
	v_cmp_eq_u32_e32 vcc_lo, 0, v20
	v_cndmask_b32_e64 v2, 0, v2, s10
	s_delay_alu instid0(VALU_DEP_1) | instskip(SKIP_1) | instid1(VALU_DEP_2)
	v_cndmask_b32_e64 v40, v2, 0x70, vcc_lo
	v_dual_cndmask_b32 v2, v3, v0 :: v_dual_mov_b32 v3, v1
	v_add_nc_u32_e32 v0, 21, v40
	s_delay_alu instid0(VALU_DEP_1) | instskip(SKIP_1) | instid1(VALU_DEP_1)
	v_lshlrev_b64_e64 v[4:5], v0, -1
	v_add_nc_u32_e32 v0, 20, v40
	v_lshlrev_b64_e64 v[62:63], v0, 1
	s_delay_alu instid0(VALU_DEP_3) | instskip(SKIP_2) | instid1(VALU_DEP_1)
	v_bfi_b32 v4, v4, 0, v2
	v_lshrrev_b64 v[2:3], v40, v[2:3]
	v_bfi_b32 v5, v5, 0, 0
	v_cmp_eq_u64_e64 s10, v[4:5], v[62:63]
	s_delay_alu instid0(VALU_DEP_3)
	v_mov_b64_e32 v[4:5], v[2:3]
	s_and_saveexec_b32 s42, s10
; %bb.3322:                             ;   in Loop: Header=BB6_130 Depth=2
	v_bfe_u32 v4, v2, 21, 1
	v_mov_b32_e32 v5, v1
	s_delay_alu instid0(VALU_DEP_1) | instskip(NEXT) | instid1(VALU_DEP_1)
	v_add_nc_u64_e32 v[4:5], v[2:3], v[4:5]
	v_add_nc_u64_e32 v[4:5], -1, v[4:5]
; %bb.3323:                             ;   in Loop: Header=BB6_130 Depth=2
	s_or_b32 exec_lo, exec_lo, s42
	v_add_nc_u32_e32 v0, 0xffffff81, v20
	s_delay_alu instid0(VALU_DEP_2) | instskip(SKIP_2) | instid1(VALU_DEP_3)
	v_and_b32_e32 v4, 0x1fffff, v4
	v_lshrrev_b32_e32 v3, 23, v2
	s_mov_b32 s10, exec_lo
	v_cndmask_b32_e64 v0, v0, 0xffffff82, vcc_lo
	s_delay_alu instid0(VALU_DEP_1) | instskip(SKIP_1) | instid1(VALU_DEP_2)
	v_add3_u32 v20, v40, v0, v3
	v_add_nc_u32_e32 v0, v4, v2
                                        ; implicit-def: $vgpr2_vgpr3
                                        ; implicit-def: $vgpr4
	v_add_nc_u32_e32 v5, 14, v20
	s_delay_alu instid0(VALU_DEP_1)
	v_cmpx_ne_u32_e32 0, v5
	s_xor_b32 s10, exec_lo, s10
; %bb.3324:                             ;   in Loop: Header=BB6_130 Depth=2
	s_delay_alu instid0(VALU_DEP_3) | instskip(SKIP_1) | instid1(VALU_DEP_1)
	v_cmp_lt_u64_e32 vcc_lo, 0xffffff, v[0:1]
	v_add_nc_u32_e32 v2, 15, v20
	v_cndmask_b32_e32 v4, v5, v2, vcc_lo
	v_cndmask_b32_e64 v2, 0, 1, vcc_lo
	s_delay_alu instid0(VALU_DEP_1)
	v_lshrrev_b64 v[2:3], v2, v[0:1]
; %bb.3325:                             ;   in Loop: Header=BB6_130 Depth=2
	s_and_not1_saveexec_b32 s10, s10
; %bb.3326:                             ;   in Loop: Header=BB6_130 Depth=2
	v_mov_b64_e32 v[2:3], v[0:1]
	v_bfe_u32 v4, v0, 23, 1
; %bb.3327:                             ;   in Loop: Header=BB6_130 Depth=2
	s_or_b32 exec_lo, exec_lo, s10
	s_delay_alu instid0(VALU_DEP_2) | instskip(NEXT) | instid1(VALU_DEP_2)
	v_lshrrev_b64 v[2:3], 21, v[2:3]
	v_cmp_gt_i32_e32 vcc_lo, 32, v4
	v_min_i32_e32 v0, 31, v4
	v_cmp_eq_u32_e64 s10, 0, v4
	s_delay_alu instid0(VALU_DEP_2) | instskip(SKIP_1) | instid1(VALU_DEP_2)
	v_dual_cndmask_b32 v3, 0, v3 :: v_dual_lshlrev_b32 v0, 2, v0
	v_cndmask_b32_e32 v2, 3, v2, vcc_lo
	v_and_b32_e32 v0, 0xfc, v0
	s_delay_alu instid0(VALU_DEP_2) | instskip(NEXT) | instid1(VALU_DEP_2)
	v_cmp_eq_u64_e32 vcc_lo, 0, v[2:3]
	v_and_or_b32 v0, v2, 3, v0
	s_and_b32 s10, s10, vcc_lo
	s_delay_alu instid0(VALU_DEP_1) | instid1(SALU_CYCLE_1)
	v_cndmask_b32_e64 v0, v0, 0, s10
	s_delay_alu instid0(VALU_DEP_1)
	v_or_b32_e32 v20, v0, v21
.LBB6_3328:                             ;   in Loop: Header=BB6_130 Depth=2
	s_or_b32 exec_lo, exec_lo, s41
                                        ; implicit-def: $vgpr21
.LBB6_3329:                             ;   in Loop: Header=BB6_130 Depth=2
	s_and_not1_saveexec_b32 s10, s40
; %bb.3330:                             ;   in Loop: Header=BB6_130 Depth=2
	v_or_b32_e32 v20, 0x7b, v21
; %bb.3331:                             ;   in Loop: Header=BB6_130 Depth=2
	s_or_b32 exec_lo, exec_lo, s10
                                        ; implicit-def: $vgpr2
                                        ; implicit-def: $vgpr3
.LBB6_3332:                             ;   in Loop: Header=BB6_130 Depth=2
	s_and_not1_saveexec_b32 s10, s29
	s_cbranch_execz .LBB6_3338
; %bb.3333:                             ;   in Loop: Header=BB6_130 Depth=2
	s_mov_b32 s29, exec_lo
                                        ; implicit-def: $vgpr20
	v_cmpx_ne_u64_e32 0, v[0:1]
	s_xor_b32 s29, exec_lo, s29
; %bb.3334:                             ;   in Loop: Header=BB6_130 Depth=2
	v_or_b32_e32 v20, 0x7f, v3
                                        ; implicit-def: $vgpr2
; %bb.3335:                             ;   in Loop: Header=BB6_130 Depth=2
	s_and_not1_saveexec_b32 s29, s29
; %bb.3336:                             ;   in Loop: Header=BB6_130 Depth=2
	v_cmp_lt_i32_e32 vcc_lo, -1, v2
	v_mov_b32_e32 v0, 0x7c
	s_delay_alu instid0(VALU_DEP_1)
	v_cndmask_b32_e32 v20, 0xfc, v0, vcc_lo
; %bb.3337:                             ;   in Loop: Header=BB6_130 Depth=2
	s_or_b32 exec_lo, exec_lo, s29
.LBB6_3338:                             ;   in Loop: Header=BB6_130 Depth=2
	s_delay_alu instid0(SALU_CYCLE_1) | instskip(SKIP_4) | instid1(VALU_DEP_2)
	s_or_b32 exec_lo, exec_lo, s10
	v_lshl_or_b32 v82, v82, 8, v80
	v_dual_lshlrev_b32 v0, 16, v86 :: v_dual_lshlrev_b32 v2, 24, v97
	s_mov_b32 s29, exec_lo
	v_mov_b32_e32 v3, 0
	v_or3_b32 v0, v0, v2, v82
	v_mov_b32_e32 v2, 0
	v_cmpx_ne_u32_e32 0, v80
	s_cbranch_execz .LBB6_3348
; %bb.3339:                             ;   in Loop: Header=BB6_130 Depth=2
	v_bfrev_b32_e32 v3, 1
	s_mov_b32 s40, exec_lo
	v_cmpx_ne_u32_e32 0x80, v80
	s_cbranch_execz .LBB6_3347
; %bb.3340:                             ;   in Loop: Header=BB6_130 Depth=2
	v_and_b32_e32 v3, 0x7c, v80
	v_and_b32_e32 v4, 3, v80
	s_delay_alu instid0(VALU_DEP_2) | instskip(SKIP_1) | instid1(SALU_CYCLE_1)
	v_cmp_ne_u32_e32 vcc_lo, 0x7c, v3
                                        ; implicit-def: $vgpr3
	s_and_saveexec_b32 s10, vcc_lo
	s_xor_b32 s10, exec_lo, s10
	s_cbranch_execz .LBB6_3344
; %bb.3341:                             ;   in Loop: Header=BB6_130 Depth=2
	v_bfe_u32 v3, v80, 2, 5
	s_mov_b32 s41, exec_lo
	s_delay_alu instid0(VALU_DEP_1)
	v_cmpx_eq_u32_e32 0, v3
; %bb.3342:                             ;   in Loop: Header=BB6_130 Depth=2
	v_clz_i32_u32_e32 v3, v4
	s_delay_alu instid0(VALU_DEP_1) | instskip(NEXT) | instid1(VALU_DEP_1)
	v_min_u32_e32 v3, 32, v3
	v_subrev_nc_u32_e32 v4, 29, v3
	s_delay_alu instid0(VALU_DEP_1) | instskip(NEXT) | instid1(VALU_DEP_1)
	v_lshlrev_b64_e32 v[4:5], v4, v[0:1]
	v_dual_sub_nc_u32 v3, 30, v3 :: v_dual_bitop2_b32 v4, 3, v4 bitop3:0x40
; %bb.3343:                             ;   in Loop: Header=BB6_130 Depth=2
	s_or_b32 exec_lo, exec_lo, s41
	v_lshlrev_b32_e32 v5, 24, v80
                                        ; implicit-def: $vgpr80
	s_delay_alu instid0(VALU_DEP_1) | instskip(NEXT) | instid1(VALU_DEP_1)
	v_and_b32_e32 v5, 0x80000000, v5
	v_lshl_add_u32 v3, v3, 23, v5
	s_delay_alu instid0(VALU_DEP_1) | instskip(NEXT) | instid1(VALU_DEP_1)
	v_lshl_or_b32 v3, v4, 21, v3
                                        ; implicit-def: $vgpr4
	v_add_nc_u32_e32 v3, 0x38000000, v3
.LBB6_3344:                             ;   in Loop: Header=BB6_130 Depth=2
	s_and_not1_saveexec_b32 s41, s10
; %bb.3345:                             ;   in Loop: Header=BB6_130 Depth=2
	v_and_b32_e32 v3, 0x80, v80
	v_cmp_eq_u32_e32 vcc_lo, 0, v4
	s_delay_alu instid0(VALU_DEP_2) | instskip(SKIP_1) | instid1(VALU_DEP_1)
	v_cmp_eq_u32_e64 s10, 0, v3
	v_mov_b32_e32 v3, 0x7f800000
	v_cndmask_b32_e64 v3, 0xff800000, v3, s10
	s_delay_alu instid0(VALU_DEP_1)
	v_cndmask_b32_e32 v3, 0x7f800001, v3, vcc_lo
; %bb.3346:                             ;   in Loop: Header=BB6_130 Depth=2
	s_or_b32 exec_lo, exec_lo, s41
.LBB6_3347:                             ;   in Loop: Header=BB6_130 Depth=2
	s_delay_alu instid0(SALU_CYCLE_1)
	s_or_b32 exec_lo, exec_lo, s40
.LBB6_3348:                             ;   in Loop: Header=BB6_130 Depth=2
	s_delay_alu instid0(SALU_CYCLE_1) | instskip(SKIP_3) | instid1(VALU_DEP_1)
	s_or_b32 exec_lo, exec_lo, s29
	s_wait_loadcnt 0x1
	v_and_b32_e32 v4, 0xff, v14
	s_mov_b32 s29, exec_lo
	v_cmpx_ne_u16_e32 0, v4
	s_cbranch_execz .LBB6_3358
; %bb.3349:                             ;   in Loop: Header=BB6_130 Depth=2
	v_bfe_i32 v5, v14, 0, 8
	v_bfrev_b32_e32 v2, 1
	s_mov_b32 s40, exec_lo
	s_delay_alu instid0(VALU_DEP_2)
	v_cmpx_ne_u16_e32 0xff80, v5
	s_cbranch_execz .LBB6_3357
; %bb.3350:                             ;   in Loop: Header=BB6_130 Depth=2
	v_and_b32_e32 v2, 0x7c, v14
	v_and_b32_e32 v4, 3, v14
	s_delay_alu instid0(VALU_DEP_2) | instskip(SKIP_1) | instid1(SALU_CYCLE_1)
	v_cmp_ne_u32_e32 vcc_lo, 0x7c, v2
                                        ; implicit-def: $vgpr2
	s_and_saveexec_b32 s10, vcc_lo
	s_xor_b32 s10, exec_lo, s10
	s_cbranch_execz .LBB6_3354
; %bb.3351:                             ;   in Loop: Header=BB6_130 Depth=2
	v_bfe_u32 v2, v14, 2, 5
	s_mov_b32 s41, exec_lo
	s_delay_alu instid0(VALU_DEP_1)
	v_cmpx_eq_u32_e32 0, v2
; %bb.3352:                             ;   in Loop: Header=BB6_130 Depth=2
	v_clz_i32_u32_e32 v2, v4
	s_delay_alu instid0(VALU_DEP_1) | instskip(NEXT) | instid1(VALU_DEP_1)
	v_min_u32_e32 v2, 32, v2
	v_subrev_nc_u32_e32 v4, 29, v2
	s_delay_alu instid0(VALU_DEP_1) | instskip(NEXT) | instid1(VALU_DEP_1)
	v_lshlrev_b64_e32 v[4:5], v4, v[14:15]
	v_dual_sub_nc_u32 v2, 30, v2 :: v_dual_bitop2_b32 v4, 3, v4 bitop3:0x40
; %bb.3353:                             ;   in Loop: Header=BB6_130 Depth=2
	s_or_b32 exec_lo, exec_lo, s41
	v_lshlrev_b32_e32 v5, 24, v14
	s_delay_alu instid0(VALU_DEP_1) | instskip(NEXT) | instid1(VALU_DEP_1)
	v_and_b32_e32 v5, 0x80000000, v5
	v_lshl_add_u32 v2, v2, 23, v5
                                        ; implicit-def: $vgpr5
	s_delay_alu instid0(VALU_DEP_1) | instskip(NEXT) | instid1(VALU_DEP_1)
	v_lshl_or_b32 v2, v4, 21, v2
                                        ; implicit-def: $vgpr4
	v_add_nc_u32_e32 v2, 0x38000000, v2
.LBB6_3354:                             ;   in Loop: Header=BB6_130 Depth=2
	s_and_not1_saveexec_b32 s41, s10
; %bb.3355:                             ;   in Loop: Header=BB6_130 Depth=2
	v_cmp_lt_i16_e64 s10, -1, v5
	v_mov_b32_e32 v2, 0x7f800000
	v_cmp_eq_u32_e32 vcc_lo, 0, v4
	s_delay_alu instid0(VALU_DEP_2) | instskip(NEXT) | instid1(VALU_DEP_1)
	v_cndmask_b32_e64 v2, 0xff800000, v2, s10
	v_cndmask_b32_e32 v2, 0x7f800001, v2, vcc_lo
; %bb.3356:                             ;   in Loop: Header=BB6_130 Depth=2
	s_or_b32 exec_lo, exec_lo, s41
.LBB6_3357:                             ;   in Loop: Header=BB6_130 Depth=2
	s_delay_alu instid0(SALU_CYCLE_1)
	s_or_b32 exec_lo, exec_lo, s40
.LBB6_3358:                             ;   in Loop: Header=BB6_130 Depth=2
	s_delay_alu instid0(SALU_CYCLE_1) | instskip(NEXT) | instid1(VALU_DEP_1)
	s_or_b32 exec_lo, exec_lo, s29
	v_dual_add_f32 v4, v3, v2 :: v_dual_mov_b32 v63, v1
	v_mov_b32_e32 v3, v1
                                        ; implicit-def: $vgpr21
	s_mov_b32 s10, exec_lo
	s_delay_alu instid0(VALU_DEP_2) | instskip(SKIP_2) | instid1(VALU_DEP_3)
	v_and_b32_e32 v62, 0x7f800000, v4
	v_and_b32_e32 v2, 0x7fffff, v4
	v_lshrrev_b32_e32 v5, 24, v4
	v_cmpx_ne_u64_e32 0x7f800000, v[62:63]
	s_xor_b32 s29, exec_lo, s10
	s_cbranch_execz .LBB6_3372
; %bb.3359:                             ;   in Loop: Header=BB6_130 Depth=2
	v_and_b32_e32 v62, 0x7fffffff, v4
	v_mov_b32_e32 v63, v1
	v_and_b32_e32 v80, 0x80, v5
                                        ; implicit-def: $vgpr21
	s_mov_b32 s10, exec_lo
	s_delay_alu instid0(VALU_DEP_2)
	v_cmpx_gt_u64_e32 0x47600001, v[62:63]
	s_xor_b32 s40, exec_lo, s10
	s_cbranch_execz .LBB6_3369
; %bb.3360:                             ;   in Loop: Header=BB6_130 Depth=2
	v_mov_b32_e32 v21, 0
	s_mov_b32 s41, exec_lo
	v_cmpx_ne_u32_e32 0, v4
	s_cbranch_execz .LBB6_3368
; %bb.3361:                             ;   in Loop: Header=BB6_130 Depth=2
	v_bfe_u32 v21, v4, 23, 8
	v_or_b32_e32 v5, 0x800000, v2
	s_delay_alu instid0(VALU_DEP_2) | instskip(SKIP_2) | instid1(VALU_DEP_2)
	v_cmp_gt_u32_e64 s10, 0x72, v21
	v_sub_nc_u32_e32 v4, 0x71, v21
	v_cmp_eq_u32_e32 vcc_lo, 0, v21
	v_dual_cndmask_b32 v4, 0, v4, s10 :: v_dual_cndmask_b32 v2, v5, v2, vcc_lo
	s_delay_alu instid0(VALU_DEP_1) | instskip(NEXT) | instid1(VALU_DEP_1)
	v_cndmask_b32_e64 v86, v4, 0x70, vcc_lo
	v_dual_add_nc_u32 v4, 21, v86 :: v_dual_add_nc_u32 v97, 20, v86
	s_delay_alu instid0(VALU_DEP_1) | instskip(NEXT) | instid1(VALU_DEP_2)
	v_lshlrev_b64_e64 v[4:5], v4, -1
	v_lshlrev_b64_e64 v[62:63], v97, 1
	s_delay_alu instid0(VALU_DEP_2) | instskip(SKIP_1) | instid1(VALU_DEP_4)
	v_bfi_b32 v4, v4, 0, v2
	v_lshrrev_b64 v[2:3], v86, v[2:3]
	v_bfi_b32 v5, v5, 0, 0
	s_delay_alu instid0(VALU_DEP_1) | instskip(NEXT) | instid1(VALU_DEP_3)
	v_cmp_eq_u64_e64 s10, v[4:5], v[62:63]
	v_mov_b64_e32 v[4:5], v[2:3]
	s_and_saveexec_b32 s42, s10
; %bb.3362:                             ;   in Loop: Header=BB6_130 Depth=2
	v_bfe_u32 v4, v2, 21, 1
	v_mov_b32_e32 v5, v1
	s_delay_alu instid0(VALU_DEP_1) | instskip(NEXT) | instid1(VALU_DEP_1)
	v_add_nc_u64_e32 v[4:5], v[2:3], v[4:5]
	v_add_nc_u64_e32 v[4:5], -1, v[4:5]
; %bb.3363:                             ;   in Loop: Header=BB6_130 Depth=2
	s_or_b32 exec_lo, exec_lo, s42
	v_add_nc_u32_e32 v3, 0xffffff81, v21
	v_lshrrev_b32_e32 v5, 23, v2
	s_mov_b32 s10, exec_lo
	s_delay_alu instid0(VALU_DEP_2) | instskip(NEXT) | instid1(VALU_DEP_1)
	v_cndmask_b32_e64 v3, v3, 0xffffff82, vcc_lo
	v_add3_u32 v21, v86, v3, v5
	v_and_b32_e32 v3, 0x1fffff, v4
                                        ; implicit-def: $vgpr4
	s_delay_alu instid0(VALU_DEP_1) | instskip(SKIP_1) | instid1(VALU_DEP_2)
	v_dual_add_nc_u32 v5, 14, v21 :: v_dual_add_nc_u32 v2, v3, v2
	v_mov_b32_e32 v3, v1
	v_cmpx_ne_u32_e32 0, v5
	s_xor_b32 s10, exec_lo, s10
; %bb.3364:                             ;   in Loop: Header=BB6_130 Depth=2
	s_delay_alu instid0(VALU_DEP_2) | instskip(SKIP_1) | instid1(VALU_DEP_1)
	v_cmp_lt_u64_e32 vcc_lo, 0xffffff, v[2:3]
	v_add_nc_u32_e32 v4, 15, v21
	v_cndmask_b32_e32 v4, v5, v4, vcc_lo
	v_cndmask_b32_e64 v5, 0, 1, vcc_lo
	s_delay_alu instid0(VALU_DEP_1)
	v_lshrrev_b64 v[2:3], v5, v[2:3]
; %bb.3365:                             ;   in Loop: Header=BB6_130 Depth=2
	s_and_not1_saveexec_b32 s10, s10
; %bb.3366:                             ;   in Loop: Header=BB6_130 Depth=2
	s_delay_alu instid0(VALU_DEP_1)
	v_bfe_u32 v4, v2, 23, 1
; %bb.3367:                             ;   in Loop: Header=BB6_130 Depth=2
	s_or_b32 exec_lo, exec_lo, s10
	s_delay_alu instid0(VALU_DEP_2) | instskip(NEXT) | instid1(VALU_DEP_2)
	v_lshrrev_b64 v[2:3], 21, v[2:3]
	v_cmp_gt_i32_e32 vcc_lo, 32, v4
	v_min_i32_e32 v5, 31, v4
	v_cmp_eq_u32_e64 s10, 0, v4
	s_delay_alu instid0(VALU_DEP_2) | instskip(SKIP_1) | instid1(VALU_DEP_2)
	v_dual_cndmask_b32 v3, 0, v3, vcc_lo :: v_dual_lshlrev_b32 v5, 2, v5
	v_cndmask_b32_e32 v2, 3, v2, vcc_lo
	v_and_b32_e32 v5, 0xfc, v5
	s_delay_alu instid0(VALU_DEP_2) | instskip(NEXT) | instid1(VALU_DEP_2)
	v_cmp_eq_u64_e32 vcc_lo, 0, v[2:3]
	v_and_or_b32 v2, v2, 3, v5
	s_and_b32 s10, s10, vcc_lo
	s_delay_alu instid0(VALU_DEP_1) | instid1(SALU_CYCLE_1)
	v_cndmask_b32_e64 v2, v2, 0, s10
	s_delay_alu instid0(VALU_DEP_1)
	v_or_b32_e32 v21, v2, v80
.LBB6_3368:                             ;   in Loop: Header=BB6_130 Depth=2
	s_or_b32 exec_lo, exec_lo, s41
                                        ; implicit-def: $vgpr80
.LBB6_3369:                             ;   in Loop: Header=BB6_130 Depth=2
	s_and_not1_saveexec_b32 s10, s40
; %bb.3370:                             ;   in Loop: Header=BB6_130 Depth=2
	v_or_b32_e32 v21, 0x7b, v80
; %bb.3371:                             ;   in Loop: Header=BB6_130 Depth=2
	s_or_b32 exec_lo, exec_lo, s10
                                        ; implicit-def: $vgpr4
                                        ; implicit-def: $vgpr2_vgpr3
                                        ; implicit-def: $vgpr5
.LBB6_3372:                             ;   in Loop: Header=BB6_130 Depth=2
	s_and_not1_saveexec_b32 s10, s29
	s_cbranch_execz .LBB6_3378
; %bb.3373:                             ;   in Loop: Header=BB6_130 Depth=2
	s_mov_b32 s29, exec_lo
                                        ; implicit-def: $vgpr21
	v_cmpx_ne_u64_e32 0, v[2:3]
	s_xor_b32 s29, exec_lo, s29
; %bb.3374:                             ;   in Loop: Header=BB6_130 Depth=2
	v_or_b32_e32 v21, 0x7f, v5
                                        ; implicit-def: $vgpr4
; %bb.3375:                             ;   in Loop: Header=BB6_130 Depth=2
	s_and_not1_saveexec_b32 s29, s29
; %bb.3376:                             ;   in Loop: Header=BB6_130 Depth=2
	v_cmp_lt_i32_e32 vcc_lo, -1, v4
	v_mov_b32_e32 v2, 0x7c
	s_delay_alu instid0(VALU_DEP_1)
	v_cndmask_b32_e32 v21, 0xfc, v2, vcc_lo
; %bb.3377:                             ;   in Loop: Header=BB6_130 Depth=2
	s_or_b32 exec_lo, exec_lo, s29
.LBB6_3378:                             ;   in Loop: Header=BB6_130 Depth=2
	s_delay_alu instid0(SALU_CYCLE_1) | instskip(SKIP_3) | instid1(VALU_DEP_2)
	s_or_b32 exec_lo, exec_lo, s10
	v_lshrrev_b16 v2, 8, v82
	v_dual_mov_b32 v4, 0 :: v_dual_mov_b32 v5, 0
	s_mov_b32 s29, exec_lo
	v_cmpx_ne_u16_e32 0, v2
	s_cbranch_execz .LBB6_3388
; %bb.3379:                             ;   in Loop: Header=BB6_130 Depth=2
	v_bfrev_b32_e32 v5, 1
	s_mov_b32 s40, exec_lo
	v_cmpx_ne_u16_e32 0x80, v2
	s_cbranch_execz .LBB6_3387
; %bb.3380:                             ;   in Loop: Header=BB6_130 Depth=2
	v_and_b32_e32 v80, 0xffff, v2
	s_delay_alu instid0(VALU_DEP_1) | instskip(SKIP_1) | instid1(VALU_DEP_2)
	v_and_b32_e32 v5, 0x7c, v80
	v_and_b32_e32 v3, 3, v80
	v_cmp_ne_u32_e32 vcc_lo, 0x7c, v5
                                        ; implicit-def: $vgpr5
	s_and_saveexec_b32 s10, vcc_lo
	s_delay_alu instid0(SALU_CYCLE_1)
	s_xor_b32 s10, exec_lo, s10
	s_cbranch_execz .LBB6_3384
; %bb.3381:                             ;   in Loop: Header=BB6_130 Depth=2
	v_bfe_u32 v5, v80, 2, 5
	s_mov_b32 s41, exec_lo
	s_delay_alu instid0(VALU_DEP_1)
	v_cmpx_eq_u32_e32 0, v5
	s_cbranch_execz .LBB6_3383
; %bb.3382:                             ;   in Loop: Header=BB6_130 Depth=2
	v_clz_i32_u32_e32 v3, v3
	s_delay_alu instid0(VALU_DEP_1) | instskip(SKIP_1) | instid1(VALU_DEP_2)
	v_min_u32_e32 v5, 32, v3
	v_mov_b32_e32 v3, v1
	v_subrev_nc_u32_e32 v80, 29, v5
	v_sub_nc_u32_e32 v5, 30, v5
	s_delay_alu instid0(VALU_DEP_2) | instskip(NEXT) | instid1(VALU_DEP_1)
	v_lshlrev_b64_e32 v[2:3], v80, v[2:3]
	v_and_b32_e32 v3, 3, v2
.LBB6_3383:                             ;   in Loop: Header=BB6_130 Depth=2
	s_or_b32 exec_lo, exec_lo, s41
	v_lshlrev_b32_e32 v2, 16, v82
                                        ; implicit-def: $vgpr82
	s_delay_alu instid0(VALU_DEP_1) | instskip(NEXT) | instid1(VALU_DEP_1)
	v_and_b32_e32 v2, 0x80000000, v2
	v_lshl_add_u32 v2, v5, 23, v2
	s_delay_alu instid0(VALU_DEP_1) | instskip(NEXT) | instid1(VALU_DEP_1)
	v_lshl_or_b32 v2, v3, 21, v2
                                        ; implicit-def: $vgpr3
	v_add_nc_u32_e32 v5, 0x38000000, v2
.LBB6_3384:                             ;   in Loop: Header=BB6_130 Depth=2
	s_and_not1_saveexec_b32 s41, s10
; %bb.3385:                             ;   in Loop: Header=BB6_130 Depth=2
	v_cmp_lt_i16_e64 s10, -1, v82
	v_mov_b32_e32 v2, 0x7f800000
	v_cmp_eq_u32_e32 vcc_lo, 0, v3
	s_delay_alu instid0(VALU_DEP_2) | instskip(NEXT) | instid1(VALU_DEP_1)
	v_cndmask_b32_e64 v2, 0xff800000, v2, s10
	v_cndmask_b32_e32 v5, 0x7f800001, v2, vcc_lo
; %bb.3386:                             ;   in Loop: Header=BB6_130 Depth=2
	s_or_b32 exec_lo, exec_lo, s41
.LBB6_3387:                             ;   in Loop: Header=BB6_130 Depth=2
	s_delay_alu instid0(SALU_CYCLE_1)
	s_or_b32 exec_lo, exec_lo, s40
.LBB6_3388:                             ;   in Loop: Header=BB6_130 Depth=2
	s_delay_alu instid0(SALU_CYCLE_1) | instskip(SKIP_2) | instid1(VALU_DEP_1)
	s_or_b32 exec_lo, exec_lo, s29
	v_lshrrev_b16 v2, 8, v14
	s_mov_b32 s29, exec_lo
	v_cmpx_ne_u16_e32 0, v2
	s_cbranch_execz .LBB6_3398
; %bb.3389:                             ;   in Loop: Header=BB6_130 Depth=2
	v_bfrev_b32_e32 v4, 1
	s_mov_b32 s40, exec_lo
	v_cmpx_ne_u16_e32 0x80, v2
	s_cbranch_execz .LBB6_3397
; %bb.3390:                             ;   in Loop: Header=BB6_130 Depth=2
	v_and_b32_e32 v80, 0xffff, v2
	s_delay_alu instid0(VALU_DEP_1) | instskip(SKIP_1) | instid1(VALU_DEP_2)
	v_and_b32_e32 v4, 0x7c, v80
	v_and_b32_e32 v3, 3, v80
	v_cmp_ne_u32_e32 vcc_lo, 0x7c, v4
                                        ; implicit-def: $vgpr4
	s_and_saveexec_b32 s10, vcc_lo
	s_delay_alu instid0(SALU_CYCLE_1)
	s_xor_b32 s10, exec_lo, s10
	s_cbranch_execz .LBB6_3394
; %bb.3391:                             ;   in Loop: Header=BB6_130 Depth=2
	v_bfe_u32 v4, v80, 2, 5
	s_mov_b32 s41, exec_lo
	s_delay_alu instid0(VALU_DEP_1)
	v_cmpx_eq_u32_e32 0, v4
	s_cbranch_execz .LBB6_3393
; %bb.3392:                             ;   in Loop: Header=BB6_130 Depth=2
	v_clz_i32_u32_e32 v3, v3
	s_delay_alu instid0(VALU_DEP_1) | instskip(SKIP_1) | instid1(VALU_DEP_2)
	v_min_u32_e32 v4, 32, v3
	v_mov_b32_e32 v3, v1
	v_subrev_nc_u32_e32 v80, 29, v4
	v_sub_nc_u32_e32 v4, 30, v4
	s_delay_alu instid0(VALU_DEP_2) | instskip(NEXT) | instid1(VALU_DEP_1)
	v_lshlrev_b64_e32 v[2:3], v80, v[2:3]
	v_and_b32_e32 v3, 3, v2
.LBB6_3393:                             ;   in Loop: Header=BB6_130 Depth=2
	s_or_b32 exec_lo, exec_lo, s41
	v_lshlrev_b32_e32 v2, 16, v14
	s_delay_alu instid0(VALU_DEP_1) | instskip(NEXT) | instid1(VALU_DEP_1)
	v_and_b32_e32 v2, 0x80000000, v2
	v_lshl_add_u32 v2, v4, 23, v2
	s_delay_alu instid0(VALU_DEP_1) | instskip(NEXT) | instid1(VALU_DEP_1)
	v_lshl_or_b32 v2, v3, 21, v2
                                        ; implicit-def: $vgpr3
	v_add_nc_u32_e32 v4, 0x38000000, v2
.LBB6_3394:                             ;   in Loop: Header=BB6_130 Depth=2
	s_and_not1_saveexec_b32 s41, s10
; %bb.3395:                             ;   in Loop: Header=BB6_130 Depth=2
	v_cmp_lt_i16_e64 s10, -1, v14
	v_mov_b32_e32 v2, 0x7f800000
	v_cmp_eq_u32_e32 vcc_lo, 0, v3
	s_delay_alu instid0(VALU_DEP_2) | instskip(NEXT) | instid1(VALU_DEP_1)
	v_cndmask_b32_e64 v2, 0xff800000, v2, s10
	v_cndmask_b32_e32 v4, 0x7f800001, v2, vcc_lo
; %bb.3396:                             ;   in Loop: Header=BB6_130 Depth=2
	s_or_b32 exec_lo, exec_lo, s41
.LBB6_3397:                             ;   in Loop: Header=BB6_130 Depth=2
	s_delay_alu instid0(SALU_CYCLE_1)
	s_or_b32 exec_lo, exec_lo, s40
.LBB6_3398:                             ;   in Loop: Header=BB6_130 Depth=2
	s_delay_alu instid0(SALU_CYCLE_1) | instskip(NEXT) | instid1(VALU_DEP_1)
	s_or_b32 exec_lo, exec_lo, s29
	v_add_f32_e32 v4, v5, v4
	v_dual_mov_b32 v63, v1 :: v_dual_mov_b32 v3, v1
                                        ; implicit-def: $vgpr80
	s_mov_b32 s10, exec_lo
	s_delay_alu instid0(VALU_DEP_2) | instskip(SKIP_2) | instid1(VALU_DEP_3)
	v_and_b32_e32 v62, 0x7f800000, v4
	v_and_b32_e32 v2, 0x7fffff, v4
	v_lshrrev_b32_e32 v5, 24, v4
	v_cmpx_ne_u64_e32 0x7f800000, v[62:63]
	s_xor_b32 s29, exec_lo, s10
	s_cbranch_execz .LBB6_3412
; %bb.3399:                             ;   in Loop: Header=BB6_130 Depth=2
	v_and_b32_e32 v62, 0x7fffffff, v4
	v_mov_b32_e32 v63, v1
	v_and_b32_e32 v82, 0x80, v5
                                        ; implicit-def: $vgpr80
	s_mov_b32 s10, exec_lo
	s_delay_alu instid0(VALU_DEP_2)
	v_cmpx_gt_u64_e32 0x47600001, v[62:63]
	s_xor_b32 s40, exec_lo, s10
	s_cbranch_execz .LBB6_3409
; %bb.3400:                             ;   in Loop: Header=BB6_130 Depth=2
	v_mov_b32_e32 v80, 0
	s_mov_b32 s41, exec_lo
	v_cmpx_ne_u32_e32 0, v4
	s_cbranch_execz .LBB6_3408
; %bb.3401:                             ;   in Loop: Header=BB6_130 Depth=2
	v_bfe_u32 v80, v4, 23, 8
	v_or_b32_e32 v5, 0x800000, v2
	s_delay_alu instid0(VALU_DEP_2) | instskip(SKIP_2) | instid1(VALU_DEP_2)
	v_cmp_gt_u32_e64 s10, 0x72, v80
	v_sub_nc_u32_e32 v4, 0x71, v80
	v_cmp_eq_u32_e32 vcc_lo, 0, v80
	v_dual_cndmask_b32 v4, 0, v4, s10 :: v_dual_cndmask_b32 v2, v5, v2, vcc_lo
	s_delay_alu instid0(VALU_DEP_1) | instskip(NEXT) | instid1(VALU_DEP_1)
	v_cndmask_b32_e64 v86, v4, 0x70, vcc_lo
	v_dual_add_nc_u32 v4, 21, v86 :: v_dual_add_nc_u32 v97, 20, v86
	s_delay_alu instid0(VALU_DEP_1) | instskip(NEXT) | instid1(VALU_DEP_2)
	v_lshlrev_b64_e64 v[4:5], v4, -1
	v_lshlrev_b64_e64 v[62:63], v97, 1
	s_delay_alu instid0(VALU_DEP_2) | instskip(SKIP_1) | instid1(VALU_DEP_4)
	v_bfi_b32 v4, v4, 0, v2
	v_lshrrev_b64 v[2:3], v86, v[2:3]
	v_bfi_b32 v5, v5, 0, 0
	s_delay_alu instid0(VALU_DEP_1) | instskip(NEXT) | instid1(VALU_DEP_3)
	v_cmp_eq_u64_e64 s10, v[4:5], v[62:63]
	v_mov_b64_e32 v[4:5], v[2:3]
	s_and_saveexec_b32 s42, s10
; %bb.3402:                             ;   in Loop: Header=BB6_130 Depth=2
	v_bfe_u32 v4, v2, 21, 1
	v_mov_b32_e32 v5, v1
	s_delay_alu instid0(VALU_DEP_1) | instskip(NEXT) | instid1(VALU_DEP_1)
	v_add_nc_u64_e32 v[4:5], v[2:3], v[4:5]
	v_add_nc_u64_e32 v[4:5], -1, v[4:5]
; %bb.3403:                             ;   in Loop: Header=BB6_130 Depth=2
	s_or_b32 exec_lo, exec_lo, s42
	v_add_nc_u32_e32 v3, 0xffffff81, v80
	v_lshrrev_b32_e32 v5, 23, v2
	s_mov_b32 s10, exec_lo
	s_delay_alu instid0(VALU_DEP_2) | instskip(NEXT) | instid1(VALU_DEP_1)
	v_cndmask_b32_e64 v3, v3, 0xffffff82, vcc_lo
	v_add3_u32 v80, v86, v3, v5
	v_and_b32_e32 v3, 0x1fffff, v4
                                        ; implicit-def: $vgpr4
	s_delay_alu instid0(VALU_DEP_1) | instskip(SKIP_1) | instid1(VALU_DEP_2)
	v_dual_add_nc_u32 v5, 14, v80 :: v_dual_add_nc_u32 v2, v3, v2
	v_mov_b32_e32 v3, v1
	v_cmpx_ne_u32_e32 0, v5
	s_xor_b32 s10, exec_lo, s10
; %bb.3404:                             ;   in Loop: Header=BB6_130 Depth=2
	s_delay_alu instid0(VALU_DEP_2) | instskip(SKIP_1) | instid1(VALU_DEP_1)
	v_cmp_lt_u64_e32 vcc_lo, 0xffffff, v[2:3]
	v_add_nc_u32_e32 v4, 15, v80
	v_cndmask_b32_e32 v4, v5, v4, vcc_lo
	v_cndmask_b32_e64 v5, 0, 1, vcc_lo
	s_delay_alu instid0(VALU_DEP_1)
	v_lshrrev_b64 v[2:3], v5, v[2:3]
; %bb.3405:                             ;   in Loop: Header=BB6_130 Depth=2
	s_and_not1_saveexec_b32 s10, s10
; %bb.3406:                             ;   in Loop: Header=BB6_130 Depth=2
	s_delay_alu instid0(VALU_DEP_1)
	v_bfe_u32 v4, v2, 23, 1
; %bb.3407:                             ;   in Loop: Header=BB6_130 Depth=2
	s_or_b32 exec_lo, exec_lo, s10
	s_delay_alu instid0(VALU_DEP_2) | instskip(NEXT) | instid1(VALU_DEP_2)
	v_lshrrev_b64 v[2:3], 21, v[2:3]
	v_cmp_gt_i32_e32 vcc_lo, 32, v4
	v_min_i32_e32 v5, 31, v4
	v_cmp_eq_u32_e64 s10, 0, v4
	s_delay_alu instid0(VALU_DEP_2) | instskip(SKIP_1) | instid1(VALU_DEP_2)
	v_dual_cndmask_b32 v3, 0, v3, vcc_lo :: v_dual_lshlrev_b32 v5, 2, v5
	v_cndmask_b32_e32 v2, 3, v2, vcc_lo
	v_and_b32_e32 v5, 0xfc, v5
	s_delay_alu instid0(VALU_DEP_2) | instskip(NEXT) | instid1(VALU_DEP_2)
	v_cmp_eq_u64_e32 vcc_lo, 0, v[2:3]
	v_and_or_b32 v2, v2, 3, v5
	s_and_b32 s10, s10, vcc_lo
	s_delay_alu instid0(VALU_DEP_1) | instid1(SALU_CYCLE_1)
	v_cndmask_b32_e64 v2, v2, 0, s10
	s_delay_alu instid0(VALU_DEP_1)
	v_or_b32_e32 v80, v2, v82
.LBB6_3408:                             ;   in Loop: Header=BB6_130 Depth=2
	s_or_b32 exec_lo, exec_lo, s41
                                        ; implicit-def: $vgpr82
.LBB6_3409:                             ;   in Loop: Header=BB6_130 Depth=2
	s_and_not1_saveexec_b32 s10, s40
; %bb.3410:                             ;   in Loop: Header=BB6_130 Depth=2
	v_or_b32_e32 v80, 0x7b, v82
; %bb.3411:                             ;   in Loop: Header=BB6_130 Depth=2
	s_or_b32 exec_lo, exec_lo, s10
                                        ; implicit-def: $vgpr4
                                        ; implicit-def: $vgpr2_vgpr3
                                        ; implicit-def: $vgpr5
.LBB6_3412:                             ;   in Loop: Header=BB6_130 Depth=2
	s_and_not1_saveexec_b32 s10, s29
	s_cbranch_execz .LBB6_3418
; %bb.3413:                             ;   in Loop: Header=BB6_130 Depth=2
	s_mov_b32 s29, exec_lo
                                        ; implicit-def: $vgpr80
	v_cmpx_ne_u64_e32 0, v[2:3]
	s_xor_b32 s29, exec_lo, s29
; %bb.3414:                             ;   in Loop: Header=BB6_130 Depth=2
	v_or_b32_e32 v80, 0x7f, v5
                                        ; implicit-def: $vgpr4
; %bb.3415:                             ;   in Loop: Header=BB6_130 Depth=2
	s_and_not1_saveexec_b32 s29, s29
; %bb.3416:                             ;   in Loop: Header=BB6_130 Depth=2
	v_cmp_lt_i32_e32 vcc_lo, -1, v4
	v_mov_b32_e32 v2, 0x7c
	s_delay_alu instid0(VALU_DEP_1)
	v_cndmask_b32_e32 v80, 0xfc, v2, vcc_lo
; %bb.3417:                             ;   in Loop: Header=BB6_130 Depth=2
	s_or_b32 exec_lo, exec_lo, s29
.LBB6_3418:                             ;   in Loop: Header=BB6_130 Depth=2
	s_delay_alu instid0(SALU_CYCLE_1) | instskip(SKIP_3) | instid1(VALU_DEP_2)
	s_or_b32 exec_lo, exec_lo, s10
	v_dual_mov_b32 v3, 0 :: v_dual_lshrrev_b32 v2, 16, v0
	v_mov_b32_e32 v4, 0
	s_mov_b32 s29, exec_lo
	v_and_b32_e32 v5, 0xff, v2
	s_delay_alu instid0(VALU_DEP_1)
	v_cmpx_ne_u16_e32 0, v5
	s_cbranch_execz .LBB6_3428
; %bb.3419:                             ;   in Loop: Header=BB6_130 Depth=2
	v_bfrev_b32_e32 v4, 1
	s_mov_b32 s40, exec_lo
	v_cmpx_ne_u16_e32 0x80, v5
	s_cbranch_execz .LBB6_3427
; %bb.3420:                             ;   in Loop: Header=BB6_130 Depth=2
	v_and_b32_e32 v4, 0x7c0000, v0
	v_bfe_u32 v5, v0, 16, 2
	s_delay_alu instid0(VALU_DEP_2) | instskip(SKIP_1) | instid1(SALU_CYCLE_1)
	v_cmp_ne_u32_e32 vcc_lo, 0x7c0000, v4
                                        ; implicit-def: $vgpr4
	s_and_saveexec_b32 s10, vcc_lo
	s_xor_b32 s10, exec_lo, s10
	s_cbranch_execz .LBB6_3424
; %bb.3421:                             ;   in Loop: Header=BB6_130 Depth=2
	v_bfe_u32 v4, v0, 18, 5
	s_mov_b32 s41, exec_lo
	s_delay_alu instid0(VALU_DEP_1)
	v_cmpx_eq_u32_e32 0, v4
; %bb.3422:                             ;   in Loop: Header=BB6_130 Depth=2
	v_clz_i32_u32_e32 v4, v5
	s_delay_alu instid0(VALU_DEP_1) | instskip(NEXT) | instid1(VALU_DEP_1)
	v_min_u32_e32 v4, 32, v4
	v_subrev_nc_u32_e32 v5, 29, v4
	s_delay_alu instid0(VALU_DEP_1) | instskip(NEXT) | instid1(VALU_DEP_1)
	v_lshlrev_b64_e32 v[62:63], v5, v[2:3]
	v_dual_sub_nc_u32 v4, 30, v4 :: v_dual_bitop2_b32 v5, 3, v62 bitop3:0x40
; %bb.3423:                             ;   in Loop: Header=BB6_130 Depth=2
	s_or_b32 exec_lo, exec_lo, s41
	v_lshlrev_b32_e32 v2, 24, v2
	s_delay_alu instid0(VALU_DEP_1) | instskip(NEXT) | instid1(VALU_DEP_1)
	v_and_b32_e32 v2, 0x80000000, v2
	v_lshl_add_u32 v2, v4, 23, v2
	s_delay_alu instid0(VALU_DEP_1) | instskip(NEXT) | instid1(VALU_DEP_1)
	v_lshl_or_b32 v2, v5, 21, v2
                                        ; implicit-def: $vgpr5
	v_add_nc_u32_e32 v4, 0x38000000, v2
                                        ; implicit-def: $vgpr2
.LBB6_3424:                             ;   in Loop: Header=BB6_130 Depth=2
	s_and_not1_saveexec_b32 s41, s10
; %bb.3425:                             ;   in Loop: Header=BB6_130 Depth=2
	v_bfe_i32 v2, v2, 0, 8
	v_cmp_eq_u32_e32 vcc_lo, 0, v5
	s_delay_alu instid0(VALU_DEP_2) | instskip(SKIP_1) | instid1(VALU_DEP_1)
	v_cmp_lt_i16_e64 s10, -1, v2
	v_mov_b32_e32 v2, 0x7f800000
	v_cndmask_b32_e64 v2, 0xff800000, v2, s10
	s_delay_alu instid0(VALU_DEP_1)
	v_cndmask_b32_e32 v4, 0x7f800001, v2, vcc_lo
; %bb.3426:                             ;   in Loop: Header=BB6_130 Depth=2
	s_or_b32 exec_lo, exec_lo, s41
.LBB6_3427:                             ;   in Loop: Header=BB6_130 Depth=2
	s_delay_alu instid0(SALU_CYCLE_1)
	s_or_b32 exec_lo, exec_lo, s40
.LBB6_3428:                             ;   in Loop: Header=BB6_130 Depth=2
	s_delay_alu instid0(SALU_CYCLE_1) | instskip(SKIP_2) | instid1(VALU_DEP_1)
	s_or_b32 exec_lo, exec_lo, s29
	v_lshrrev_b32_e32 v2, 16, v14
	s_mov_b32 s29, exec_lo
	v_and_b32_e32 v5, 0xff, v2
	s_delay_alu instid0(VALU_DEP_1)
	v_cmpx_ne_u16_e32 0, v5
	s_cbranch_execz .LBB6_3438
; %bb.3429:                             ;   in Loop: Header=BB6_130 Depth=2
	v_bfrev_b32_e32 v3, 1
	s_mov_b32 s40, exec_lo
	v_cmpx_ne_u16_e32 0x80, v5
	s_cbranch_execz .LBB6_3437
; %bb.3430:                             ;   in Loop: Header=BB6_130 Depth=2
	v_and_b32_e32 v3, 0x7c0000, v14
	v_bfe_u32 v5, v14, 16, 2
	s_delay_alu instid0(VALU_DEP_2) | instskip(SKIP_1) | instid1(SALU_CYCLE_1)
	v_cmp_ne_u32_e32 vcc_lo, 0x7c0000, v3
                                        ; implicit-def: $vgpr3
	s_and_saveexec_b32 s10, vcc_lo
	s_xor_b32 s10, exec_lo, s10
	s_cbranch_execz .LBB6_3434
; %bb.3431:                             ;   in Loop: Header=BB6_130 Depth=2
	v_bfe_u32 v3, v14, 18, 5
	s_mov_b32 s41, exec_lo
	s_delay_alu instid0(VALU_DEP_1)
	v_cmpx_eq_u32_e32 0, v3
; %bb.3432:                             ;   in Loop: Header=BB6_130 Depth=2
	v_clz_i32_u32_e32 v3, v5
	s_delay_alu instid0(VALU_DEP_1) | instskip(NEXT) | instid1(VALU_DEP_1)
	v_min_u32_e32 v3, 32, v3
	v_subrev_nc_u32_e32 v5, 29, v3
	s_delay_alu instid0(VALU_DEP_1) | instskip(NEXT) | instid1(VALU_DEP_1)
	v_lshlrev_b64_e32 v[62:63], v5, v[2:3]
	v_dual_sub_nc_u32 v3, 30, v3 :: v_dual_bitop2_b32 v5, 3, v62 bitop3:0x40
; %bb.3433:                             ;   in Loop: Header=BB6_130 Depth=2
	s_or_b32 exec_lo, exec_lo, s41
	v_lshlrev_b32_e32 v2, 24, v2
	s_delay_alu instid0(VALU_DEP_1) | instskip(NEXT) | instid1(VALU_DEP_1)
	v_and_b32_e32 v2, 0x80000000, v2
	v_lshl_add_u32 v2, v3, 23, v2
	s_delay_alu instid0(VALU_DEP_1) | instskip(NEXT) | instid1(VALU_DEP_1)
	v_lshl_or_b32 v2, v5, 21, v2
                                        ; implicit-def: $vgpr5
	v_add_nc_u32_e32 v3, 0x38000000, v2
                                        ; implicit-def: $vgpr2
.LBB6_3434:                             ;   in Loop: Header=BB6_130 Depth=2
	s_and_not1_saveexec_b32 s41, s10
; %bb.3435:                             ;   in Loop: Header=BB6_130 Depth=2
	v_bfe_i32 v2, v2, 0, 8
	v_cmp_eq_u32_e32 vcc_lo, 0, v5
	s_delay_alu instid0(VALU_DEP_2) | instskip(SKIP_1) | instid1(VALU_DEP_1)
	v_cmp_lt_i16_e64 s10, -1, v2
	v_mov_b32_e32 v2, 0x7f800000
	v_cndmask_b32_e64 v2, 0xff800000, v2, s10
	s_delay_alu instid0(VALU_DEP_1)
	v_cndmask_b32_e32 v3, 0x7f800001, v2, vcc_lo
; %bb.3436:                             ;   in Loop: Header=BB6_130 Depth=2
	s_or_b32 exec_lo, exec_lo, s41
.LBB6_3437:                             ;   in Loop: Header=BB6_130 Depth=2
	s_delay_alu instid0(SALU_CYCLE_1)
	s_or_b32 exec_lo, exec_lo, s40
.LBB6_3438:                             ;   in Loop: Header=BB6_130 Depth=2
	s_delay_alu instid0(SALU_CYCLE_1) | instskip(NEXT) | instid1(VALU_DEP_1)
	s_or_b32 exec_lo, exec_lo, s29
	v_dual_add_f32 v4, v4, v3 :: v_dual_mov_b32 v63, v1
	v_mov_b32_e32 v3, v1
                                        ; implicit-def: $vgpr82
	s_mov_b32 s10, exec_lo
	s_delay_alu instid0(VALU_DEP_2) | instskip(SKIP_2) | instid1(VALU_DEP_3)
	v_and_b32_e32 v62, 0x7f800000, v4
	v_and_b32_e32 v2, 0x7fffff, v4
	v_lshrrev_b32_e32 v5, 24, v4
	v_cmpx_ne_u64_e32 0x7f800000, v[62:63]
	s_xor_b32 s29, exec_lo, s10
	s_cbranch_execz .LBB6_3452
; %bb.3439:                             ;   in Loop: Header=BB6_130 Depth=2
	v_and_b32_e32 v62, 0x7fffffff, v4
	v_mov_b32_e32 v63, v1
	v_and_b32_e32 v86, 0x80, v5
                                        ; implicit-def: $vgpr82
	s_mov_b32 s10, exec_lo
	s_delay_alu instid0(VALU_DEP_2)
	v_cmpx_gt_u64_e32 0x47600001, v[62:63]
	s_xor_b32 s40, exec_lo, s10
	s_cbranch_execz .LBB6_3449
; %bb.3440:                             ;   in Loop: Header=BB6_130 Depth=2
	v_mov_b32_e32 v82, 0
	s_mov_b32 s41, exec_lo
	v_cmpx_ne_u32_e32 0, v4
	s_cbranch_execz .LBB6_3448
; %bb.3441:                             ;   in Loop: Header=BB6_130 Depth=2
	v_bfe_u32 v82, v4, 23, 8
	v_or_b32_e32 v5, 0x800000, v2
	s_delay_alu instid0(VALU_DEP_2) | instskip(SKIP_2) | instid1(VALU_DEP_2)
	v_cmp_gt_u32_e64 s10, 0x72, v82
	v_sub_nc_u32_e32 v4, 0x71, v82
	v_cmp_eq_u32_e32 vcc_lo, 0, v82
	v_dual_cndmask_b32 v4, 0, v4, s10 :: v_dual_cndmask_b32 v2, v5, v2, vcc_lo
	s_delay_alu instid0(VALU_DEP_1) | instskip(NEXT) | instid1(VALU_DEP_1)
	v_cndmask_b32_e64 v97, v4, 0x70, vcc_lo
	v_dual_add_nc_u32 v4, 21, v97 :: v_dual_add_nc_u32 v40, 20, v97
	s_delay_alu instid0(VALU_DEP_1) | instskip(NEXT) | instid1(VALU_DEP_2)
	v_lshlrev_b64_e64 v[4:5], v4, -1
	v_lshlrev_b64_e64 v[62:63], v40, 1
	s_delay_alu instid0(VALU_DEP_2) | instskip(SKIP_1) | instid1(VALU_DEP_4)
	v_bfi_b32 v4, v4, 0, v2
	v_lshrrev_b64 v[2:3], v97, v[2:3]
	v_bfi_b32 v5, v5, 0, 0
	s_delay_alu instid0(VALU_DEP_1) | instskip(NEXT) | instid1(VALU_DEP_3)
	v_cmp_eq_u64_e64 s10, v[4:5], v[62:63]
	v_mov_b64_e32 v[4:5], v[2:3]
	s_and_saveexec_b32 s42, s10
; %bb.3442:                             ;   in Loop: Header=BB6_130 Depth=2
	v_bfe_u32 v4, v2, 21, 1
	v_mov_b32_e32 v5, v1
	s_delay_alu instid0(VALU_DEP_1) | instskip(NEXT) | instid1(VALU_DEP_1)
	v_add_nc_u64_e32 v[4:5], v[2:3], v[4:5]
	v_add_nc_u64_e32 v[4:5], -1, v[4:5]
; %bb.3443:                             ;   in Loop: Header=BB6_130 Depth=2
	s_or_b32 exec_lo, exec_lo, s42
	v_add_nc_u32_e32 v3, 0xffffff81, v82
	v_lshrrev_b32_e32 v5, 23, v2
	s_mov_b32 s10, exec_lo
	s_delay_alu instid0(VALU_DEP_2) | instskip(NEXT) | instid1(VALU_DEP_1)
	v_cndmask_b32_e64 v3, v3, 0xffffff82, vcc_lo
	v_add3_u32 v82, v97, v3, v5
	v_and_b32_e32 v3, 0x1fffff, v4
                                        ; implicit-def: $vgpr4
	s_delay_alu instid0(VALU_DEP_2) | instskip(NEXT) | instid1(VALU_DEP_2)
	v_add_nc_u32_e32 v5, 14, v82
	v_dual_mov_b32 v3, v1 :: v_dual_add_nc_u32 v2, v3, v2
	s_delay_alu instid0(VALU_DEP_2)
	v_cmpx_ne_u32_e32 0, v5
	s_xor_b32 s10, exec_lo, s10
; %bb.3444:                             ;   in Loop: Header=BB6_130 Depth=2
	s_delay_alu instid0(VALU_DEP_2) | instskip(SKIP_1) | instid1(VALU_DEP_1)
	v_cmp_lt_u64_e32 vcc_lo, 0xffffff, v[2:3]
	v_add_nc_u32_e32 v4, 15, v82
	v_cndmask_b32_e32 v4, v5, v4, vcc_lo
	v_cndmask_b32_e64 v5, 0, 1, vcc_lo
	s_delay_alu instid0(VALU_DEP_1)
	v_lshrrev_b64 v[2:3], v5, v[2:3]
; %bb.3445:                             ;   in Loop: Header=BB6_130 Depth=2
	s_and_not1_saveexec_b32 s10, s10
; %bb.3446:                             ;   in Loop: Header=BB6_130 Depth=2
	s_delay_alu instid0(VALU_DEP_1)
	v_bfe_u32 v4, v2, 23, 1
; %bb.3447:                             ;   in Loop: Header=BB6_130 Depth=2
	s_or_b32 exec_lo, exec_lo, s10
	s_delay_alu instid0(VALU_DEP_2) | instskip(NEXT) | instid1(VALU_DEP_2)
	v_lshrrev_b64 v[2:3], 21, v[2:3]
	v_cmp_gt_i32_e32 vcc_lo, 32, v4
	v_min_i32_e32 v5, 31, v4
	v_cmp_eq_u32_e64 s10, 0, v4
	s_delay_alu instid0(VALU_DEP_2) | instskip(SKIP_1) | instid1(VALU_DEP_2)
	v_dual_cndmask_b32 v3, 0, v3, vcc_lo :: v_dual_lshlrev_b32 v5, 2, v5
	v_cndmask_b32_e32 v2, 3, v2, vcc_lo
	v_and_b32_e32 v5, 0xfc, v5
	s_delay_alu instid0(VALU_DEP_2) | instskip(NEXT) | instid1(VALU_DEP_2)
	v_cmp_eq_u64_e32 vcc_lo, 0, v[2:3]
	v_and_or_b32 v2, v2, 3, v5
	s_and_b32 s10, s10, vcc_lo
	s_delay_alu instid0(VALU_DEP_1) | instid1(SALU_CYCLE_1)
	v_cndmask_b32_e64 v2, v2, 0, s10
	s_delay_alu instid0(VALU_DEP_1)
	v_or_b32_e32 v82, v2, v86
.LBB6_3448:                             ;   in Loop: Header=BB6_130 Depth=2
	s_or_b32 exec_lo, exec_lo, s41
                                        ; implicit-def: $vgpr86
.LBB6_3449:                             ;   in Loop: Header=BB6_130 Depth=2
	s_and_not1_saveexec_b32 s10, s40
; %bb.3450:                             ;   in Loop: Header=BB6_130 Depth=2
	v_or_b32_e32 v82, 0x7b, v86
; %bb.3451:                             ;   in Loop: Header=BB6_130 Depth=2
	s_or_b32 exec_lo, exec_lo, s10
                                        ; implicit-def: $vgpr4
                                        ; implicit-def: $vgpr2_vgpr3
                                        ; implicit-def: $vgpr5
.LBB6_3452:                             ;   in Loop: Header=BB6_130 Depth=2
	s_and_not1_saveexec_b32 s10, s29
	s_cbranch_execz .LBB6_3458
; %bb.3453:                             ;   in Loop: Header=BB6_130 Depth=2
	s_mov_b32 s29, exec_lo
                                        ; implicit-def: $vgpr82
	v_cmpx_ne_u64_e32 0, v[2:3]
	s_xor_b32 s29, exec_lo, s29
; %bb.3454:                             ;   in Loop: Header=BB6_130 Depth=2
	v_or_b32_e32 v82, 0x7f, v5
                                        ; implicit-def: $vgpr4
; %bb.3455:                             ;   in Loop: Header=BB6_130 Depth=2
	s_and_not1_saveexec_b32 s29, s29
; %bb.3456:                             ;   in Loop: Header=BB6_130 Depth=2
	v_cmp_lt_i32_e32 vcc_lo, -1, v4
	v_mov_b32_e32 v2, 0x7c
	s_delay_alu instid0(VALU_DEP_1)
	v_cndmask_b32_e32 v82, 0xfc, v2, vcc_lo
; %bb.3457:                             ;   in Loop: Header=BB6_130 Depth=2
	s_or_b32 exec_lo, exec_lo, s29
.LBB6_3458:                             ;   in Loop: Header=BB6_130 Depth=2
	s_delay_alu instid0(SALU_CYCLE_1)
	s_or_b32 exec_lo, exec_lo, s10
	v_dual_mov_b32 v3, 0 :: v_dual_mov_b32 v4, 0
	s_mov_b32 s29, exec_lo
	v_cmpx_lt_u32_e32 0xffffff, v0
	s_cbranch_execz .LBB6_3468
; %bb.3459:                             ;   in Loop: Header=BB6_130 Depth=2
	v_lshrrev_b32_e32 v2, 24, v0
	v_bfrev_b32_e32 v4, 1
	s_mov_b32 s40, exec_lo
	s_delay_alu instid0(VALU_DEP_2)
	v_cmpx_ne_u32_e32 0x80, v2
	s_cbranch_execz .LBB6_3467
; %bb.3460:                             ;   in Loop: Header=BB6_130 Depth=2
	v_and_b32_e32 v4, 0x7c000000, v0
	v_bfe_u32 v5, v0, 24, 2
	s_delay_alu instid0(VALU_DEP_2) | instskip(SKIP_1) | instid1(SALU_CYCLE_1)
	v_cmp_ne_u32_e32 vcc_lo, 0x7c000000, v4
                                        ; implicit-def: $vgpr4
	s_and_saveexec_b32 s10, vcc_lo
	s_xor_b32 s10, exec_lo, s10
	s_cbranch_execz .LBB6_3464
; %bb.3461:                             ;   in Loop: Header=BB6_130 Depth=2
	v_bfe_u32 v4, v0, 26, 5
	s_mov_b32 s41, exec_lo
	s_delay_alu instid0(VALU_DEP_1)
	v_cmpx_eq_u32_e32 0, v4
; %bb.3462:                             ;   in Loop: Header=BB6_130 Depth=2
	v_clz_i32_u32_e32 v4, v5
	s_delay_alu instid0(VALU_DEP_1) | instskip(NEXT) | instid1(VALU_DEP_1)
	v_min_u32_e32 v4, 32, v4
	v_subrev_nc_u32_e32 v5, 29, v4
	s_delay_alu instid0(VALU_DEP_1) | instskip(NEXT) | instid1(VALU_DEP_1)
	v_lshlrev_b64_e32 v[62:63], v5, v[2:3]
	v_dual_sub_nc_u32 v4, 30, v4 :: v_dual_bitop2_b32 v5, 3, v62 bitop3:0x40
; %bb.3463:                             ;   in Loop: Header=BB6_130 Depth=2
	s_or_b32 exec_lo, exec_lo, s41
	v_and_b32_e32 v0, 0x80000000, v0
	s_delay_alu instid0(VALU_DEP_1) | instskip(NEXT) | instid1(VALU_DEP_1)
	v_lshl_add_u32 v0, v4, 23, v0
	v_lshl_or_b32 v0, v5, 21, v0
                                        ; implicit-def: $vgpr5
	s_delay_alu instid0(VALU_DEP_1)
	v_add_nc_u32_e32 v4, 0x38000000, v0
.LBB6_3464:                             ;   in Loop: Header=BB6_130 Depth=2
	s_and_not1_saveexec_b32 s41, s10
; %bb.3465:                             ;   in Loop: Header=BB6_130 Depth=2
	v_cmp_lt_i32_e64 s10, -1, v0
	v_mov_b32_e32 v0, 0x7f800000
	v_cmp_eq_u32_e32 vcc_lo, 0, v5
	s_delay_alu instid0(VALU_DEP_2) | instskip(NEXT) | instid1(VALU_DEP_1)
	v_cndmask_b32_e64 v0, 0xff800000, v0, s10
	v_cndmask_b32_e32 v4, 0x7f800001, v0, vcc_lo
; %bb.3466:                             ;   in Loop: Header=BB6_130 Depth=2
	s_or_b32 exec_lo, exec_lo, s41
.LBB6_3467:                             ;   in Loop: Header=BB6_130 Depth=2
	s_delay_alu instid0(SALU_CYCLE_1)
	s_or_b32 exec_lo, exec_lo, s40
.LBB6_3468:                             ;   in Loop: Header=BB6_130 Depth=2
	s_delay_alu instid0(SALU_CYCLE_1) | instskip(NEXT) | instid1(SALU_CYCLE_1)
	s_or_b32 exec_lo, exec_lo, s29
	s_mov_b32 s29, exec_lo
	v_cmpx_lt_u32_e32 0xffffff, v14
	s_cbranch_execz .LBB6_3478
; %bb.3469:                             ;   in Loop: Header=BB6_130 Depth=2
	v_lshrrev_b32_e32 v0, 24, v14
	v_bfrev_b32_e32 v3, 1
	s_mov_b32 s40, exec_lo
	s_delay_alu instid0(VALU_DEP_2)
	v_cmpx_ne_u32_e32 0x80, v0
	s_cbranch_execz .LBB6_3477
; %bb.3470:                             ;   in Loop: Header=BB6_130 Depth=2
	v_and_b32_e32 v3, 0x7c000000, v14
	v_bfe_u32 v2, v14, 24, 2
	s_delay_alu instid0(VALU_DEP_2) | instskip(SKIP_1) | instid1(SALU_CYCLE_1)
	v_cmp_ne_u32_e32 vcc_lo, 0x7c000000, v3
                                        ; implicit-def: $vgpr3
	s_and_saveexec_b32 s10, vcc_lo
	s_xor_b32 s10, exec_lo, s10
	s_cbranch_execz .LBB6_3474
; %bb.3471:                             ;   in Loop: Header=BB6_130 Depth=2
	v_bfe_u32 v3, v14, 26, 5
	s_mov_b32 s41, exec_lo
	s_delay_alu instid0(VALU_DEP_1)
	v_cmpx_eq_u32_e32 0, v3
; %bb.3472:                             ;   in Loop: Header=BB6_130 Depth=2
	v_clz_i32_u32_e32 v2, v2
	s_delay_alu instid0(VALU_DEP_1) | instskip(NEXT) | instid1(VALU_DEP_1)
	v_min_u32_e32 v5, 32, v2
	v_subrev_nc_u32_e32 v2, 29, v5
	s_delay_alu instid0(VALU_DEP_1) | instskip(NEXT) | instid1(VALU_DEP_1)
	v_lshlrev_b64_e32 v[2:3], v2, v[0:1]
	v_dual_sub_nc_u32 v3, 30, v5 :: v_dual_bitop2_b32 v2, 3, v2 bitop3:0x40
; %bb.3473:                             ;   in Loop: Header=BB6_130 Depth=2
	s_or_b32 exec_lo, exec_lo, s41
	v_and_b32_e32 v0, 0x80000000, v14
	s_delay_alu instid0(VALU_DEP_1) | instskip(NEXT) | instid1(VALU_DEP_1)
	v_lshl_add_u32 v0, v3, 23, v0
	v_lshl_or_b32 v0, v2, 21, v0
                                        ; implicit-def: $vgpr2
	s_delay_alu instid0(VALU_DEP_1)
	v_add_nc_u32_e32 v3, 0x38000000, v0
.LBB6_3474:                             ;   in Loop: Header=BB6_130 Depth=2
	s_and_not1_saveexec_b32 s41, s10
; %bb.3475:                             ;   in Loop: Header=BB6_130 Depth=2
	v_cmp_lt_i32_e64 s10, -1, v14
	v_mov_b32_e32 v0, 0x7f800000
	v_cmp_eq_u32_e32 vcc_lo, 0, v2
	s_delay_alu instid0(VALU_DEP_2) | instskip(NEXT) | instid1(VALU_DEP_1)
	v_cndmask_b32_e64 v0, 0xff800000, v0, s10
	v_cndmask_b32_e32 v3, 0x7f800001, v0, vcc_lo
; %bb.3476:                             ;   in Loop: Header=BB6_130 Depth=2
	s_or_b32 exec_lo, exec_lo, s41
.LBB6_3477:                             ;   in Loop: Header=BB6_130 Depth=2
	s_delay_alu instid0(SALU_CYCLE_1)
	s_or_b32 exec_lo, exec_lo, s40
.LBB6_3478:                             ;   in Loop: Header=BB6_130 Depth=2
	s_delay_alu instid0(SALU_CYCLE_1) | instskip(NEXT) | instid1(VALU_DEP_1)
	s_or_b32 exec_lo, exec_lo, s29
	v_dual_add_f32 v2, v4, v3 :: v_dual_mov_b32 v5, v1
                                        ; implicit-def: $vgpr86
	s_mov_b32 s10, exec_lo
	s_delay_alu instid0(VALU_DEP_1) | instskip(SKIP_2) | instid1(VALU_DEP_3)
	v_and_b32_e32 v4, 0x7f800000, v2
	v_and_b32_e32 v0, 0x7fffff, v2
	v_lshrrev_b32_e32 v3, 24, v2
	v_cmpx_ne_u64_e32 0x7f800000, v[4:5]
	s_xor_b32 s29, exec_lo, s10
	s_cbranch_execz .LBB6_3492
; %bb.3479:                             ;   in Loop: Header=BB6_130 Depth=2
	v_and_b32_e32 v4, 0x7fffffff, v2
	v_mov_b32_e32 v5, v1
	v_and_b32_e32 v97, 0x80, v3
                                        ; implicit-def: $vgpr86
	s_mov_b32 s10, exec_lo
	s_delay_alu instid0(VALU_DEP_2)
	v_cmpx_gt_u64_e32 0x47600001, v[4:5]
	s_xor_b32 s40, exec_lo, s10
	s_cbranch_execz .LBB6_3489
; %bb.3480:                             ;   in Loop: Header=BB6_130 Depth=2
	v_mov_b32_e32 v86, 0
	s_mov_b32 s41, exec_lo
	v_cmpx_ne_u32_e32 0, v2
	s_cbranch_execz .LBB6_3488
; %bb.3481:                             ;   in Loop: Header=BB6_130 Depth=2
	v_bfe_u32 v86, v2, 23, 8
	v_or_b32_e32 v3, 0x800000, v0
	s_delay_alu instid0(VALU_DEP_2) | instskip(SKIP_2) | instid1(VALU_DEP_2)
	v_cmp_gt_u32_e64 s10, 0x72, v86
	v_sub_nc_u32_e32 v2, 0x71, v86
	v_cmp_eq_u32_e32 vcc_lo, 0, v86
	v_cndmask_b32_e64 v2, 0, v2, s10
	s_delay_alu instid0(VALU_DEP_1) | instskip(SKIP_1) | instid1(VALU_DEP_2)
	v_cndmask_b32_e64 v40, v2, 0x70, vcc_lo
	v_dual_cndmask_b32 v2, v3, v0 :: v_dual_mov_b32 v3, v1
	v_add_nc_u32_e32 v0, 21, v40
	s_delay_alu instid0(VALU_DEP_1) | instskip(SKIP_1) | instid1(VALU_DEP_1)
	v_lshlrev_b64_e64 v[4:5], v0, -1
	v_add_nc_u32_e32 v0, 20, v40
	v_lshlrev_b64_e64 v[62:63], v0, 1
	s_delay_alu instid0(VALU_DEP_3) | instskip(SKIP_2) | instid1(VALU_DEP_1)
	v_bfi_b32 v4, v4, 0, v2
	v_lshrrev_b64 v[2:3], v40, v[2:3]
	v_bfi_b32 v5, v5, 0, 0
	v_cmp_eq_u64_e64 s10, v[4:5], v[62:63]
	s_delay_alu instid0(VALU_DEP_3)
	v_mov_b64_e32 v[4:5], v[2:3]
	s_and_saveexec_b32 s42, s10
; %bb.3482:                             ;   in Loop: Header=BB6_130 Depth=2
	v_bfe_u32 v4, v2, 21, 1
	v_mov_b32_e32 v5, v1
	s_delay_alu instid0(VALU_DEP_1) | instskip(NEXT) | instid1(VALU_DEP_1)
	v_add_nc_u64_e32 v[4:5], v[2:3], v[4:5]
	v_add_nc_u64_e32 v[4:5], -1, v[4:5]
; %bb.3483:                             ;   in Loop: Header=BB6_130 Depth=2
	s_or_b32 exec_lo, exec_lo, s42
	v_add_nc_u32_e32 v0, 0xffffff81, v86
	s_delay_alu instid0(VALU_DEP_2) | instskip(SKIP_2) | instid1(VALU_DEP_3)
	v_and_b32_e32 v4, 0x1fffff, v4
	v_lshrrev_b32_e32 v3, 23, v2
	s_mov_b32 s10, exec_lo
	v_cndmask_b32_e64 v0, v0, 0xffffff82, vcc_lo
	s_delay_alu instid0(VALU_DEP_1) | instskip(SKIP_1) | instid1(VALU_DEP_2)
	v_add3_u32 v86, v40, v0, v3
	v_add_nc_u32_e32 v0, v4, v2
                                        ; implicit-def: $vgpr2_vgpr3
                                        ; implicit-def: $vgpr4
	v_add_nc_u32_e32 v5, 14, v86
	s_delay_alu instid0(VALU_DEP_1)
	v_cmpx_ne_u32_e32 0, v5
	s_xor_b32 s10, exec_lo, s10
; %bb.3484:                             ;   in Loop: Header=BB6_130 Depth=2
	s_delay_alu instid0(VALU_DEP_3) | instskip(SKIP_1) | instid1(VALU_DEP_1)
	v_cmp_lt_u64_e32 vcc_lo, 0xffffff, v[0:1]
	v_add_nc_u32_e32 v2, 15, v86
	v_cndmask_b32_e32 v4, v5, v2, vcc_lo
	v_cndmask_b32_e64 v2, 0, 1, vcc_lo
	s_delay_alu instid0(VALU_DEP_1)
	v_lshrrev_b64 v[2:3], v2, v[0:1]
; %bb.3485:                             ;   in Loop: Header=BB6_130 Depth=2
	s_and_not1_saveexec_b32 s10, s10
; %bb.3486:                             ;   in Loop: Header=BB6_130 Depth=2
	v_mov_b64_e32 v[2:3], v[0:1]
	v_bfe_u32 v4, v0, 23, 1
; %bb.3487:                             ;   in Loop: Header=BB6_130 Depth=2
	s_or_b32 exec_lo, exec_lo, s10
	s_delay_alu instid0(VALU_DEP_2) | instskip(NEXT) | instid1(VALU_DEP_2)
	v_lshrrev_b64 v[2:3], 21, v[2:3]
	v_cmp_gt_i32_e32 vcc_lo, 32, v4
	v_min_i32_e32 v0, 31, v4
	v_cmp_eq_u32_e64 s10, 0, v4
	s_delay_alu instid0(VALU_DEP_2) | instskip(SKIP_1) | instid1(VALU_DEP_2)
	v_dual_cndmask_b32 v3, 0, v3 :: v_dual_lshlrev_b32 v0, 2, v0
	v_cndmask_b32_e32 v2, 3, v2, vcc_lo
	v_and_b32_e32 v0, 0xfc, v0
	s_delay_alu instid0(VALU_DEP_2) | instskip(NEXT) | instid1(VALU_DEP_2)
	v_cmp_eq_u64_e32 vcc_lo, 0, v[2:3]
	v_and_or_b32 v0, v2, 3, v0
	s_and_b32 s10, s10, vcc_lo
	s_delay_alu instid0(VALU_DEP_1) | instid1(SALU_CYCLE_1)
	v_cndmask_b32_e64 v0, v0, 0, s10
	s_delay_alu instid0(VALU_DEP_1)
	v_or_b32_e32 v86, v0, v97
.LBB6_3488:                             ;   in Loop: Header=BB6_130 Depth=2
	s_or_b32 exec_lo, exec_lo, s41
                                        ; implicit-def: $vgpr97
.LBB6_3489:                             ;   in Loop: Header=BB6_130 Depth=2
	s_and_not1_saveexec_b32 s10, s40
; %bb.3490:                             ;   in Loop: Header=BB6_130 Depth=2
	v_or_b32_e32 v86, 0x7b, v97
; %bb.3491:                             ;   in Loop: Header=BB6_130 Depth=2
	s_or_b32 exec_lo, exec_lo, s10
                                        ; implicit-def: $vgpr2
                                        ; implicit-def: $vgpr3
.LBB6_3492:                             ;   in Loop: Header=BB6_130 Depth=2
	s_and_not1_saveexec_b32 s10, s29
	s_cbranch_execz .LBB6_3498
; %bb.3493:                             ;   in Loop: Header=BB6_130 Depth=2
	s_mov_b32 s29, exec_lo
                                        ; implicit-def: $vgpr86
	v_cmpx_ne_u64_e32 0, v[0:1]
	s_xor_b32 s29, exec_lo, s29
; %bb.3494:                             ;   in Loop: Header=BB6_130 Depth=2
	v_or_b32_e32 v86, 0x7f, v3
                                        ; implicit-def: $vgpr2
; %bb.3495:                             ;   in Loop: Header=BB6_130 Depth=2
	s_and_not1_saveexec_b32 s29, s29
; %bb.3496:                             ;   in Loop: Header=BB6_130 Depth=2
	v_cmp_lt_i32_e32 vcc_lo, -1, v2
	v_mov_b32_e32 v0, 0x7c
	s_delay_alu instid0(VALU_DEP_1)
	v_cndmask_b32_e32 v86, 0xfc, v0, vcc_lo
; %bb.3497:                             ;   in Loop: Header=BB6_130 Depth=2
	s_or_b32 exec_lo, exec_lo, s29
.LBB6_3498:                             ;   in Loop: Header=BB6_130 Depth=2
	s_delay_alu instid0(SALU_CYCLE_1) | instskip(SKIP_4) | instid1(VALU_DEP_2)
	s_or_b32 exec_lo, exec_lo, s10
	v_lshl_or_b32 v70, v70, 8, v68
	v_dual_lshlrev_b32 v0, 16, v81 :: v_dual_lshlrev_b32 v2, 24, v83
	v_mov_b32_e32 v3, 0
	s_mov_b32 s29, exec_lo
	v_or3_b32 v0, v0, v2, v70
	v_mov_b32_e32 v2, 0
	v_cmpx_ne_u32_e32 0, v68
	s_cbranch_execz .LBB6_3508
; %bb.3499:                             ;   in Loop: Header=BB6_130 Depth=2
	v_bfrev_b32_e32 v2, 1
	s_mov_b32 s40, exec_lo
	v_cmpx_ne_u32_e32 0x80, v68
	s_cbranch_execz .LBB6_3507
; %bb.3500:                             ;   in Loop: Header=BB6_130 Depth=2
	v_and_b32_e32 v2, 0x7c, v68
	v_and_b32_e32 v4, 3, v68
	s_delay_alu instid0(VALU_DEP_2) | instskip(SKIP_1) | instid1(SALU_CYCLE_1)
	v_cmp_ne_u32_e32 vcc_lo, 0x7c, v2
                                        ; implicit-def: $vgpr2
	s_and_saveexec_b32 s10, vcc_lo
	s_xor_b32 s10, exec_lo, s10
	s_cbranch_execz .LBB6_3504
; %bb.3501:                             ;   in Loop: Header=BB6_130 Depth=2
	v_bfe_u32 v2, v68, 2, 5
	s_mov_b32 s41, exec_lo
	s_delay_alu instid0(VALU_DEP_1)
	v_cmpx_eq_u32_e32 0, v2
; %bb.3502:                             ;   in Loop: Header=BB6_130 Depth=2
	v_clz_i32_u32_e32 v2, v4
	s_delay_alu instid0(VALU_DEP_1) | instskip(NEXT) | instid1(VALU_DEP_1)
	v_min_u32_e32 v2, 32, v2
	v_subrev_nc_u32_e32 v4, 29, v2
	s_delay_alu instid0(VALU_DEP_1) | instskip(NEXT) | instid1(VALU_DEP_1)
	v_lshlrev_b64_e32 v[4:5], v4, v[0:1]
	v_dual_sub_nc_u32 v2, 30, v2 :: v_dual_bitop2_b32 v4, 3, v4 bitop3:0x40
; %bb.3503:                             ;   in Loop: Header=BB6_130 Depth=2
	s_or_b32 exec_lo, exec_lo, s41
	v_lshlrev_b32_e32 v5, 24, v68
                                        ; implicit-def: $vgpr68
	s_delay_alu instid0(VALU_DEP_1) | instskip(NEXT) | instid1(VALU_DEP_1)
	v_and_b32_e32 v5, 0x80000000, v5
	v_lshl_add_u32 v2, v2, 23, v5
	s_delay_alu instid0(VALU_DEP_1) | instskip(NEXT) | instid1(VALU_DEP_1)
	v_lshl_or_b32 v2, v4, 21, v2
                                        ; implicit-def: $vgpr4
	v_add_nc_u32_e32 v2, 0x38000000, v2
.LBB6_3504:                             ;   in Loop: Header=BB6_130 Depth=2
	s_and_not1_saveexec_b32 s41, s10
; %bb.3505:                             ;   in Loop: Header=BB6_130 Depth=2
	v_and_b32_e32 v2, 0x80, v68
	v_cmp_eq_u32_e32 vcc_lo, 0, v4
	s_delay_alu instid0(VALU_DEP_2) | instskip(SKIP_1) | instid1(VALU_DEP_1)
	v_cmp_eq_u32_e64 s10, 0, v2
	v_mov_b32_e32 v2, 0x7f800000
	v_cndmask_b32_e64 v2, 0xff800000, v2, s10
	s_delay_alu instid0(VALU_DEP_1)
	v_cndmask_b32_e32 v2, 0x7f800001, v2, vcc_lo
; %bb.3506:                             ;   in Loop: Header=BB6_130 Depth=2
	s_or_b32 exec_lo, exec_lo, s41
.LBB6_3507:                             ;   in Loop: Header=BB6_130 Depth=2
	s_delay_alu instid0(SALU_CYCLE_1)
	s_or_b32 exec_lo, exec_lo, s40
.LBB6_3508:                             ;   in Loop: Header=BB6_130 Depth=2
	s_delay_alu instid0(SALU_CYCLE_1) | instskip(SKIP_2) | instid1(VALU_DEP_1)
	s_or_b32 exec_lo, exec_lo, s29
	v_and_b32_e32 v4, 0xff, v15
	s_mov_b32 s29, exec_lo
	v_cmpx_ne_u16_e32 0, v4
	s_cbranch_execz .LBB6_3518
; %bb.3509:                             ;   in Loop: Header=BB6_130 Depth=2
	v_bfrev_b32_e32 v3, 1
	s_mov_b32 s40, exec_lo
	v_cmpx_ne_u16_e32 0x80, v4
	s_cbranch_execz .LBB6_3517
; %bb.3510:                             ;   in Loop: Header=BB6_130 Depth=2
	v_and_b32_e32 v3, 0x7c, v15
	v_and_b32_e32 v4, 3, v15
	s_delay_alu instid0(VALU_DEP_2) | instskip(SKIP_1) | instid1(SALU_CYCLE_1)
	v_cmp_ne_u32_e32 vcc_lo, 0x7c, v3
                                        ; implicit-def: $vgpr3
	s_and_saveexec_b32 s10, vcc_lo
	s_xor_b32 s10, exec_lo, s10
	s_cbranch_execz .LBB6_3514
; %bb.3511:                             ;   in Loop: Header=BB6_130 Depth=2
	v_bfe_u32 v3, v15, 2, 5
	s_mov_b32 s41, exec_lo
	s_delay_alu instid0(VALU_DEP_1)
	v_cmpx_eq_u32_e32 0, v3
; %bb.3512:                             ;   in Loop: Header=BB6_130 Depth=2
	v_clz_i32_u32_e32 v3, v4
	v_dual_mov_b32 v4, v15 :: v_dual_mov_b32 v5, v1
	s_delay_alu instid0(VALU_DEP_2) | instskip(NEXT) | instid1(VALU_DEP_1)
	v_min_u32_e32 v3, 32, v3
	v_subrev_nc_u32_e32 v68, 29, v3
	s_delay_alu instid0(VALU_DEP_1) | instskip(NEXT) | instid1(VALU_DEP_1)
	v_lshlrev_b64_e32 v[4:5], v68, v[4:5]
	v_dual_sub_nc_u32 v3, 30, v3 :: v_dual_bitop2_b32 v4, 3, v4 bitop3:0x40
; %bb.3513:                             ;   in Loop: Header=BB6_130 Depth=2
	s_or_b32 exec_lo, exec_lo, s41
	v_lshlrev_b32_e32 v5, 24, v15
	s_delay_alu instid0(VALU_DEP_1) | instskip(NEXT) | instid1(VALU_DEP_1)
	v_and_b32_e32 v5, 0x80000000, v5
	v_lshl_add_u32 v3, v3, 23, v5
	s_delay_alu instid0(VALU_DEP_1) | instskip(NEXT) | instid1(VALU_DEP_1)
	v_lshl_or_b32 v3, v4, 21, v3
                                        ; implicit-def: $vgpr4
	v_add_nc_u32_e32 v3, 0x38000000, v3
.LBB6_3514:                             ;   in Loop: Header=BB6_130 Depth=2
	s_and_not1_saveexec_b32 s41, s10
; %bb.3515:                             ;   in Loop: Header=BB6_130 Depth=2
	v_bfe_i32 v3, v15, 0, 8
	v_cmp_eq_u32_e32 vcc_lo, 0, v4
	s_delay_alu instid0(VALU_DEP_2) | instskip(SKIP_1) | instid1(VALU_DEP_1)
	v_cmp_lt_i16_e64 s10, -1, v3
	v_mov_b32_e32 v3, 0x7f800000
	v_cndmask_b32_e64 v3, 0xff800000, v3, s10
	s_delay_alu instid0(VALU_DEP_1)
	v_cndmask_b32_e32 v3, 0x7f800001, v3, vcc_lo
; %bb.3516:                             ;   in Loop: Header=BB6_130 Depth=2
	s_or_b32 exec_lo, exec_lo, s41
.LBB6_3517:                             ;   in Loop: Header=BB6_130 Depth=2
	s_delay_alu instid0(SALU_CYCLE_1)
	s_or_b32 exec_lo, exec_lo, s40
.LBB6_3518:                             ;   in Loop: Header=BB6_130 Depth=2
	s_delay_alu instid0(SALU_CYCLE_1) | instskip(NEXT) | instid1(VALU_DEP_1)
	s_or_b32 exec_lo, exec_lo, s29
	v_dual_add_f32 v4, v2, v3 :: v_dual_mov_b32 v63, v1
	v_mov_b32_e32 v3, v1
                                        ; implicit-def: $vgpr68
	s_mov_b32 s10, exec_lo
	s_delay_alu instid0(VALU_DEP_2) | instskip(SKIP_2) | instid1(VALU_DEP_3)
	v_and_b32_e32 v62, 0x7f800000, v4
	v_and_b32_e32 v2, 0x7fffff, v4
	v_lshrrev_b32_e32 v5, 24, v4
	v_cmpx_ne_u64_e32 0x7f800000, v[62:63]
	s_xor_b32 s29, exec_lo, s10
	s_cbranch_execz .LBB6_3532
; %bb.3519:                             ;   in Loop: Header=BB6_130 Depth=2
	v_and_b32_e32 v62, 0x7fffffff, v4
	v_mov_b32_e32 v63, v1
	v_and_b32_e32 v81, 0x80, v5
                                        ; implicit-def: $vgpr68
	s_mov_b32 s10, exec_lo
	s_delay_alu instid0(VALU_DEP_2)
	v_cmpx_gt_u64_e32 0x47600001, v[62:63]
	s_xor_b32 s40, exec_lo, s10
	s_cbranch_execz .LBB6_3529
; %bb.3520:                             ;   in Loop: Header=BB6_130 Depth=2
	v_mov_b32_e32 v68, 0
	s_mov_b32 s41, exec_lo
	v_cmpx_ne_u32_e32 0, v4
	s_cbranch_execz .LBB6_3528
; %bb.3521:                             ;   in Loop: Header=BB6_130 Depth=2
	v_bfe_u32 v68, v4, 23, 8
	v_or_b32_e32 v5, 0x800000, v2
	s_delay_alu instid0(VALU_DEP_2) | instskip(SKIP_2) | instid1(VALU_DEP_2)
	v_cmp_gt_u32_e64 s10, 0x72, v68
	v_sub_nc_u32_e32 v4, 0x71, v68
	v_cmp_eq_u32_e32 vcc_lo, 0, v68
	v_dual_cndmask_b32 v4, 0, v4, s10 :: v_dual_cndmask_b32 v2, v5, v2, vcc_lo
	s_delay_alu instid0(VALU_DEP_1) | instskip(NEXT) | instid1(VALU_DEP_1)
	v_cndmask_b32_e64 v83, v4, 0x70, vcc_lo
	v_dual_add_nc_u32 v4, 21, v83 :: v_dual_add_nc_u32 v97, 20, v83
	s_delay_alu instid0(VALU_DEP_1) | instskip(NEXT) | instid1(VALU_DEP_2)
	v_lshlrev_b64_e64 v[4:5], v4, -1
	v_lshlrev_b64_e64 v[62:63], v97, 1
	s_delay_alu instid0(VALU_DEP_2) | instskip(SKIP_1) | instid1(VALU_DEP_4)
	v_bfi_b32 v4, v4, 0, v2
	v_lshrrev_b64 v[2:3], v83, v[2:3]
	v_bfi_b32 v5, v5, 0, 0
	s_delay_alu instid0(VALU_DEP_1) | instskip(NEXT) | instid1(VALU_DEP_3)
	v_cmp_eq_u64_e64 s10, v[4:5], v[62:63]
	v_mov_b64_e32 v[4:5], v[2:3]
	s_and_saveexec_b32 s42, s10
; %bb.3522:                             ;   in Loop: Header=BB6_130 Depth=2
	v_bfe_u32 v4, v2, 21, 1
	v_mov_b32_e32 v5, v1
	s_delay_alu instid0(VALU_DEP_1) | instskip(NEXT) | instid1(VALU_DEP_1)
	v_add_nc_u64_e32 v[4:5], v[2:3], v[4:5]
	v_add_nc_u64_e32 v[4:5], -1, v[4:5]
; %bb.3523:                             ;   in Loop: Header=BB6_130 Depth=2
	s_or_b32 exec_lo, exec_lo, s42
	v_add_nc_u32_e32 v3, 0xffffff81, v68
	v_lshrrev_b32_e32 v5, 23, v2
	s_mov_b32 s10, exec_lo
	s_delay_alu instid0(VALU_DEP_2) | instskip(NEXT) | instid1(VALU_DEP_1)
	v_cndmask_b32_e64 v3, v3, 0xffffff82, vcc_lo
	v_add3_u32 v68, v83, v3, v5
	v_and_b32_e32 v3, 0x1fffff, v4
                                        ; implicit-def: $vgpr4
	s_delay_alu instid0(VALU_DEP_1) | instskip(SKIP_1) | instid1(VALU_DEP_2)
	v_dual_add_nc_u32 v5, 14, v68 :: v_dual_add_nc_u32 v2, v3, v2
	v_mov_b32_e32 v3, v1
	v_cmpx_ne_u32_e32 0, v5
	s_xor_b32 s10, exec_lo, s10
; %bb.3524:                             ;   in Loop: Header=BB6_130 Depth=2
	s_delay_alu instid0(VALU_DEP_2) | instskip(SKIP_1) | instid1(VALU_DEP_1)
	v_cmp_lt_u64_e32 vcc_lo, 0xffffff, v[2:3]
	v_add_nc_u32_e32 v4, 15, v68
	v_cndmask_b32_e32 v4, v5, v4, vcc_lo
	v_cndmask_b32_e64 v5, 0, 1, vcc_lo
	s_delay_alu instid0(VALU_DEP_1)
	v_lshrrev_b64 v[2:3], v5, v[2:3]
; %bb.3525:                             ;   in Loop: Header=BB6_130 Depth=2
	s_and_not1_saveexec_b32 s10, s10
; %bb.3526:                             ;   in Loop: Header=BB6_130 Depth=2
	s_delay_alu instid0(VALU_DEP_1)
	v_bfe_u32 v4, v2, 23, 1
; %bb.3527:                             ;   in Loop: Header=BB6_130 Depth=2
	s_or_b32 exec_lo, exec_lo, s10
	s_delay_alu instid0(VALU_DEP_2) | instskip(NEXT) | instid1(VALU_DEP_2)
	v_lshrrev_b64 v[2:3], 21, v[2:3]
	v_cmp_gt_i32_e32 vcc_lo, 32, v4
	v_min_i32_e32 v5, 31, v4
	v_cmp_eq_u32_e64 s10, 0, v4
	s_delay_alu instid0(VALU_DEP_2) | instskip(SKIP_1) | instid1(VALU_DEP_2)
	v_dual_cndmask_b32 v3, 0, v3, vcc_lo :: v_dual_lshlrev_b32 v5, 2, v5
	v_cndmask_b32_e32 v2, 3, v2, vcc_lo
	v_and_b32_e32 v5, 0xfc, v5
	s_delay_alu instid0(VALU_DEP_2) | instskip(NEXT) | instid1(VALU_DEP_2)
	v_cmp_eq_u64_e32 vcc_lo, 0, v[2:3]
	v_and_or_b32 v2, v2, 3, v5
	s_and_b32 s10, s10, vcc_lo
	s_delay_alu instid0(VALU_DEP_1) | instid1(SALU_CYCLE_1)
	v_cndmask_b32_e64 v2, v2, 0, s10
	s_delay_alu instid0(VALU_DEP_1)
	v_or_b32_e32 v68, v2, v81
.LBB6_3528:                             ;   in Loop: Header=BB6_130 Depth=2
	s_or_b32 exec_lo, exec_lo, s41
                                        ; implicit-def: $vgpr81
.LBB6_3529:                             ;   in Loop: Header=BB6_130 Depth=2
	s_and_not1_saveexec_b32 s10, s40
; %bb.3530:                             ;   in Loop: Header=BB6_130 Depth=2
	v_or_b32_e32 v68, 0x7b, v81
; %bb.3531:                             ;   in Loop: Header=BB6_130 Depth=2
	s_or_b32 exec_lo, exec_lo, s10
                                        ; implicit-def: $vgpr4
                                        ; implicit-def: $vgpr2_vgpr3
                                        ; implicit-def: $vgpr5
.LBB6_3532:                             ;   in Loop: Header=BB6_130 Depth=2
	s_and_not1_saveexec_b32 s10, s29
	s_cbranch_execz .LBB6_3538
; %bb.3533:                             ;   in Loop: Header=BB6_130 Depth=2
	s_mov_b32 s29, exec_lo
                                        ; implicit-def: $vgpr68
	v_cmpx_ne_u64_e32 0, v[2:3]
	s_xor_b32 s29, exec_lo, s29
; %bb.3534:                             ;   in Loop: Header=BB6_130 Depth=2
	v_or_b32_e32 v68, 0x7f, v5
                                        ; implicit-def: $vgpr4
; %bb.3535:                             ;   in Loop: Header=BB6_130 Depth=2
	s_and_not1_saveexec_b32 s29, s29
; %bb.3536:                             ;   in Loop: Header=BB6_130 Depth=2
	v_cmp_lt_i32_e32 vcc_lo, -1, v4
	v_mov_b32_e32 v2, 0x7c
	s_delay_alu instid0(VALU_DEP_1)
	v_cndmask_b32_e32 v68, 0xfc, v2, vcc_lo
; %bb.3537:                             ;   in Loop: Header=BB6_130 Depth=2
	s_or_b32 exec_lo, exec_lo, s29
.LBB6_3538:                             ;   in Loop: Header=BB6_130 Depth=2
	s_delay_alu instid0(SALU_CYCLE_1) | instskip(SKIP_3) | instid1(VALU_DEP_2)
	s_or_b32 exec_lo, exec_lo, s10
	v_lshrrev_b16 v2, 8, v70
	v_dual_mov_b32 v4, 0 :: v_dual_mov_b32 v5, 0
	s_mov_b32 s29, exec_lo
	v_cmpx_ne_u16_e32 0, v2
	s_cbranch_execz .LBB6_3548
; %bb.3539:                             ;   in Loop: Header=BB6_130 Depth=2
	v_bfrev_b32_e32 v5, 1
	s_mov_b32 s40, exec_lo
	v_cmpx_ne_u16_e32 0x80, v2
	s_cbranch_execz .LBB6_3547
; %bb.3540:                             ;   in Loop: Header=BB6_130 Depth=2
	v_and_b32_e32 v81, 0xffff, v2
	s_delay_alu instid0(VALU_DEP_1) | instskip(SKIP_1) | instid1(VALU_DEP_2)
	v_and_b32_e32 v5, 0x7c, v81
	v_and_b32_e32 v3, 3, v81
	v_cmp_ne_u32_e32 vcc_lo, 0x7c, v5
                                        ; implicit-def: $vgpr5
	s_and_saveexec_b32 s10, vcc_lo
	s_delay_alu instid0(SALU_CYCLE_1)
	s_xor_b32 s10, exec_lo, s10
	s_cbranch_execz .LBB6_3544
; %bb.3541:                             ;   in Loop: Header=BB6_130 Depth=2
	v_bfe_u32 v5, v81, 2, 5
	s_mov_b32 s41, exec_lo
	s_delay_alu instid0(VALU_DEP_1)
	v_cmpx_eq_u32_e32 0, v5
	s_cbranch_execz .LBB6_3543
; %bb.3542:                             ;   in Loop: Header=BB6_130 Depth=2
	v_clz_i32_u32_e32 v3, v3
	s_delay_alu instid0(VALU_DEP_1) | instskip(SKIP_1) | instid1(VALU_DEP_2)
	v_min_u32_e32 v5, 32, v3
	v_mov_b32_e32 v3, v1
	v_subrev_nc_u32_e32 v81, 29, v5
	v_sub_nc_u32_e32 v5, 30, v5
	s_delay_alu instid0(VALU_DEP_2) | instskip(NEXT) | instid1(VALU_DEP_1)
	v_lshlrev_b64_e32 v[2:3], v81, v[2:3]
	v_and_b32_e32 v3, 3, v2
.LBB6_3543:                             ;   in Loop: Header=BB6_130 Depth=2
	s_or_b32 exec_lo, exec_lo, s41
	v_lshlrev_b32_e32 v2, 16, v70
                                        ; implicit-def: $vgpr70
	s_delay_alu instid0(VALU_DEP_1) | instskip(NEXT) | instid1(VALU_DEP_1)
	v_and_b32_e32 v2, 0x80000000, v2
	v_lshl_add_u32 v2, v5, 23, v2
	s_delay_alu instid0(VALU_DEP_1) | instskip(NEXT) | instid1(VALU_DEP_1)
	v_lshl_or_b32 v2, v3, 21, v2
                                        ; implicit-def: $vgpr3
	v_add_nc_u32_e32 v5, 0x38000000, v2
.LBB6_3544:                             ;   in Loop: Header=BB6_130 Depth=2
	s_and_not1_saveexec_b32 s41, s10
; %bb.3545:                             ;   in Loop: Header=BB6_130 Depth=2
	v_cmp_lt_i16_e64 s10, -1, v70
	v_mov_b32_e32 v2, 0x7f800000
	v_cmp_eq_u32_e32 vcc_lo, 0, v3
	s_delay_alu instid0(VALU_DEP_2) | instskip(NEXT) | instid1(VALU_DEP_1)
	v_cndmask_b32_e64 v2, 0xff800000, v2, s10
	v_cndmask_b32_e32 v5, 0x7f800001, v2, vcc_lo
; %bb.3546:                             ;   in Loop: Header=BB6_130 Depth=2
	s_or_b32 exec_lo, exec_lo, s41
.LBB6_3547:                             ;   in Loop: Header=BB6_130 Depth=2
	s_delay_alu instid0(SALU_CYCLE_1)
	s_or_b32 exec_lo, exec_lo, s40
.LBB6_3548:                             ;   in Loop: Header=BB6_130 Depth=2
	s_delay_alu instid0(SALU_CYCLE_1) | instskip(SKIP_2) | instid1(VALU_DEP_1)
	s_or_b32 exec_lo, exec_lo, s29
	v_lshrrev_b16 v2, 8, v15
	s_mov_b32 s29, exec_lo
	v_cmpx_ne_u16_e32 0, v2
	s_cbranch_execz .LBB6_3558
; %bb.3549:                             ;   in Loop: Header=BB6_130 Depth=2
	v_bfrev_b32_e32 v4, 1
	s_mov_b32 s40, exec_lo
	v_cmpx_ne_u16_e32 0x80, v2
	s_cbranch_execz .LBB6_3557
; %bb.3550:                             ;   in Loop: Header=BB6_130 Depth=2
	v_and_b32_e32 v70, 0xffff, v2
	s_delay_alu instid0(VALU_DEP_1) | instskip(SKIP_1) | instid1(VALU_DEP_2)
	v_and_b32_e32 v4, 0x7c, v70
	v_and_b32_e32 v3, 3, v70
	v_cmp_ne_u32_e32 vcc_lo, 0x7c, v4
                                        ; implicit-def: $vgpr4
	s_and_saveexec_b32 s10, vcc_lo
	s_delay_alu instid0(SALU_CYCLE_1)
	s_xor_b32 s10, exec_lo, s10
	s_cbranch_execz .LBB6_3554
; %bb.3551:                             ;   in Loop: Header=BB6_130 Depth=2
	v_bfe_u32 v4, v70, 2, 5
	s_mov_b32 s41, exec_lo
	s_delay_alu instid0(VALU_DEP_1)
	v_cmpx_eq_u32_e32 0, v4
	s_cbranch_execz .LBB6_3553
; %bb.3552:                             ;   in Loop: Header=BB6_130 Depth=2
	v_clz_i32_u32_e32 v3, v3
	s_delay_alu instid0(VALU_DEP_1) | instskip(SKIP_1) | instid1(VALU_DEP_2)
	v_min_u32_e32 v4, 32, v3
	v_mov_b32_e32 v3, v1
	v_subrev_nc_u32_e32 v70, 29, v4
	v_sub_nc_u32_e32 v4, 30, v4
	s_delay_alu instid0(VALU_DEP_2) | instskip(NEXT) | instid1(VALU_DEP_1)
	v_lshlrev_b64_e32 v[2:3], v70, v[2:3]
	v_and_b32_e32 v3, 3, v2
.LBB6_3553:                             ;   in Loop: Header=BB6_130 Depth=2
	s_or_b32 exec_lo, exec_lo, s41
	v_lshlrev_b32_e32 v2, 16, v15
	s_delay_alu instid0(VALU_DEP_1) | instskip(NEXT) | instid1(VALU_DEP_1)
	v_and_b32_e32 v2, 0x80000000, v2
	v_lshl_add_u32 v2, v4, 23, v2
	s_delay_alu instid0(VALU_DEP_1) | instskip(NEXT) | instid1(VALU_DEP_1)
	v_lshl_or_b32 v2, v3, 21, v2
                                        ; implicit-def: $vgpr3
	v_add_nc_u32_e32 v4, 0x38000000, v2
.LBB6_3554:                             ;   in Loop: Header=BB6_130 Depth=2
	s_and_not1_saveexec_b32 s41, s10
; %bb.3555:                             ;   in Loop: Header=BB6_130 Depth=2
	v_cmp_lt_i16_e64 s10, -1, v15
	v_mov_b32_e32 v2, 0x7f800000
	v_cmp_eq_u32_e32 vcc_lo, 0, v3
	s_delay_alu instid0(VALU_DEP_2) | instskip(NEXT) | instid1(VALU_DEP_1)
	v_cndmask_b32_e64 v2, 0xff800000, v2, s10
	v_cndmask_b32_e32 v4, 0x7f800001, v2, vcc_lo
; %bb.3556:                             ;   in Loop: Header=BB6_130 Depth=2
	s_or_b32 exec_lo, exec_lo, s41
.LBB6_3557:                             ;   in Loop: Header=BB6_130 Depth=2
	s_delay_alu instid0(SALU_CYCLE_1)
	s_or_b32 exec_lo, exec_lo, s40
.LBB6_3558:                             ;   in Loop: Header=BB6_130 Depth=2
	s_delay_alu instid0(SALU_CYCLE_1) | instskip(NEXT) | instid1(VALU_DEP_1)
	s_or_b32 exec_lo, exec_lo, s29
	v_add_f32_e32 v4, v5, v4
	v_dual_mov_b32 v63, v1 :: v_dual_mov_b32 v3, v1
                                        ; implicit-def: $vgpr70
	s_mov_b32 s10, exec_lo
	s_delay_alu instid0(VALU_DEP_2) | instskip(SKIP_2) | instid1(VALU_DEP_3)
	v_and_b32_e32 v62, 0x7f800000, v4
	v_and_b32_e32 v2, 0x7fffff, v4
	v_lshrrev_b32_e32 v5, 24, v4
	v_cmpx_ne_u64_e32 0x7f800000, v[62:63]
	s_xor_b32 s29, exec_lo, s10
	s_cbranch_execz .LBB6_3572
; %bb.3559:                             ;   in Loop: Header=BB6_130 Depth=2
	v_and_b32_e32 v62, 0x7fffffff, v4
	v_mov_b32_e32 v63, v1
	v_and_b32_e32 v81, 0x80, v5
                                        ; implicit-def: $vgpr70
	s_mov_b32 s10, exec_lo
	s_delay_alu instid0(VALU_DEP_2)
	v_cmpx_gt_u64_e32 0x47600001, v[62:63]
	s_xor_b32 s40, exec_lo, s10
	s_cbranch_execz .LBB6_3569
; %bb.3560:                             ;   in Loop: Header=BB6_130 Depth=2
	v_mov_b32_e32 v70, 0
	s_mov_b32 s41, exec_lo
	v_cmpx_ne_u32_e32 0, v4
	s_cbranch_execz .LBB6_3568
; %bb.3561:                             ;   in Loop: Header=BB6_130 Depth=2
	v_bfe_u32 v70, v4, 23, 8
	v_or_b32_e32 v5, 0x800000, v2
	s_delay_alu instid0(VALU_DEP_2) | instskip(SKIP_2) | instid1(VALU_DEP_2)
	v_cmp_gt_u32_e64 s10, 0x72, v70
	v_sub_nc_u32_e32 v4, 0x71, v70
	v_cmp_eq_u32_e32 vcc_lo, 0, v70
	v_dual_cndmask_b32 v4, 0, v4, s10 :: v_dual_cndmask_b32 v2, v5, v2, vcc_lo
	s_delay_alu instid0(VALU_DEP_1) | instskip(NEXT) | instid1(VALU_DEP_1)
	v_cndmask_b32_e64 v83, v4, 0x70, vcc_lo
	v_dual_add_nc_u32 v4, 21, v83 :: v_dual_add_nc_u32 v97, 20, v83
	s_delay_alu instid0(VALU_DEP_1) | instskip(NEXT) | instid1(VALU_DEP_2)
	v_lshlrev_b64_e64 v[4:5], v4, -1
	v_lshlrev_b64_e64 v[62:63], v97, 1
	s_delay_alu instid0(VALU_DEP_2) | instskip(SKIP_1) | instid1(VALU_DEP_4)
	v_bfi_b32 v4, v4, 0, v2
	v_lshrrev_b64 v[2:3], v83, v[2:3]
	v_bfi_b32 v5, v5, 0, 0
	s_delay_alu instid0(VALU_DEP_1) | instskip(NEXT) | instid1(VALU_DEP_3)
	v_cmp_eq_u64_e64 s10, v[4:5], v[62:63]
	v_mov_b64_e32 v[4:5], v[2:3]
	s_and_saveexec_b32 s42, s10
; %bb.3562:                             ;   in Loop: Header=BB6_130 Depth=2
	v_bfe_u32 v4, v2, 21, 1
	v_mov_b32_e32 v5, v1
	s_delay_alu instid0(VALU_DEP_1) | instskip(NEXT) | instid1(VALU_DEP_1)
	v_add_nc_u64_e32 v[4:5], v[2:3], v[4:5]
	v_add_nc_u64_e32 v[4:5], -1, v[4:5]
; %bb.3563:                             ;   in Loop: Header=BB6_130 Depth=2
	s_or_b32 exec_lo, exec_lo, s42
	v_add_nc_u32_e32 v3, 0xffffff81, v70
	v_lshrrev_b32_e32 v5, 23, v2
	s_mov_b32 s10, exec_lo
	s_delay_alu instid0(VALU_DEP_2) | instskip(NEXT) | instid1(VALU_DEP_1)
	v_cndmask_b32_e64 v3, v3, 0xffffff82, vcc_lo
	v_add3_u32 v70, v83, v3, v5
	v_and_b32_e32 v3, 0x1fffff, v4
                                        ; implicit-def: $vgpr4
	s_delay_alu instid0(VALU_DEP_2) | instskip(NEXT) | instid1(VALU_DEP_2)
	v_add_nc_u32_e32 v5, 14, v70
	v_dual_mov_b32 v3, v1 :: v_dual_add_nc_u32 v2, v3, v2
	s_delay_alu instid0(VALU_DEP_2)
	v_cmpx_ne_u32_e32 0, v5
	s_xor_b32 s10, exec_lo, s10
; %bb.3564:                             ;   in Loop: Header=BB6_130 Depth=2
	s_delay_alu instid0(VALU_DEP_2) | instskip(SKIP_1) | instid1(VALU_DEP_1)
	v_cmp_lt_u64_e32 vcc_lo, 0xffffff, v[2:3]
	v_add_nc_u32_e32 v4, 15, v70
	v_cndmask_b32_e32 v4, v5, v4, vcc_lo
	v_cndmask_b32_e64 v5, 0, 1, vcc_lo
	s_delay_alu instid0(VALU_DEP_1)
	v_lshrrev_b64 v[2:3], v5, v[2:3]
; %bb.3565:                             ;   in Loop: Header=BB6_130 Depth=2
	s_and_not1_saveexec_b32 s10, s10
; %bb.3566:                             ;   in Loop: Header=BB6_130 Depth=2
	s_delay_alu instid0(VALU_DEP_1)
	v_bfe_u32 v4, v2, 23, 1
; %bb.3567:                             ;   in Loop: Header=BB6_130 Depth=2
	s_or_b32 exec_lo, exec_lo, s10
	s_delay_alu instid0(VALU_DEP_2) | instskip(NEXT) | instid1(VALU_DEP_2)
	v_lshrrev_b64 v[2:3], 21, v[2:3]
	v_cmp_gt_i32_e32 vcc_lo, 32, v4
	v_min_i32_e32 v5, 31, v4
	v_cmp_eq_u32_e64 s10, 0, v4
	s_delay_alu instid0(VALU_DEP_2) | instskip(SKIP_1) | instid1(VALU_DEP_2)
	v_dual_cndmask_b32 v3, 0, v3, vcc_lo :: v_dual_lshlrev_b32 v5, 2, v5
	v_cndmask_b32_e32 v2, 3, v2, vcc_lo
	v_and_b32_e32 v5, 0xfc, v5
	s_delay_alu instid0(VALU_DEP_2) | instskip(NEXT) | instid1(VALU_DEP_2)
	v_cmp_eq_u64_e32 vcc_lo, 0, v[2:3]
	v_and_or_b32 v2, v2, 3, v5
	s_and_b32 s10, s10, vcc_lo
	s_delay_alu instid0(VALU_DEP_1) | instid1(SALU_CYCLE_1)
	v_cndmask_b32_e64 v2, v2, 0, s10
	s_delay_alu instid0(VALU_DEP_1)
	v_or_b32_e32 v70, v2, v81
.LBB6_3568:                             ;   in Loop: Header=BB6_130 Depth=2
	s_or_b32 exec_lo, exec_lo, s41
                                        ; implicit-def: $vgpr81
.LBB6_3569:                             ;   in Loop: Header=BB6_130 Depth=2
	s_and_not1_saveexec_b32 s10, s40
; %bb.3570:                             ;   in Loop: Header=BB6_130 Depth=2
	v_or_b32_e32 v70, 0x7b, v81
; %bb.3571:                             ;   in Loop: Header=BB6_130 Depth=2
	s_or_b32 exec_lo, exec_lo, s10
                                        ; implicit-def: $vgpr4
                                        ; implicit-def: $vgpr2_vgpr3
                                        ; implicit-def: $vgpr5
.LBB6_3572:                             ;   in Loop: Header=BB6_130 Depth=2
	s_and_not1_saveexec_b32 s10, s29
	s_cbranch_execz .LBB6_3578
; %bb.3573:                             ;   in Loop: Header=BB6_130 Depth=2
	s_mov_b32 s29, exec_lo
                                        ; implicit-def: $vgpr70
	v_cmpx_ne_u64_e32 0, v[2:3]
	s_xor_b32 s29, exec_lo, s29
; %bb.3574:                             ;   in Loop: Header=BB6_130 Depth=2
	v_or_b32_e32 v70, 0x7f, v5
                                        ; implicit-def: $vgpr4
; %bb.3575:                             ;   in Loop: Header=BB6_130 Depth=2
	s_and_not1_saveexec_b32 s29, s29
; %bb.3576:                             ;   in Loop: Header=BB6_130 Depth=2
	v_cmp_lt_i32_e32 vcc_lo, -1, v4
	v_mov_b32_e32 v2, 0x7c
	s_delay_alu instid0(VALU_DEP_1)
	v_cndmask_b32_e32 v70, 0xfc, v2, vcc_lo
; %bb.3577:                             ;   in Loop: Header=BB6_130 Depth=2
	s_or_b32 exec_lo, exec_lo, s29
.LBB6_3578:                             ;   in Loop: Header=BB6_130 Depth=2
	s_delay_alu instid0(SALU_CYCLE_1) | instskip(SKIP_3) | instid1(VALU_DEP_2)
	s_or_b32 exec_lo, exec_lo, s10
	v_dual_mov_b32 v3, 0 :: v_dual_lshrrev_b32 v2, 16, v0
	v_mov_b32_e32 v4, 0
	s_mov_b32 s29, exec_lo
	v_and_b32_e32 v5, 0xff, v2
	s_delay_alu instid0(VALU_DEP_1)
	v_cmpx_ne_u16_e32 0, v5
	s_cbranch_execz .LBB6_3588
; %bb.3579:                             ;   in Loop: Header=BB6_130 Depth=2
	v_bfrev_b32_e32 v4, 1
	s_mov_b32 s40, exec_lo
	v_cmpx_ne_u16_e32 0x80, v5
	s_cbranch_execz .LBB6_3587
; %bb.3580:                             ;   in Loop: Header=BB6_130 Depth=2
	v_and_b32_e32 v4, 0x7c0000, v0
	v_bfe_u32 v5, v0, 16, 2
	s_delay_alu instid0(VALU_DEP_2) | instskip(SKIP_1) | instid1(SALU_CYCLE_1)
	v_cmp_ne_u32_e32 vcc_lo, 0x7c0000, v4
                                        ; implicit-def: $vgpr4
	s_and_saveexec_b32 s10, vcc_lo
	s_xor_b32 s10, exec_lo, s10
	s_cbranch_execz .LBB6_3584
; %bb.3581:                             ;   in Loop: Header=BB6_130 Depth=2
	v_bfe_u32 v4, v0, 18, 5
	s_mov_b32 s41, exec_lo
	s_delay_alu instid0(VALU_DEP_1)
	v_cmpx_eq_u32_e32 0, v4
; %bb.3582:                             ;   in Loop: Header=BB6_130 Depth=2
	v_clz_i32_u32_e32 v4, v5
	s_delay_alu instid0(VALU_DEP_1) | instskip(NEXT) | instid1(VALU_DEP_1)
	v_min_u32_e32 v4, 32, v4
	v_subrev_nc_u32_e32 v5, 29, v4
	s_delay_alu instid0(VALU_DEP_1) | instskip(NEXT) | instid1(VALU_DEP_1)
	v_lshlrev_b64_e32 v[62:63], v5, v[2:3]
	v_dual_sub_nc_u32 v4, 30, v4 :: v_dual_bitop2_b32 v5, 3, v62 bitop3:0x40
; %bb.3583:                             ;   in Loop: Header=BB6_130 Depth=2
	s_or_b32 exec_lo, exec_lo, s41
	v_lshlrev_b32_e32 v2, 24, v2
	s_delay_alu instid0(VALU_DEP_1) | instskip(NEXT) | instid1(VALU_DEP_1)
	v_and_b32_e32 v2, 0x80000000, v2
	v_lshl_add_u32 v2, v4, 23, v2
	s_delay_alu instid0(VALU_DEP_1) | instskip(NEXT) | instid1(VALU_DEP_1)
	v_lshl_or_b32 v2, v5, 21, v2
                                        ; implicit-def: $vgpr5
	v_add_nc_u32_e32 v4, 0x38000000, v2
                                        ; implicit-def: $vgpr2
.LBB6_3584:                             ;   in Loop: Header=BB6_130 Depth=2
	s_and_not1_saveexec_b32 s41, s10
; %bb.3585:                             ;   in Loop: Header=BB6_130 Depth=2
	v_bfe_i32 v2, v2, 0, 8
	v_cmp_eq_u32_e32 vcc_lo, 0, v5
	s_delay_alu instid0(VALU_DEP_2) | instskip(SKIP_1) | instid1(VALU_DEP_1)
	v_cmp_lt_i16_e64 s10, -1, v2
	v_mov_b32_e32 v2, 0x7f800000
	v_cndmask_b32_e64 v2, 0xff800000, v2, s10
	s_delay_alu instid0(VALU_DEP_1)
	v_cndmask_b32_e32 v4, 0x7f800001, v2, vcc_lo
; %bb.3586:                             ;   in Loop: Header=BB6_130 Depth=2
	s_or_b32 exec_lo, exec_lo, s41
.LBB6_3587:                             ;   in Loop: Header=BB6_130 Depth=2
	s_delay_alu instid0(SALU_CYCLE_1)
	s_or_b32 exec_lo, exec_lo, s40
.LBB6_3588:                             ;   in Loop: Header=BB6_130 Depth=2
	s_delay_alu instid0(SALU_CYCLE_1) | instskip(SKIP_2) | instid1(VALU_DEP_1)
	s_or_b32 exec_lo, exec_lo, s29
	v_lshrrev_b32_e32 v2, 16, v15
	s_mov_b32 s29, exec_lo
	v_and_b32_e32 v5, 0xff, v2
	s_delay_alu instid0(VALU_DEP_1)
	v_cmpx_ne_u16_e32 0, v5
	s_cbranch_execz .LBB6_3598
; %bb.3589:                             ;   in Loop: Header=BB6_130 Depth=2
	v_bfrev_b32_e32 v3, 1
	s_mov_b32 s40, exec_lo
	v_cmpx_ne_u16_e32 0x80, v5
	s_cbranch_execz .LBB6_3597
; %bb.3590:                             ;   in Loop: Header=BB6_130 Depth=2
	v_and_b32_e32 v3, 0x7c0000, v15
	v_bfe_u32 v5, v15, 16, 2
	s_delay_alu instid0(VALU_DEP_2) | instskip(SKIP_1) | instid1(SALU_CYCLE_1)
	v_cmp_ne_u32_e32 vcc_lo, 0x7c0000, v3
                                        ; implicit-def: $vgpr3
	s_and_saveexec_b32 s10, vcc_lo
	s_xor_b32 s10, exec_lo, s10
	s_cbranch_execz .LBB6_3594
; %bb.3591:                             ;   in Loop: Header=BB6_130 Depth=2
	v_bfe_u32 v3, v15, 18, 5
	s_mov_b32 s41, exec_lo
	s_delay_alu instid0(VALU_DEP_1)
	v_cmpx_eq_u32_e32 0, v3
; %bb.3592:                             ;   in Loop: Header=BB6_130 Depth=2
	v_clz_i32_u32_e32 v3, v5
	s_delay_alu instid0(VALU_DEP_1) | instskip(NEXT) | instid1(VALU_DEP_1)
	v_min_u32_e32 v3, 32, v3
	v_subrev_nc_u32_e32 v5, 29, v3
	s_delay_alu instid0(VALU_DEP_1) | instskip(NEXT) | instid1(VALU_DEP_1)
	v_lshlrev_b64_e32 v[62:63], v5, v[2:3]
	v_dual_sub_nc_u32 v3, 30, v3 :: v_dual_bitop2_b32 v5, 3, v62 bitop3:0x40
; %bb.3593:                             ;   in Loop: Header=BB6_130 Depth=2
	s_or_b32 exec_lo, exec_lo, s41
	v_lshlrev_b32_e32 v2, 24, v2
	s_delay_alu instid0(VALU_DEP_1) | instskip(NEXT) | instid1(VALU_DEP_1)
	v_and_b32_e32 v2, 0x80000000, v2
	v_lshl_add_u32 v2, v3, 23, v2
	s_delay_alu instid0(VALU_DEP_1) | instskip(NEXT) | instid1(VALU_DEP_1)
	v_lshl_or_b32 v2, v5, 21, v2
                                        ; implicit-def: $vgpr5
	v_add_nc_u32_e32 v3, 0x38000000, v2
                                        ; implicit-def: $vgpr2
.LBB6_3594:                             ;   in Loop: Header=BB6_130 Depth=2
	s_and_not1_saveexec_b32 s41, s10
; %bb.3595:                             ;   in Loop: Header=BB6_130 Depth=2
	v_bfe_i32 v2, v2, 0, 8
	v_cmp_eq_u32_e32 vcc_lo, 0, v5
	s_delay_alu instid0(VALU_DEP_2) | instskip(SKIP_1) | instid1(VALU_DEP_1)
	v_cmp_lt_i16_e64 s10, -1, v2
	v_mov_b32_e32 v2, 0x7f800000
	v_cndmask_b32_e64 v2, 0xff800000, v2, s10
	s_delay_alu instid0(VALU_DEP_1)
	v_cndmask_b32_e32 v3, 0x7f800001, v2, vcc_lo
; %bb.3596:                             ;   in Loop: Header=BB6_130 Depth=2
	s_or_b32 exec_lo, exec_lo, s41
.LBB6_3597:                             ;   in Loop: Header=BB6_130 Depth=2
	s_delay_alu instid0(SALU_CYCLE_1)
	s_or_b32 exec_lo, exec_lo, s40
.LBB6_3598:                             ;   in Loop: Header=BB6_130 Depth=2
	s_delay_alu instid0(SALU_CYCLE_1) | instskip(NEXT) | instid1(VALU_DEP_1)
	s_or_b32 exec_lo, exec_lo, s29
	v_dual_add_f32 v4, v4, v3 :: v_dual_mov_b32 v63, v1
	v_mov_b32_e32 v3, v1
                                        ; implicit-def: $vgpr81
	s_mov_b32 s10, exec_lo
	s_delay_alu instid0(VALU_DEP_2) | instskip(SKIP_2) | instid1(VALU_DEP_3)
	v_and_b32_e32 v62, 0x7f800000, v4
	v_and_b32_e32 v2, 0x7fffff, v4
	v_lshrrev_b32_e32 v5, 24, v4
	v_cmpx_ne_u64_e32 0x7f800000, v[62:63]
	s_xor_b32 s29, exec_lo, s10
	s_cbranch_execz .LBB6_3612
; %bb.3599:                             ;   in Loop: Header=BB6_130 Depth=2
	v_and_b32_e32 v62, 0x7fffffff, v4
	v_mov_b32_e32 v63, v1
	v_and_b32_e32 v83, 0x80, v5
                                        ; implicit-def: $vgpr81
	s_mov_b32 s10, exec_lo
	s_delay_alu instid0(VALU_DEP_2)
	v_cmpx_gt_u64_e32 0x47600001, v[62:63]
	s_xor_b32 s40, exec_lo, s10
	s_cbranch_execz .LBB6_3609
; %bb.3600:                             ;   in Loop: Header=BB6_130 Depth=2
	v_mov_b32_e32 v81, 0
	s_mov_b32 s41, exec_lo
	v_cmpx_ne_u32_e32 0, v4
	s_cbranch_execz .LBB6_3608
; %bb.3601:                             ;   in Loop: Header=BB6_130 Depth=2
	v_bfe_u32 v81, v4, 23, 8
	v_or_b32_e32 v5, 0x800000, v2
	s_delay_alu instid0(VALU_DEP_2) | instskip(SKIP_2) | instid1(VALU_DEP_2)
	v_cmp_gt_u32_e64 s10, 0x72, v81
	v_sub_nc_u32_e32 v4, 0x71, v81
	v_cmp_eq_u32_e32 vcc_lo, 0, v81
	v_dual_cndmask_b32 v4, 0, v4, s10 :: v_dual_cndmask_b32 v2, v5, v2, vcc_lo
	s_delay_alu instid0(VALU_DEP_1) | instskip(NEXT) | instid1(VALU_DEP_1)
	v_cndmask_b32_e64 v97, v4, 0x70, vcc_lo
	v_dual_add_nc_u32 v4, 21, v97 :: v_dual_add_nc_u32 v40, 20, v97
	s_delay_alu instid0(VALU_DEP_1) | instskip(NEXT) | instid1(VALU_DEP_2)
	v_lshlrev_b64_e64 v[4:5], v4, -1
	v_lshlrev_b64_e64 v[62:63], v40, 1
	s_delay_alu instid0(VALU_DEP_2) | instskip(SKIP_1) | instid1(VALU_DEP_4)
	v_bfi_b32 v4, v4, 0, v2
	v_lshrrev_b64 v[2:3], v97, v[2:3]
	v_bfi_b32 v5, v5, 0, 0
	s_delay_alu instid0(VALU_DEP_1) | instskip(NEXT) | instid1(VALU_DEP_3)
	v_cmp_eq_u64_e64 s10, v[4:5], v[62:63]
	v_mov_b64_e32 v[4:5], v[2:3]
	s_and_saveexec_b32 s42, s10
; %bb.3602:                             ;   in Loop: Header=BB6_130 Depth=2
	v_bfe_u32 v4, v2, 21, 1
	v_mov_b32_e32 v5, v1
	s_delay_alu instid0(VALU_DEP_1) | instskip(NEXT) | instid1(VALU_DEP_1)
	v_add_nc_u64_e32 v[4:5], v[2:3], v[4:5]
	v_add_nc_u64_e32 v[4:5], -1, v[4:5]
; %bb.3603:                             ;   in Loop: Header=BB6_130 Depth=2
	s_or_b32 exec_lo, exec_lo, s42
	v_add_nc_u32_e32 v3, 0xffffff81, v81
	v_lshrrev_b32_e32 v5, 23, v2
	s_mov_b32 s10, exec_lo
	s_delay_alu instid0(VALU_DEP_2) | instskip(NEXT) | instid1(VALU_DEP_1)
	v_cndmask_b32_e64 v3, v3, 0xffffff82, vcc_lo
	v_add3_u32 v81, v97, v3, v5
	v_and_b32_e32 v3, 0x1fffff, v4
                                        ; implicit-def: $vgpr4
	s_delay_alu instid0(VALU_DEP_1) | instskip(SKIP_1) | instid1(VALU_DEP_2)
	v_dual_add_nc_u32 v5, 14, v81 :: v_dual_add_nc_u32 v2, v3, v2
	v_mov_b32_e32 v3, v1
	v_cmpx_ne_u32_e32 0, v5
	s_xor_b32 s10, exec_lo, s10
; %bb.3604:                             ;   in Loop: Header=BB6_130 Depth=2
	s_delay_alu instid0(VALU_DEP_2) | instskip(SKIP_1) | instid1(VALU_DEP_1)
	v_cmp_lt_u64_e32 vcc_lo, 0xffffff, v[2:3]
	v_add_nc_u32_e32 v4, 15, v81
	v_cndmask_b32_e32 v4, v5, v4, vcc_lo
	v_cndmask_b32_e64 v5, 0, 1, vcc_lo
	s_delay_alu instid0(VALU_DEP_1)
	v_lshrrev_b64 v[2:3], v5, v[2:3]
; %bb.3605:                             ;   in Loop: Header=BB6_130 Depth=2
	s_and_not1_saveexec_b32 s10, s10
; %bb.3606:                             ;   in Loop: Header=BB6_130 Depth=2
	s_delay_alu instid0(VALU_DEP_1)
	v_bfe_u32 v4, v2, 23, 1
; %bb.3607:                             ;   in Loop: Header=BB6_130 Depth=2
	s_or_b32 exec_lo, exec_lo, s10
	s_delay_alu instid0(VALU_DEP_2) | instskip(NEXT) | instid1(VALU_DEP_2)
	v_lshrrev_b64 v[2:3], 21, v[2:3]
	v_cmp_gt_i32_e32 vcc_lo, 32, v4
	v_min_i32_e32 v5, 31, v4
	v_cmp_eq_u32_e64 s10, 0, v4
	s_delay_alu instid0(VALU_DEP_2) | instskip(SKIP_1) | instid1(VALU_DEP_2)
	v_dual_cndmask_b32 v3, 0, v3, vcc_lo :: v_dual_lshlrev_b32 v5, 2, v5
	v_cndmask_b32_e32 v2, 3, v2, vcc_lo
	v_and_b32_e32 v5, 0xfc, v5
	s_delay_alu instid0(VALU_DEP_2) | instskip(NEXT) | instid1(VALU_DEP_2)
	v_cmp_eq_u64_e32 vcc_lo, 0, v[2:3]
	v_and_or_b32 v2, v2, 3, v5
	s_and_b32 s10, s10, vcc_lo
	s_delay_alu instid0(VALU_DEP_1) | instid1(SALU_CYCLE_1)
	v_cndmask_b32_e64 v2, v2, 0, s10
	s_delay_alu instid0(VALU_DEP_1)
	v_or_b32_e32 v81, v2, v83
.LBB6_3608:                             ;   in Loop: Header=BB6_130 Depth=2
	s_or_b32 exec_lo, exec_lo, s41
                                        ; implicit-def: $vgpr83
.LBB6_3609:                             ;   in Loop: Header=BB6_130 Depth=2
	s_and_not1_saveexec_b32 s10, s40
; %bb.3610:                             ;   in Loop: Header=BB6_130 Depth=2
	v_or_b32_e32 v81, 0x7b, v83
; %bb.3611:                             ;   in Loop: Header=BB6_130 Depth=2
	s_or_b32 exec_lo, exec_lo, s10
                                        ; implicit-def: $vgpr4
                                        ; implicit-def: $vgpr2_vgpr3
                                        ; implicit-def: $vgpr5
.LBB6_3612:                             ;   in Loop: Header=BB6_130 Depth=2
	s_and_not1_saveexec_b32 s10, s29
	s_cbranch_execz .LBB6_3618
; %bb.3613:                             ;   in Loop: Header=BB6_130 Depth=2
	s_mov_b32 s29, exec_lo
                                        ; implicit-def: $vgpr81
	v_cmpx_ne_u64_e32 0, v[2:3]
	s_xor_b32 s29, exec_lo, s29
; %bb.3614:                             ;   in Loop: Header=BB6_130 Depth=2
	v_or_b32_e32 v81, 0x7f, v5
                                        ; implicit-def: $vgpr4
; %bb.3615:                             ;   in Loop: Header=BB6_130 Depth=2
	s_and_not1_saveexec_b32 s29, s29
; %bb.3616:                             ;   in Loop: Header=BB6_130 Depth=2
	v_cmp_lt_i32_e32 vcc_lo, -1, v4
	v_mov_b32_e32 v2, 0x7c
	s_delay_alu instid0(VALU_DEP_1)
	v_cndmask_b32_e32 v81, 0xfc, v2, vcc_lo
; %bb.3617:                             ;   in Loop: Header=BB6_130 Depth=2
	s_or_b32 exec_lo, exec_lo, s29
.LBB6_3618:                             ;   in Loop: Header=BB6_130 Depth=2
	s_delay_alu instid0(SALU_CYCLE_1)
	s_or_b32 exec_lo, exec_lo, s10
	v_dual_mov_b32 v3, 0 :: v_dual_mov_b32 v4, 0
	s_mov_b32 s29, exec_lo
	v_cmpx_lt_u32_e32 0xffffff, v0
	s_cbranch_execz .LBB6_3628
; %bb.3619:                             ;   in Loop: Header=BB6_130 Depth=2
	v_lshrrev_b32_e32 v2, 24, v0
	v_bfrev_b32_e32 v4, 1
	s_mov_b32 s40, exec_lo
	s_delay_alu instid0(VALU_DEP_2)
	v_cmpx_ne_u32_e32 0x80, v2
	s_cbranch_execz .LBB6_3627
; %bb.3620:                             ;   in Loop: Header=BB6_130 Depth=2
	v_and_b32_e32 v4, 0x7c000000, v0
	v_bfe_u32 v5, v0, 24, 2
	s_delay_alu instid0(VALU_DEP_2) | instskip(SKIP_1) | instid1(SALU_CYCLE_1)
	v_cmp_ne_u32_e32 vcc_lo, 0x7c000000, v4
                                        ; implicit-def: $vgpr4
	s_and_saveexec_b32 s10, vcc_lo
	s_xor_b32 s10, exec_lo, s10
	s_cbranch_execz .LBB6_3624
; %bb.3621:                             ;   in Loop: Header=BB6_130 Depth=2
	v_bfe_u32 v4, v0, 26, 5
	s_mov_b32 s41, exec_lo
	s_delay_alu instid0(VALU_DEP_1)
	v_cmpx_eq_u32_e32 0, v4
; %bb.3622:                             ;   in Loop: Header=BB6_130 Depth=2
	v_clz_i32_u32_e32 v4, v5
	s_delay_alu instid0(VALU_DEP_1) | instskip(NEXT) | instid1(VALU_DEP_1)
	v_min_u32_e32 v4, 32, v4
	v_subrev_nc_u32_e32 v5, 29, v4
	s_delay_alu instid0(VALU_DEP_1) | instskip(NEXT) | instid1(VALU_DEP_1)
	v_lshlrev_b64_e32 v[62:63], v5, v[2:3]
	v_dual_sub_nc_u32 v4, 30, v4 :: v_dual_bitop2_b32 v5, 3, v62 bitop3:0x40
; %bb.3623:                             ;   in Loop: Header=BB6_130 Depth=2
	s_or_b32 exec_lo, exec_lo, s41
	v_and_b32_e32 v0, 0x80000000, v0
	s_delay_alu instid0(VALU_DEP_1) | instskip(NEXT) | instid1(VALU_DEP_1)
	v_lshl_add_u32 v0, v4, 23, v0
	v_lshl_or_b32 v0, v5, 21, v0
                                        ; implicit-def: $vgpr5
	s_delay_alu instid0(VALU_DEP_1)
	v_add_nc_u32_e32 v4, 0x38000000, v0
.LBB6_3624:                             ;   in Loop: Header=BB6_130 Depth=2
	s_and_not1_saveexec_b32 s41, s10
; %bb.3625:                             ;   in Loop: Header=BB6_130 Depth=2
	v_cmp_lt_i32_e64 s10, -1, v0
	v_mov_b32_e32 v0, 0x7f800000
	v_cmp_eq_u32_e32 vcc_lo, 0, v5
	s_delay_alu instid0(VALU_DEP_2) | instskip(NEXT) | instid1(VALU_DEP_1)
	v_cndmask_b32_e64 v0, 0xff800000, v0, s10
	v_cndmask_b32_e32 v4, 0x7f800001, v0, vcc_lo
; %bb.3626:                             ;   in Loop: Header=BB6_130 Depth=2
	s_or_b32 exec_lo, exec_lo, s41
.LBB6_3627:                             ;   in Loop: Header=BB6_130 Depth=2
	s_delay_alu instid0(SALU_CYCLE_1)
	s_or_b32 exec_lo, exec_lo, s40
.LBB6_3628:                             ;   in Loop: Header=BB6_130 Depth=2
	s_delay_alu instid0(SALU_CYCLE_1) | instskip(NEXT) | instid1(SALU_CYCLE_1)
	s_or_b32 exec_lo, exec_lo, s29
	s_mov_b32 s29, exec_lo
	v_cmpx_lt_u64_e64 s[12:13], v[14:15]
	s_cbranch_execz .LBB6_3638
; %bb.3629:                             ;   in Loop: Header=BB6_130 Depth=2
	v_lshrrev_b32_e32 v0, 24, v15
	v_bfrev_b32_e32 v3, 1
	s_mov_b32 s40, exec_lo
	s_delay_alu instid0(VALU_DEP_2)
	v_cmpx_ne_u32_e32 0x80, v0
	s_cbranch_execz .LBB6_3637
; %bb.3630:                             ;   in Loop: Header=BB6_130 Depth=2
	v_and_b32_e32 v3, 0x7c000000, v15
	v_bfe_u32 v2, v15, 24, 2
	s_delay_alu instid0(VALU_DEP_2) | instskip(SKIP_1) | instid1(SALU_CYCLE_1)
	v_cmp_ne_u32_e32 vcc_lo, 0x7c000000, v3
                                        ; implicit-def: $vgpr3
	s_and_saveexec_b32 s10, vcc_lo
	s_xor_b32 s10, exec_lo, s10
	s_cbranch_execz .LBB6_3634
; %bb.3631:                             ;   in Loop: Header=BB6_130 Depth=2
	v_bfe_u32 v3, v15, 26, 5
	s_mov_b32 s41, exec_lo
	s_delay_alu instid0(VALU_DEP_1)
	v_cmpx_eq_u32_e32 0, v3
; %bb.3632:                             ;   in Loop: Header=BB6_130 Depth=2
	v_clz_i32_u32_e32 v2, v2
	s_delay_alu instid0(VALU_DEP_1) | instskip(NEXT) | instid1(VALU_DEP_1)
	v_min_u32_e32 v5, 32, v2
	v_subrev_nc_u32_e32 v2, 29, v5
	s_delay_alu instid0(VALU_DEP_1) | instskip(NEXT) | instid1(VALU_DEP_1)
	v_lshlrev_b64_e32 v[2:3], v2, v[0:1]
	v_dual_sub_nc_u32 v3, 30, v5 :: v_dual_bitop2_b32 v2, 3, v2 bitop3:0x40
; %bb.3633:                             ;   in Loop: Header=BB6_130 Depth=2
	s_or_b32 exec_lo, exec_lo, s41
	v_and_b32_e32 v0, 0x80000000, v15
	s_delay_alu instid0(VALU_DEP_1) | instskip(NEXT) | instid1(VALU_DEP_1)
	v_lshl_add_u32 v0, v3, 23, v0
	v_lshl_or_b32 v0, v2, 21, v0
                                        ; implicit-def: $vgpr2
	s_delay_alu instid0(VALU_DEP_1)
	v_add_nc_u32_e32 v3, 0x38000000, v0
.LBB6_3634:                             ;   in Loop: Header=BB6_130 Depth=2
	s_and_not1_saveexec_b32 s41, s10
; %bb.3635:                             ;   in Loop: Header=BB6_130 Depth=2
	v_cmp_lt_i64_e64 s10, -1, v[14:15]
	v_mov_b32_e32 v0, 0x7f800000
	v_cmp_eq_u32_e32 vcc_lo, 0, v2
	s_delay_alu instid0(VALU_DEP_2) | instskip(NEXT) | instid1(VALU_DEP_1)
	v_cndmask_b32_e64 v0, 0xff800000, v0, s10
	v_cndmask_b32_e32 v3, 0x7f800001, v0, vcc_lo
; %bb.3636:                             ;   in Loop: Header=BB6_130 Depth=2
	s_or_b32 exec_lo, exec_lo, s41
.LBB6_3637:                             ;   in Loop: Header=BB6_130 Depth=2
	s_delay_alu instid0(SALU_CYCLE_1)
	s_or_b32 exec_lo, exec_lo, s40
.LBB6_3638:                             ;   in Loop: Header=BB6_130 Depth=2
	s_delay_alu instid0(SALU_CYCLE_1) | instskip(NEXT) | instid1(VALU_DEP_1)
	s_or_b32 exec_lo, exec_lo, s29
	v_dual_add_f32 v2, v4, v3 :: v_dual_mov_b32 v5, v1
                                        ; implicit-def: $vgpr14
	s_mov_b32 s10, exec_lo
	s_delay_alu instid0(VALU_DEP_1) | instskip(SKIP_2) | instid1(VALU_DEP_3)
	v_and_b32_e32 v4, 0x7f800000, v2
	v_and_b32_e32 v0, 0x7fffff, v2
	v_lshrrev_b32_e32 v3, 24, v2
	v_cmpx_ne_u64_e32 0x7f800000, v[4:5]
	s_xor_b32 s29, exec_lo, s10
	s_cbranch_execz .LBB6_3652
; %bb.3639:                             ;   in Loop: Header=BB6_130 Depth=2
	v_and_b32_e32 v4, 0x7fffffff, v2
	v_mov_b32_e32 v5, v1
	v_and_b32_e32 v15, 0x80, v3
                                        ; implicit-def: $vgpr14
	s_mov_b32 s10, exec_lo
	s_delay_alu instid0(VALU_DEP_2)
	v_cmpx_gt_u64_e32 0x47600001, v[4:5]
	s_xor_b32 s40, exec_lo, s10
	s_cbranch_execz .LBB6_3649
; %bb.3640:                             ;   in Loop: Header=BB6_130 Depth=2
	v_mov_b32_e32 v14, 0
	s_mov_b32 s41, exec_lo
	v_cmpx_ne_u32_e32 0, v2
	s_cbranch_execz .LBB6_3648
; %bb.3641:                             ;   in Loop: Header=BB6_130 Depth=2
	v_bfe_u32 v14, v2, 23, 8
	v_or_b32_e32 v3, 0x800000, v0
	s_delay_alu instid0(VALU_DEP_2) | instskip(SKIP_2) | instid1(VALU_DEP_2)
	v_cmp_gt_u32_e64 s10, 0x72, v14
	v_sub_nc_u32_e32 v2, 0x71, v14
	v_cmp_eq_u32_e32 vcc_lo, 0, v14
	v_cndmask_b32_e64 v2, 0, v2, s10
	s_delay_alu instid0(VALU_DEP_1) | instskip(SKIP_1) | instid1(VALU_DEP_2)
	v_cndmask_b32_e64 v83, v2, 0x70, vcc_lo
	v_dual_cndmask_b32 v2, v3, v0 :: v_dual_mov_b32 v3, v1
	v_add_nc_u32_e32 v0, 21, v83
	s_delay_alu instid0(VALU_DEP_1) | instskip(SKIP_1) | instid1(VALU_DEP_1)
	v_lshlrev_b64_e64 v[4:5], v0, -1
	v_add_nc_u32_e32 v0, 20, v83
	v_lshlrev_b64_e64 v[62:63], v0, 1
	s_delay_alu instid0(VALU_DEP_3) | instskip(SKIP_2) | instid1(VALU_DEP_1)
	v_bfi_b32 v4, v4, 0, v2
	v_lshrrev_b64 v[2:3], v83, v[2:3]
	v_bfi_b32 v5, v5, 0, 0
	v_cmp_eq_u64_e64 s10, v[4:5], v[62:63]
	s_delay_alu instid0(VALU_DEP_3)
	v_mov_b64_e32 v[4:5], v[2:3]
	s_and_saveexec_b32 s42, s10
; %bb.3642:                             ;   in Loop: Header=BB6_130 Depth=2
	v_bfe_u32 v4, v2, 21, 1
	v_mov_b32_e32 v5, v1
	s_delay_alu instid0(VALU_DEP_1) | instskip(NEXT) | instid1(VALU_DEP_1)
	v_add_nc_u64_e32 v[4:5], v[2:3], v[4:5]
	v_add_nc_u64_e32 v[4:5], -1, v[4:5]
; %bb.3643:                             ;   in Loop: Header=BB6_130 Depth=2
	s_or_b32 exec_lo, exec_lo, s42
	v_add_nc_u32_e32 v0, 0xffffff81, v14
	s_delay_alu instid0(VALU_DEP_2) | instskip(SKIP_2) | instid1(VALU_DEP_3)
	v_and_b32_e32 v4, 0x1fffff, v4
	v_lshrrev_b32_e32 v3, 23, v2
	s_mov_b32 s10, exec_lo
	v_cndmask_b32_e64 v0, v0, 0xffffff82, vcc_lo
	s_delay_alu instid0(VALU_DEP_1) | instskip(SKIP_1) | instid1(VALU_DEP_2)
	v_add3_u32 v14, v83, v0, v3
	v_add_nc_u32_e32 v0, v4, v2
                                        ; implicit-def: $vgpr2_vgpr3
                                        ; implicit-def: $vgpr4
	v_add_nc_u32_e32 v5, 14, v14
	s_delay_alu instid0(VALU_DEP_1)
	v_cmpx_ne_u32_e32 0, v5
	s_xor_b32 s10, exec_lo, s10
; %bb.3644:                             ;   in Loop: Header=BB6_130 Depth=2
	s_delay_alu instid0(VALU_DEP_3) | instskip(SKIP_1) | instid1(VALU_DEP_1)
	v_cmp_lt_u64_e32 vcc_lo, 0xffffff, v[0:1]
	v_add_nc_u32_e32 v2, 15, v14
	v_cndmask_b32_e32 v4, v5, v2, vcc_lo
	v_cndmask_b32_e64 v2, 0, 1, vcc_lo
	s_delay_alu instid0(VALU_DEP_1)
	v_lshrrev_b64 v[2:3], v2, v[0:1]
; %bb.3645:                             ;   in Loop: Header=BB6_130 Depth=2
	s_and_not1_saveexec_b32 s10, s10
; %bb.3646:                             ;   in Loop: Header=BB6_130 Depth=2
	v_mov_b64_e32 v[2:3], v[0:1]
	v_bfe_u32 v4, v0, 23, 1
; %bb.3647:                             ;   in Loop: Header=BB6_130 Depth=2
	s_or_b32 exec_lo, exec_lo, s10
	s_delay_alu instid0(VALU_DEP_2) | instskip(NEXT) | instid1(VALU_DEP_2)
	v_lshrrev_b64 v[2:3], 21, v[2:3]
	v_cmp_gt_i32_e32 vcc_lo, 32, v4
	v_min_i32_e32 v0, 31, v4
	v_cmp_eq_u32_e64 s10, 0, v4
	s_delay_alu instid0(VALU_DEP_2) | instskip(SKIP_1) | instid1(VALU_DEP_2)
	v_dual_cndmask_b32 v3, 0, v3 :: v_dual_lshlrev_b32 v0, 2, v0
	v_cndmask_b32_e32 v2, 3, v2, vcc_lo
	v_and_b32_e32 v0, 0xfc, v0
	s_delay_alu instid0(VALU_DEP_2) | instskip(NEXT) | instid1(VALU_DEP_2)
	v_cmp_eq_u64_e32 vcc_lo, 0, v[2:3]
	v_and_or_b32 v0, v2, 3, v0
	s_and_b32 s10, s10, vcc_lo
	s_delay_alu instid0(VALU_DEP_1) | instid1(SALU_CYCLE_1)
	v_cndmask_b32_e64 v0, v0, 0, s10
	s_delay_alu instid0(VALU_DEP_1)
	v_or_b32_e32 v14, v0, v15
.LBB6_3648:                             ;   in Loop: Header=BB6_130 Depth=2
	s_or_b32 exec_lo, exec_lo, s41
                                        ; implicit-def: $vgpr15
.LBB6_3649:                             ;   in Loop: Header=BB6_130 Depth=2
	s_and_not1_saveexec_b32 s10, s40
; %bb.3650:                             ;   in Loop: Header=BB6_130 Depth=2
	v_or_b32_e32 v14, 0x7b, v15
; %bb.3651:                             ;   in Loop: Header=BB6_130 Depth=2
	s_or_b32 exec_lo, exec_lo, s10
                                        ; implicit-def: $vgpr2
                                        ; implicit-def: $vgpr3
.LBB6_3652:                             ;   in Loop: Header=BB6_130 Depth=2
	s_and_not1_saveexec_b32 s10, s29
	s_cbranch_execz .LBB6_3658
; %bb.3653:                             ;   in Loop: Header=BB6_130 Depth=2
	s_mov_b32 s29, exec_lo
                                        ; implicit-def: $vgpr14
	v_cmpx_ne_u64_e32 0, v[0:1]
	s_xor_b32 s29, exec_lo, s29
; %bb.3654:                             ;   in Loop: Header=BB6_130 Depth=2
	v_or_b32_e32 v14, 0x7f, v3
                                        ; implicit-def: $vgpr2
; %bb.3655:                             ;   in Loop: Header=BB6_130 Depth=2
	s_and_not1_saveexec_b32 s29, s29
; %bb.3656:                             ;   in Loop: Header=BB6_130 Depth=2
	v_cmp_lt_i32_e32 vcc_lo, -1, v2
	v_mov_b32_e32 v0, 0x7c
	s_delay_alu instid0(VALU_DEP_1)
	v_cndmask_b32_e32 v14, 0xfc, v0, vcc_lo
; %bb.3657:                             ;   in Loop: Header=BB6_130 Depth=2
	s_or_b32 exec_lo, exec_lo, s29
.LBB6_3658:                             ;   in Loop: Header=BB6_130 Depth=2
	s_delay_alu instid0(SALU_CYCLE_1) | instskip(SKIP_4) | instid1(VALU_DEP_2)
	s_or_b32 exec_lo, exec_lo, s10
	v_lshl_or_b32 v66, v66, 8, v55
	v_dual_lshlrev_b32 v0, 16, v69 :: v_dual_lshlrev_b32 v2, 24, v71
	s_mov_b32 s29, exec_lo
	v_mov_b32_e32 v3, 0
	v_or3_b32 v0, v0, v2, v66
	v_mov_b32_e32 v2, 0
	v_cmpx_ne_u32_e32 0, v55
	s_cbranch_execz .LBB6_3668
; %bb.3659:                             ;   in Loop: Header=BB6_130 Depth=2
	v_bfrev_b32_e32 v3, 1
	s_mov_b32 s40, exec_lo
	v_cmpx_ne_u32_e32 0x80, v55
	s_cbranch_execz .LBB6_3667
; %bb.3660:                             ;   in Loop: Header=BB6_130 Depth=2
	v_and_b32_e32 v3, 0x7c, v55
	v_and_b32_e32 v4, 3, v55
	s_delay_alu instid0(VALU_DEP_2) | instskip(SKIP_1) | instid1(SALU_CYCLE_1)
	v_cmp_ne_u32_e32 vcc_lo, 0x7c, v3
                                        ; implicit-def: $vgpr3
	s_and_saveexec_b32 s10, vcc_lo
	s_xor_b32 s10, exec_lo, s10
	s_cbranch_execz .LBB6_3664
; %bb.3661:                             ;   in Loop: Header=BB6_130 Depth=2
	v_bfe_u32 v3, v55, 2, 5
	s_mov_b32 s41, exec_lo
	s_delay_alu instid0(VALU_DEP_1)
	v_cmpx_eq_u32_e32 0, v3
; %bb.3662:                             ;   in Loop: Header=BB6_130 Depth=2
	v_clz_i32_u32_e32 v3, v4
	s_delay_alu instid0(VALU_DEP_1) | instskip(NEXT) | instid1(VALU_DEP_1)
	v_min_u32_e32 v3, 32, v3
	v_subrev_nc_u32_e32 v4, 29, v3
	s_delay_alu instid0(VALU_DEP_1) | instskip(NEXT) | instid1(VALU_DEP_1)
	v_lshlrev_b64_e32 v[4:5], v4, v[0:1]
	v_dual_sub_nc_u32 v3, 30, v3 :: v_dual_bitop2_b32 v4, 3, v4 bitop3:0x40
; %bb.3663:                             ;   in Loop: Header=BB6_130 Depth=2
	s_or_b32 exec_lo, exec_lo, s41
	v_lshlrev_b32_e32 v5, 24, v55
                                        ; implicit-def: $vgpr55
	s_delay_alu instid0(VALU_DEP_1) | instskip(NEXT) | instid1(VALU_DEP_1)
	v_and_b32_e32 v5, 0x80000000, v5
	v_lshl_add_u32 v3, v3, 23, v5
	s_delay_alu instid0(VALU_DEP_1) | instskip(NEXT) | instid1(VALU_DEP_1)
	v_lshl_or_b32 v3, v4, 21, v3
                                        ; implicit-def: $vgpr4
	v_add_nc_u32_e32 v3, 0x38000000, v3
.LBB6_3664:                             ;   in Loop: Header=BB6_130 Depth=2
	s_and_not1_saveexec_b32 s41, s10
; %bb.3665:                             ;   in Loop: Header=BB6_130 Depth=2
	v_and_b32_e32 v3, 0x80, v55
	v_cmp_eq_u32_e32 vcc_lo, 0, v4
	s_delay_alu instid0(VALU_DEP_2) | instskip(SKIP_1) | instid1(VALU_DEP_1)
	v_cmp_eq_u32_e64 s10, 0, v3
	v_mov_b32_e32 v3, 0x7f800000
	v_cndmask_b32_e64 v3, 0xff800000, v3, s10
	s_delay_alu instid0(VALU_DEP_1)
	v_cndmask_b32_e32 v3, 0x7f800001, v3, vcc_lo
; %bb.3666:                             ;   in Loop: Header=BB6_130 Depth=2
	s_or_b32 exec_lo, exec_lo, s41
.LBB6_3667:                             ;   in Loop: Header=BB6_130 Depth=2
	s_delay_alu instid0(SALU_CYCLE_1)
	s_or_b32 exec_lo, exec_lo, s40
.LBB6_3668:                             ;   in Loop: Header=BB6_130 Depth=2
	s_delay_alu instid0(SALU_CYCLE_1) | instskip(SKIP_2) | instid1(VALU_DEP_1)
	s_or_b32 exec_lo, exec_lo, s29
	v_and_b32_e32 v4, 0xff, v16
	s_mov_b32 s29, exec_lo
	v_cmpx_ne_u16_e32 0, v4
	s_cbranch_execz .LBB6_3678
; %bb.3669:                             ;   in Loop: Header=BB6_130 Depth=2
	v_bfe_i32 v5, v16, 0, 8
	v_bfrev_b32_e32 v2, 1
	s_mov_b32 s40, exec_lo
	s_delay_alu instid0(VALU_DEP_2)
	v_cmpx_ne_u16_e32 0xff80, v5
	s_cbranch_execz .LBB6_3677
; %bb.3670:                             ;   in Loop: Header=BB6_130 Depth=2
	v_and_b32_e32 v2, 0x7c, v16
	v_and_b32_e32 v4, 3, v16
	s_delay_alu instid0(VALU_DEP_2) | instskip(SKIP_1) | instid1(SALU_CYCLE_1)
	v_cmp_ne_u32_e32 vcc_lo, 0x7c, v2
                                        ; implicit-def: $vgpr2
	s_and_saveexec_b32 s10, vcc_lo
	s_xor_b32 s10, exec_lo, s10
	s_cbranch_execz .LBB6_3674
; %bb.3671:                             ;   in Loop: Header=BB6_130 Depth=2
	v_bfe_u32 v2, v16, 2, 5
	s_mov_b32 s41, exec_lo
	s_delay_alu instid0(VALU_DEP_1)
	v_cmpx_eq_u32_e32 0, v2
; %bb.3672:                             ;   in Loop: Header=BB6_130 Depth=2
	v_clz_i32_u32_e32 v2, v4
	s_delay_alu instid0(VALU_DEP_1) | instskip(NEXT) | instid1(VALU_DEP_1)
	v_min_u32_e32 v2, 32, v2
	v_subrev_nc_u32_e32 v4, 29, v2
	s_delay_alu instid0(VALU_DEP_1) | instskip(NEXT) | instid1(VALU_DEP_1)
	v_lshlrev_b64_e32 v[4:5], v4, v[16:17]
	v_dual_sub_nc_u32 v2, 30, v2 :: v_dual_bitop2_b32 v4, 3, v4 bitop3:0x40
; %bb.3673:                             ;   in Loop: Header=BB6_130 Depth=2
	s_or_b32 exec_lo, exec_lo, s41
	v_lshlrev_b32_e32 v5, 24, v16
	s_delay_alu instid0(VALU_DEP_1) | instskip(NEXT) | instid1(VALU_DEP_1)
	v_and_b32_e32 v5, 0x80000000, v5
	v_lshl_add_u32 v2, v2, 23, v5
                                        ; implicit-def: $vgpr5
	s_delay_alu instid0(VALU_DEP_1) | instskip(NEXT) | instid1(VALU_DEP_1)
	v_lshl_or_b32 v2, v4, 21, v2
                                        ; implicit-def: $vgpr4
	v_add_nc_u32_e32 v2, 0x38000000, v2
.LBB6_3674:                             ;   in Loop: Header=BB6_130 Depth=2
	s_and_not1_saveexec_b32 s41, s10
; %bb.3675:                             ;   in Loop: Header=BB6_130 Depth=2
	v_cmp_lt_i16_e64 s10, -1, v5
	v_mov_b32_e32 v2, 0x7f800000
	v_cmp_eq_u32_e32 vcc_lo, 0, v4
	s_delay_alu instid0(VALU_DEP_2) | instskip(NEXT) | instid1(VALU_DEP_1)
	v_cndmask_b32_e64 v2, 0xff800000, v2, s10
	v_cndmask_b32_e32 v2, 0x7f800001, v2, vcc_lo
; %bb.3676:                             ;   in Loop: Header=BB6_130 Depth=2
	s_or_b32 exec_lo, exec_lo, s41
.LBB6_3677:                             ;   in Loop: Header=BB6_130 Depth=2
	s_delay_alu instid0(SALU_CYCLE_1)
	s_or_b32 exec_lo, exec_lo, s40
.LBB6_3678:                             ;   in Loop: Header=BB6_130 Depth=2
	s_delay_alu instid0(SALU_CYCLE_1) | instskip(NEXT) | instid1(VALU_DEP_1)
	s_or_b32 exec_lo, exec_lo, s29
	v_dual_add_f32 v4, v3, v2 :: v_dual_mov_b32 v63, v1
	v_mov_b32_e32 v3, v1
                                        ; implicit-def: $vgpr15
	s_mov_b32 s10, exec_lo
	s_delay_alu instid0(VALU_DEP_2) | instskip(SKIP_2) | instid1(VALU_DEP_3)
	v_and_b32_e32 v62, 0x7f800000, v4
	v_and_b32_e32 v2, 0x7fffff, v4
	v_lshrrev_b32_e32 v5, 24, v4
	v_cmpx_ne_u64_e32 0x7f800000, v[62:63]
	s_xor_b32 s29, exec_lo, s10
	s_cbranch_execz .LBB6_3692
; %bb.3679:                             ;   in Loop: Header=BB6_130 Depth=2
	v_and_b32_e32 v62, 0x7fffffff, v4
	v_mov_b32_e32 v63, v1
	v_and_b32_e32 v55, 0x80, v5
                                        ; implicit-def: $vgpr15
	s_mov_b32 s10, exec_lo
	s_delay_alu instid0(VALU_DEP_2)
	v_cmpx_gt_u64_e32 0x47600001, v[62:63]
	s_xor_b32 s40, exec_lo, s10
	s_cbranch_execz .LBB6_3689
; %bb.3680:                             ;   in Loop: Header=BB6_130 Depth=2
	v_mov_b32_e32 v15, 0
	s_mov_b32 s41, exec_lo
	v_cmpx_ne_u32_e32 0, v4
	s_cbranch_execz .LBB6_3688
; %bb.3681:                             ;   in Loop: Header=BB6_130 Depth=2
	v_bfe_u32 v15, v4, 23, 8
	v_or_b32_e32 v5, 0x800000, v2
	s_delay_alu instid0(VALU_DEP_2) | instskip(SKIP_2) | instid1(VALU_DEP_2)
	v_cmp_gt_u32_e64 s10, 0x72, v15
	v_sub_nc_u32_e32 v4, 0x71, v15
	v_cmp_eq_u32_e32 vcc_lo, 0, v15
	v_dual_cndmask_b32 v4, 0, v4, s10 :: v_dual_cndmask_b32 v2, v5, v2, vcc_lo
	s_delay_alu instid0(VALU_DEP_1) | instskip(NEXT) | instid1(VALU_DEP_1)
	v_cndmask_b32_e64 v69, v4, 0x70, vcc_lo
	v_dual_add_nc_u32 v4, 21, v69 :: v_dual_add_nc_u32 v71, 20, v69
	s_delay_alu instid0(VALU_DEP_1) | instskip(NEXT) | instid1(VALU_DEP_2)
	v_lshlrev_b64_e64 v[4:5], v4, -1
	v_lshlrev_b64_e64 v[62:63], v71, 1
	s_delay_alu instid0(VALU_DEP_2) | instskip(SKIP_1) | instid1(VALU_DEP_4)
	v_bfi_b32 v4, v4, 0, v2
	v_lshrrev_b64 v[2:3], v69, v[2:3]
	v_bfi_b32 v5, v5, 0, 0
	s_delay_alu instid0(VALU_DEP_1) | instskip(NEXT) | instid1(VALU_DEP_3)
	v_cmp_eq_u64_e64 s10, v[4:5], v[62:63]
	v_mov_b64_e32 v[4:5], v[2:3]
	s_and_saveexec_b32 s42, s10
; %bb.3682:                             ;   in Loop: Header=BB6_130 Depth=2
	v_bfe_u32 v4, v2, 21, 1
	v_mov_b32_e32 v5, v1
	s_delay_alu instid0(VALU_DEP_1) | instskip(NEXT) | instid1(VALU_DEP_1)
	v_add_nc_u64_e32 v[4:5], v[2:3], v[4:5]
	v_add_nc_u64_e32 v[4:5], -1, v[4:5]
; %bb.3683:                             ;   in Loop: Header=BB6_130 Depth=2
	s_or_b32 exec_lo, exec_lo, s42
	v_add_nc_u32_e32 v3, 0xffffff81, v15
	v_lshrrev_b32_e32 v5, 23, v2
	s_mov_b32 s10, exec_lo
	s_delay_alu instid0(VALU_DEP_2) | instskip(NEXT) | instid1(VALU_DEP_1)
	v_cndmask_b32_e64 v3, v3, 0xffffff82, vcc_lo
	v_add3_u32 v15, v69, v3, v5
	v_and_b32_e32 v3, 0x1fffff, v4
                                        ; implicit-def: $vgpr4
	s_delay_alu instid0(VALU_DEP_1) | instskip(SKIP_1) | instid1(VALU_DEP_2)
	v_dual_add_nc_u32 v5, 14, v15 :: v_dual_add_nc_u32 v2, v3, v2
	v_mov_b32_e32 v3, v1
	v_cmpx_ne_u32_e32 0, v5
	s_xor_b32 s10, exec_lo, s10
; %bb.3684:                             ;   in Loop: Header=BB6_130 Depth=2
	s_delay_alu instid0(VALU_DEP_2) | instskip(SKIP_1) | instid1(VALU_DEP_1)
	v_cmp_lt_u64_e32 vcc_lo, 0xffffff, v[2:3]
	v_add_nc_u32_e32 v4, 15, v15
	v_cndmask_b32_e32 v4, v5, v4, vcc_lo
	v_cndmask_b32_e64 v5, 0, 1, vcc_lo
	s_delay_alu instid0(VALU_DEP_1)
	v_lshrrev_b64 v[2:3], v5, v[2:3]
; %bb.3685:                             ;   in Loop: Header=BB6_130 Depth=2
	s_and_not1_saveexec_b32 s10, s10
; %bb.3686:                             ;   in Loop: Header=BB6_130 Depth=2
	s_delay_alu instid0(VALU_DEP_1)
	v_bfe_u32 v4, v2, 23, 1
; %bb.3687:                             ;   in Loop: Header=BB6_130 Depth=2
	s_or_b32 exec_lo, exec_lo, s10
	s_delay_alu instid0(VALU_DEP_2) | instskip(NEXT) | instid1(VALU_DEP_2)
	v_lshrrev_b64 v[2:3], 21, v[2:3]
	v_cmp_gt_i32_e32 vcc_lo, 32, v4
	v_min_i32_e32 v5, 31, v4
	v_cmp_eq_u32_e64 s10, 0, v4
	s_delay_alu instid0(VALU_DEP_2) | instskip(SKIP_1) | instid1(VALU_DEP_2)
	v_dual_cndmask_b32 v3, 0, v3, vcc_lo :: v_dual_lshlrev_b32 v5, 2, v5
	v_cndmask_b32_e32 v2, 3, v2, vcc_lo
	v_and_b32_e32 v5, 0xfc, v5
	s_delay_alu instid0(VALU_DEP_2) | instskip(NEXT) | instid1(VALU_DEP_2)
	v_cmp_eq_u64_e32 vcc_lo, 0, v[2:3]
	v_and_or_b32 v2, v2, 3, v5
	s_and_b32 s10, s10, vcc_lo
	s_delay_alu instid0(VALU_DEP_1) | instid1(SALU_CYCLE_1)
	v_cndmask_b32_e64 v2, v2, 0, s10
	s_delay_alu instid0(VALU_DEP_1)
	v_or_b32_e32 v15, v2, v55
.LBB6_3688:                             ;   in Loop: Header=BB6_130 Depth=2
	s_or_b32 exec_lo, exec_lo, s41
                                        ; implicit-def: $vgpr55
.LBB6_3689:                             ;   in Loop: Header=BB6_130 Depth=2
	s_and_not1_saveexec_b32 s10, s40
; %bb.3690:                             ;   in Loop: Header=BB6_130 Depth=2
	v_or_b32_e32 v15, 0x7b, v55
; %bb.3691:                             ;   in Loop: Header=BB6_130 Depth=2
	s_or_b32 exec_lo, exec_lo, s10
                                        ; implicit-def: $vgpr4
                                        ; implicit-def: $vgpr2_vgpr3
                                        ; implicit-def: $vgpr5
.LBB6_3692:                             ;   in Loop: Header=BB6_130 Depth=2
	s_and_not1_saveexec_b32 s10, s29
	s_cbranch_execz .LBB6_3698
; %bb.3693:                             ;   in Loop: Header=BB6_130 Depth=2
	s_mov_b32 s29, exec_lo
                                        ; implicit-def: $vgpr15
	v_cmpx_ne_u64_e32 0, v[2:3]
	s_xor_b32 s29, exec_lo, s29
; %bb.3694:                             ;   in Loop: Header=BB6_130 Depth=2
	v_or_b32_e32 v15, 0x7f, v5
                                        ; implicit-def: $vgpr4
; %bb.3695:                             ;   in Loop: Header=BB6_130 Depth=2
	s_and_not1_saveexec_b32 s29, s29
; %bb.3696:                             ;   in Loop: Header=BB6_130 Depth=2
	v_cmp_lt_i32_e32 vcc_lo, -1, v4
	v_mov_b32_e32 v2, 0x7c
	s_delay_alu instid0(VALU_DEP_1)
	v_cndmask_b32_e32 v15, 0xfc, v2, vcc_lo
; %bb.3697:                             ;   in Loop: Header=BB6_130 Depth=2
	s_or_b32 exec_lo, exec_lo, s29
.LBB6_3698:                             ;   in Loop: Header=BB6_130 Depth=2
	s_delay_alu instid0(SALU_CYCLE_1) | instskip(SKIP_3) | instid1(VALU_DEP_2)
	s_or_b32 exec_lo, exec_lo, s10
	v_lshrrev_b16 v2, 8, v66
	v_dual_mov_b32 v4, 0 :: v_dual_mov_b32 v5, 0
	s_mov_b32 s29, exec_lo
	v_cmpx_ne_u16_e32 0, v2
	s_cbranch_execz .LBB6_3708
; %bb.3699:                             ;   in Loop: Header=BB6_130 Depth=2
	v_bfrev_b32_e32 v5, 1
	s_mov_b32 s40, exec_lo
	v_cmpx_ne_u16_e32 0x80, v2
	s_cbranch_execz .LBB6_3707
; %bb.3700:                             ;   in Loop: Header=BB6_130 Depth=2
	v_and_b32_e32 v55, 0xffff, v2
	s_delay_alu instid0(VALU_DEP_1) | instskip(SKIP_1) | instid1(VALU_DEP_2)
	v_and_b32_e32 v5, 0x7c, v55
	v_and_b32_e32 v3, 3, v55
	v_cmp_ne_u32_e32 vcc_lo, 0x7c, v5
                                        ; implicit-def: $vgpr5
	s_and_saveexec_b32 s10, vcc_lo
	s_delay_alu instid0(SALU_CYCLE_1)
	s_xor_b32 s10, exec_lo, s10
	s_cbranch_execz .LBB6_3704
; %bb.3701:                             ;   in Loop: Header=BB6_130 Depth=2
	v_bfe_u32 v5, v55, 2, 5
	s_mov_b32 s41, exec_lo
	s_delay_alu instid0(VALU_DEP_1)
	v_cmpx_eq_u32_e32 0, v5
	s_cbranch_execz .LBB6_3703
; %bb.3702:                             ;   in Loop: Header=BB6_130 Depth=2
	v_clz_i32_u32_e32 v3, v3
	s_delay_alu instid0(VALU_DEP_1) | instskip(SKIP_1) | instid1(VALU_DEP_2)
	v_min_u32_e32 v5, 32, v3
	v_mov_b32_e32 v3, v1
	v_subrev_nc_u32_e32 v55, 29, v5
	v_sub_nc_u32_e32 v5, 30, v5
	s_delay_alu instid0(VALU_DEP_2) | instskip(NEXT) | instid1(VALU_DEP_1)
	v_lshlrev_b64_e32 v[2:3], v55, v[2:3]
	v_and_b32_e32 v3, 3, v2
.LBB6_3703:                             ;   in Loop: Header=BB6_130 Depth=2
	s_or_b32 exec_lo, exec_lo, s41
	v_lshlrev_b32_e32 v2, 16, v66
                                        ; implicit-def: $vgpr66
	s_delay_alu instid0(VALU_DEP_1) | instskip(NEXT) | instid1(VALU_DEP_1)
	v_and_b32_e32 v2, 0x80000000, v2
	v_lshl_add_u32 v2, v5, 23, v2
	s_delay_alu instid0(VALU_DEP_1) | instskip(NEXT) | instid1(VALU_DEP_1)
	v_lshl_or_b32 v2, v3, 21, v2
                                        ; implicit-def: $vgpr3
	v_add_nc_u32_e32 v5, 0x38000000, v2
.LBB6_3704:                             ;   in Loop: Header=BB6_130 Depth=2
	s_and_not1_saveexec_b32 s41, s10
; %bb.3705:                             ;   in Loop: Header=BB6_130 Depth=2
	v_cmp_lt_i16_e64 s10, -1, v66
	v_mov_b32_e32 v2, 0x7f800000
	v_cmp_eq_u32_e32 vcc_lo, 0, v3
	s_delay_alu instid0(VALU_DEP_2) | instskip(NEXT) | instid1(VALU_DEP_1)
	v_cndmask_b32_e64 v2, 0xff800000, v2, s10
	v_cndmask_b32_e32 v5, 0x7f800001, v2, vcc_lo
; %bb.3706:                             ;   in Loop: Header=BB6_130 Depth=2
	s_or_b32 exec_lo, exec_lo, s41
.LBB6_3707:                             ;   in Loop: Header=BB6_130 Depth=2
	s_delay_alu instid0(SALU_CYCLE_1)
	s_or_b32 exec_lo, exec_lo, s40
.LBB6_3708:                             ;   in Loop: Header=BB6_130 Depth=2
	s_delay_alu instid0(SALU_CYCLE_1) | instskip(SKIP_2) | instid1(VALU_DEP_1)
	s_or_b32 exec_lo, exec_lo, s29
	v_lshrrev_b16 v2, 8, v16
	s_mov_b32 s29, exec_lo
	v_cmpx_ne_u16_e32 0, v2
	s_cbranch_execz .LBB6_3718
; %bb.3709:                             ;   in Loop: Header=BB6_130 Depth=2
	v_bfrev_b32_e32 v4, 1
	s_mov_b32 s40, exec_lo
	v_cmpx_ne_u16_e32 0x80, v2
	s_cbranch_execz .LBB6_3717
; %bb.3710:                             ;   in Loop: Header=BB6_130 Depth=2
	v_and_b32_e32 v55, 0xffff, v2
	s_delay_alu instid0(VALU_DEP_1) | instskip(SKIP_1) | instid1(VALU_DEP_2)
	v_and_b32_e32 v4, 0x7c, v55
	v_and_b32_e32 v3, 3, v55
	v_cmp_ne_u32_e32 vcc_lo, 0x7c, v4
                                        ; implicit-def: $vgpr4
	s_and_saveexec_b32 s10, vcc_lo
	s_delay_alu instid0(SALU_CYCLE_1)
	s_xor_b32 s10, exec_lo, s10
	s_cbranch_execz .LBB6_3714
; %bb.3711:                             ;   in Loop: Header=BB6_130 Depth=2
	v_bfe_u32 v4, v55, 2, 5
	s_mov_b32 s41, exec_lo
	s_delay_alu instid0(VALU_DEP_1)
	v_cmpx_eq_u32_e32 0, v4
	s_cbranch_execz .LBB6_3713
; %bb.3712:                             ;   in Loop: Header=BB6_130 Depth=2
	v_clz_i32_u32_e32 v3, v3
	s_delay_alu instid0(VALU_DEP_1) | instskip(SKIP_1) | instid1(VALU_DEP_2)
	v_min_u32_e32 v4, 32, v3
	v_mov_b32_e32 v3, v1
	v_subrev_nc_u32_e32 v55, 29, v4
	v_sub_nc_u32_e32 v4, 30, v4
	s_delay_alu instid0(VALU_DEP_2) | instskip(NEXT) | instid1(VALU_DEP_1)
	v_lshlrev_b64_e32 v[2:3], v55, v[2:3]
	v_and_b32_e32 v3, 3, v2
.LBB6_3713:                             ;   in Loop: Header=BB6_130 Depth=2
	s_or_b32 exec_lo, exec_lo, s41
	v_lshlrev_b32_e32 v2, 16, v16
	s_delay_alu instid0(VALU_DEP_1) | instskip(NEXT) | instid1(VALU_DEP_1)
	v_and_b32_e32 v2, 0x80000000, v2
	v_lshl_add_u32 v2, v4, 23, v2
	s_delay_alu instid0(VALU_DEP_1) | instskip(NEXT) | instid1(VALU_DEP_1)
	v_lshl_or_b32 v2, v3, 21, v2
                                        ; implicit-def: $vgpr3
	v_add_nc_u32_e32 v4, 0x38000000, v2
.LBB6_3714:                             ;   in Loop: Header=BB6_130 Depth=2
	s_and_not1_saveexec_b32 s41, s10
; %bb.3715:                             ;   in Loop: Header=BB6_130 Depth=2
	v_cmp_lt_i16_e64 s10, -1, v16
	v_mov_b32_e32 v2, 0x7f800000
	v_cmp_eq_u32_e32 vcc_lo, 0, v3
	s_delay_alu instid0(VALU_DEP_2) | instskip(NEXT) | instid1(VALU_DEP_1)
	v_cndmask_b32_e64 v2, 0xff800000, v2, s10
	v_cndmask_b32_e32 v4, 0x7f800001, v2, vcc_lo
; %bb.3716:                             ;   in Loop: Header=BB6_130 Depth=2
	s_or_b32 exec_lo, exec_lo, s41
.LBB6_3717:                             ;   in Loop: Header=BB6_130 Depth=2
	s_delay_alu instid0(SALU_CYCLE_1)
	s_or_b32 exec_lo, exec_lo, s40
.LBB6_3718:                             ;   in Loop: Header=BB6_130 Depth=2
	s_delay_alu instid0(SALU_CYCLE_1) | instskip(NEXT) | instid1(VALU_DEP_1)
	s_or_b32 exec_lo, exec_lo, s29
	v_add_f32_e32 v4, v5, v4
	v_dual_mov_b32 v63, v1 :: v_dual_mov_b32 v3, v1
                                        ; implicit-def: $vgpr55
	s_mov_b32 s10, exec_lo
	s_delay_alu instid0(VALU_DEP_2) | instskip(SKIP_2) | instid1(VALU_DEP_3)
	v_and_b32_e32 v62, 0x7f800000, v4
	v_and_b32_e32 v2, 0x7fffff, v4
	v_lshrrev_b32_e32 v5, 24, v4
	v_cmpx_ne_u64_e32 0x7f800000, v[62:63]
	s_xor_b32 s29, exec_lo, s10
	s_cbranch_execz .LBB6_3732
; %bb.3719:                             ;   in Loop: Header=BB6_130 Depth=2
	v_and_b32_e32 v62, 0x7fffffff, v4
	v_mov_b32_e32 v63, v1
	v_and_b32_e32 v66, 0x80, v5
                                        ; implicit-def: $vgpr55
	s_mov_b32 s10, exec_lo
	s_delay_alu instid0(VALU_DEP_2)
	v_cmpx_gt_u64_e32 0x47600001, v[62:63]
	s_xor_b32 s40, exec_lo, s10
	s_cbranch_execz .LBB6_3729
; %bb.3720:                             ;   in Loop: Header=BB6_130 Depth=2
	v_mov_b32_e32 v55, 0
	s_mov_b32 s41, exec_lo
	v_cmpx_ne_u32_e32 0, v4
	s_cbranch_execz .LBB6_3728
; %bb.3721:                             ;   in Loop: Header=BB6_130 Depth=2
	v_bfe_u32 v55, v4, 23, 8
	v_or_b32_e32 v5, 0x800000, v2
	s_delay_alu instid0(VALU_DEP_2) | instskip(SKIP_2) | instid1(VALU_DEP_2)
	v_cmp_gt_u32_e64 s10, 0x72, v55
	v_sub_nc_u32_e32 v4, 0x71, v55
	v_cmp_eq_u32_e32 vcc_lo, 0, v55
	v_dual_cndmask_b32 v4, 0, v4, s10 :: v_dual_cndmask_b32 v2, v5, v2, vcc_lo
	s_delay_alu instid0(VALU_DEP_1) | instskip(NEXT) | instid1(VALU_DEP_1)
	v_cndmask_b32_e64 v69, v4, 0x70, vcc_lo
	v_dual_add_nc_u32 v4, 21, v69 :: v_dual_add_nc_u32 v71, 20, v69
	s_delay_alu instid0(VALU_DEP_1) | instskip(NEXT) | instid1(VALU_DEP_2)
	v_lshlrev_b64_e64 v[4:5], v4, -1
	v_lshlrev_b64_e64 v[62:63], v71, 1
	s_delay_alu instid0(VALU_DEP_2) | instskip(SKIP_1) | instid1(VALU_DEP_4)
	v_bfi_b32 v4, v4, 0, v2
	v_lshrrev_b64 v[2:3], v69, v[2:3]
	v_bfi_b32 v5, v5, 0, 0
	s_delay_alu instid0(VALU_DEP_1) | instskip(NEXT) | instid1(VALU_DEP_3)
	v_cmp_eq_u64_e64 s10, v[4:5], v[62:63]
	v_mov_b64_e32 v[4:5], v[2:3]
	s_and_saveexec_b32 s42, s10
; %bb.3722:                             ;   in Loop: Header=BB6_130 Depth=2
	v_bfe_u32 v4, v2, 21, 1
	v_mov_b32_e32 v5, v1
	s_delay_alu instid0(VALU_DEP_1) | instskip(NEXT) | instid1(VALU_DEP_1)
	v_add_nc_u64_e32 v[4:5], v[2:3], v[4:5]
	v_add_nc_u64_e32 v[4:5], -1, v[4:5]
; %bb.3723:                             ;   in Loop: Header=BB6_130 Depth=2
	s_or_b32 exec_lo, exec_lo, s42
	v_add_nc_u32_e32 v3, 0xffffff81, v55
	v_lshrrev_b32_e32 v5, 23, v2
	s_mov_b32 s10, exec_lo
	s_delay_alu instid0(VALU_DEP_2) | instskip(NEXT) | instid1(VALU_DEP_1)
	v_cndmask_b32_e64 v3, v3, 0xffffff82, vcc_lo
	v_add3_u32 v55, v69, v3, v5
	v_and_b32_e32 v3, 0x1fffff, v4
                                        ; implicit-def: $vgpr4
	s_delay_alu instid0(VALU_DEP_1) | instskip(SKIP_1) | instid1(VALU_DEP_2)
	v_dual_add_nc_u32 v5, 14, v55 :: v_dual_add_nc_u32 v2, v3, v2
	v_mov_b32_e32 v3, v1
	v_cmpx_ne_u32_e32 0, v5
	s_xor_b32 s10, exec_lo, s10
; %bb.3724:                             ;   in Loop: Header=BB6_130 Depth=2
	s_delay_alu instid0(VALU_DEP_2) | instskip(SKIP_1) | instid1(VALU_DEP_1)
	v_cmp_lt_u64_e32 vcc_lo, 0xffffff, v[2:3]
	v_add_nc_u32_e32 v4, 15, v55
	v_cndmask_b32_e32 v4, v5, v4, vcc_lo
	v_cndmask_b32_e64 v5, 0, 1, vcc_lo
	s_delay_alu instid0(VALU_DEP_1)
	v_lshrrev_b64 v[2:3], v5, v[2:3]
; %bb.3725:                             ;   in Loop: Header=BB6_130 Depth=2
	s_and_not1_saveexec_b32 s10, s10
; %bb.3726:                             ;   in Loop: Header=BB6_130 Depth=2
	s_delay_alu instid0(VALU_DEP_1)
	v_bfe_u32 v4, v2, 23, 1
; %bb.3727:                             ;   in Loop: Header=BB6_130 Depth=2
	s_or_b32 exec_lo, exec_lo, s10
	s_delay_alu instid0(VALU_DEP_2) | instskip(NEXT) | instid1(VALU_DEP_2)
	v_lshrrev_b64 v[2:3], 21, v[2:3]
	v_cmp_gt_i32_e32 vcc_lo, 32, v4
	v_min_i32_e32 v5, 31, v4
	v_cmp_eq_u32_e64 s10, 0, v4
	s_delay_alu instid0(VALU_DEP_2) | instskip(SKIP_1) | instid1(VALU_DEP_2)
	v_dual_cndmask_b32 v3, 0, v3, vcc_lo :: v_dual_lshlrev_b32 v5, 2, v5
	v_cndmask_b32_e32 v2, 3, v2, vcc_lo
	v_and_b32_e32 v5, 0xfc, v5
	s_delay_alu instid0(VALU_DEP_2) | instskip(NEXT) | instid1(VALU_DEP_2)
	v_cmp_eq_u64_e32 vcc_lo, 0, v[2:3]
	v_and_or_b32 v2, v2, 3, v5
	s_and_b32 s10, s10, vcc_lo
	s_delay_alu instid0(VALU_DEP_1) | instid1(SALU_CYCLE_1)
	v_cndmask_b32_e64 v2, v2, 0, s10
	s_delay_alu instid0(VALU_DEP_1)
	v_or_b32_e32 v55, v2, v66
.LBB6_3728:                             ;   in Loop: Header=BB6_130 Depth=2
	s_or_b32 exec_lo, exec_lo, s41
                                        ; implicit-def: $vgpr66
.LBB6_3729:                             ;   in Loop: Header=BB6_130 Depth=2
	s_and_not1_saveexec_b32 s10, s40
; %bb.3730:                             ;   in Loop: Header=BB6_130 Depth=2
	v_or_b32_e32 v55, 0x7b, v66
; %bb.3731:                             ;   in Loop: Header=BB6_130 Depth=2
	s_or_b32 exec_lo, exec_lo, s10
                                        ; implicit-def: $vgpr4
                                        ; implicit-def: $vgpr2_vgpr3
                                        ; implicit-def: $vgpr5
.LBB6_3732:                             ;   in Loop: Header=BB6_130 Depth=2
	s_and_not1_saveexec_b32 s10, s29
	s_cbranch_execz .LBB6_3738
; %bb.3733:                             ;   in Loop: Header=BB6_130 Depth=2
	s_mov_b32 s29, exec_lo
                                        ; implicit-def: $vgpr55
	v_cmpx_ne_u64_e32 0, v[2:3]
	s_xor_b32 s29, exec_lo, s29
; %bb.3734:                             ;   in Loop: Header=BB6_130 Depth=2
	v_or_b32_e32 v55, 0x7f, v5
                                        ; implicit-def: $vgpr4
; %bb.3735:                             ;   in Loop: Header=BB6_130 Depth=2
	s_and_not1_saveexec_b32 s29, s29
; %bb.3736:                             ;   in Loop: Header=BB6_130 Depth=2
	v_cmp_lt_i32_e32 vcc_lo, -1, v4
	v_mov_b32_e32 v2, 0x7c
	s_delay_alu instid0(VALU_DEP_1)
	v_cndmask_b32_e32 v55, 0xfc, v2, vcc_lo
; %bb.3737:                             ;   in Loop: Header=BB6_130 Depth=2
	s_or_b32 exec_lo, exec_lo, s29
.LBB6_3738:                             ;   in Loop: Header=BB6_130 Depth=2
	s_delay_alu instid0(SALU_CYCLE_1) | instskip(SKIP_3) | instid1(VALU_DEP_2)
	s_or_b32 exec_lo, exec_lo, s10
	v_dual_mov_b32 v3, 0 :: v_dual_lshrrev_b32 v2, 16, v0
	v_mov_b32_e32 v4, 0
	s_mov_b32 s29, exec_lo
	v_and_b32_e32 v5, 0xff, v2
	s_delay_alu instid0(VALU_DEP_1)
	v_cmpx_ne_u16_e32 0, v5
	s_cbranch_execz .LBB6_3748
; %bb.3739:                             ;   in Loop: Header=BB6_130 Depth=2
	v_bfrev_b32_e32 v4, 1
	s_mov_b32 s40, exec_lo
	v_cmpx_ne_u16_e32 0x80, v5
	s_cbranch_execz .LBB6_3747
; %bb.3740:                             ;   in Loop: Header=BB6_130 Depth=2
	v_and_b32_e32 v4, 0x7c0000, v0
	v_bfe_u32 v5, v0, 16, 2
	s_delay_alu instid0(VALU_DEP_2) | instskip(SKIP_1) | instid1(SALU_CYCLE_1)
	v_cmp_ne_u32_e32 vcc_lo, 0x7c0000, v4
                                        ; implicit-def: $vgpr4
	s_and_saveexec_b32 s10, vcc_lo
	s_xor_b32 s10, exec_lo, s10
	s_cbranch_execz .LBB6_3744
; %bb.3741:                             ;   in Loop: Header=BB6_130 Depth=2
	v_bfe_u32 v4, v0, 18, 5
	s_mov_b32 s41, exec_lo
	s_delay_alu instid0(VALU_DEP_1)
	v_cmpx_eq_u32_e32 0, v4
; %bb.3742:                             ;   in Loop: Header=BB6_130 Depth=2
	v_clz_i32_u32_e32 v4, v5
	s_delay_alu instid0(VALU_DEP_1) | instskip(NEXT) | instid1(VALU_DEP_1)
	v_min_u32_e32 v4, 32, v4
	v_subrev_nc_u32_e32 v5, 29, v4
	s_delay_alu instid0(VALU_DEP_1) | instskip(NEXT) | instid1(VALU_DEP_1)
	v_lshlrev_b64_e32 v[62:63], v5, v[2:3]
	v_dual_sub_nc_u32 v4, 30, v4 :: v_dual_bitop2_b32 v5, 3, v62 bitop3:0x40
; %bb.3743:                             ;   in Loop: Header=BB6_130 Depth=2
	s_or_b32 exec_lo, exec_lo, s41
	v_lshlrev_b32_e32 v2, 24, v2
	s_delay_alu instid0(VALU_DEP_1) | instskip(NEXT) | instid1(VALU_DEP_1)
	v_and_b32_e32 v2, 0x80000000, v2
	v_lshl_add_u32 v2, v4, 23, v2
	s_delay_alu instid0(VALU_DEP_1) | instskip(NEXT) | instid1(VALU_DEP_1)
	v_lshl_or_b32 v2, v5, 21, v2
                                        ; implicit-def: $vgpr5
	v_add_nc_u32_e32 v4, 0x38000000, v2
                                        ; implicit-def: $vgpr2
.LBB6_3744:                             ;   in Loop: Header=BB6_130 Depth=2
	s_and_not1_saveexec_b32 s41, s10
; %bb.3745:                             ;   in Loop: Header=BB6_130 Depth=2
	v_bfe_i32 v2, v2, 0, 8
	v_cmp_eq_u32_e32 vcc_lo, 0, v5
	s_delay_alu instid0(VALU_DEP_2) | instskip(SKIP_1) | instid1(VALU_DEP_1)
	v_cmp_lt_i16_e64 s10, -1, v2
	v_mov_b32_e32 v2, 0x7f800000
	v_cndmask_b32_e64 v2, 0xff800000, v2, s10
	s_delay_alu instid0(VALU_DEP_1)
	v_cndmask_b32_e32 v4, 0x7f800001, v2, vcc_lo
; %bb.3746:                             ;   in Loop: Header=BB6_130 Depth=2
	s_or_b32 exec_lo, exec_lo, s41
.LBB6_3747:                             ;   in Loop: Header=BB6_130 Depth=2
	s_delay_alu instid0(SALU_CYCLE_1)
	s_or_b32 exec_lo, exec_lo, s40
.LBB6_3748:                             ;   in Loop: Header=BB6_130 Depth=2
	s_delay_alu instid0(SALU_CYCLE_1) | instskip(SKIP_2) | instid1(VALU_DEP_1)
	s_or_b32 exec_lo, exec_lo, s29
	v_lshrrev_b32_e32 v2, 16, v16
	s_mov_b32 s29, exec_lo
	v_and_b32_e32 v5, 0xff, v2
	s_delay_alu instid0(VALU_DEP_1)
	v_cmpx_ne_u16_e32 0, v5
	s_cbranch_execz .LBB6_3758
; %bb.3749:                             ;   in Loop: Header=BB6_130 Depth=2
	v_bfrev_b32_e32 v3, 1
	s_mov_b32 s40, exec_lo
	v_cmpx_ne_u16_e32 0x80, v5
	s_cbranch_execz .LBB6_3757
; %bb.3750:                             ;   in Loop: Header=BB6_130 Depth=2
	v_and_b32_e32 v3, 0x7c0000, v16
	v_bfe_u32 v5, v16, 16, 2
	s_delay_alu instid0(VALU_DEP_2) | instskip(SKIP_1) | instid1(SALU_CYCLE_1)
	v_cmp_ne_u32_e32 vcc_lo, 0x7c0000, v3
                                        ; implicit-def: $vgpr3
	s_and_saveexec_b32 s10, vcc_lo
	s_xor_b32 s10, exec_lo, s10
	s_cbranch_execz .LBB6_3754
; %bb.3751:                             ;   in Loop: Header=BB6_130 Depth=2
	v_bfe_u32 v3, v16, 18, 5
	s_mov_b32 s41, exec_lo
	s_delay_alu instid0(VALU_DEP_1)
	v_cmpx_eq_u32_e32 0, v3
; %bb.3752:                             ;   in Loop: Header=BB6_130 Depth=2
	v_clz_i32_u32_e32 v3, v5
	s_delay_alu instid0(VALU_DEP_1) | instskip(NEXT) | instid1(VALU_DEP_1)
	v_min_u32_e32 v3, 32, v3
	v_subrev_nc_u32_e32 v5, 29, v3
	s_delay_alu instid0(VALU_DEP_1) | instskip(NEXT) | instid1(VALU_DEP_1)
	v_lshlrev_b64_e32 v[62:63], v5, v[2:3]
	v_dual_sub_nc_u32 v3, 30, v3 :: v_dual_bitop2_b32 v5, 3, v62 bitop3:0x40
; %bb.3753:                             ;   in Loop: Header=BB6_130 Depth=2
	s_or_b32 exec_lo, exec_lo, s41
	v_lshlrev_b32_e32 v2, 24, v2
	s_delay_alu instid0(VALU_DEP_1) | instskip(NEXT) | instid1(VALU_DEP_1)
	v_and_b32_e32 v2, 0x80000000, v2
	v_lshl_add_u32 v2, v3, 23, v2
	s_delay_alu instid0(VALU_DEP_1) | instskip(NEXT) | instid1(VALU_DEP_1)
	v_lshl_or_b32 v2, v5, 21, v2
                                        ; implicit-def: $vgpr5
	v_add_nc_u32_e32 v3, 0x38000000, v2
                                        ; implicit-def: $vgpr2
.LBB6_3754:                             ;   in Loop: Header=BB6_130 Depth=2
	s_and_not1_saveexec_b32 s41, s10
; %bb.3755:                             ;   in Loop: Header=BB6_130 Depth=2
	v_bfe_i32 v2, v2, 0, 8
	v_cmp_eq_u32_e32 vcc_lo, 0, v5
	s_delay_alu instid0(VALU_DEP_2) | instskip(SKIP_1) | instid1(VALU_DEP_1)
	v_cmp_lt_i16_e64 s10, -1, v2
	v_mov_b32_e32 v2, 0x7f800000
	v_cndmask_b32_e64 v2, 0xff800000, v2, s10
	s_delay_alu instid0(VALU_DEP_1)
	v_cndmask_b32_e32 v3, 0x7f800001, v2, vcc_lo
; %bb.3756:                             ;   in Loop: Header=BB6_130 Depth=2
	s_or_b32 exec_lo, exec_lo, s41
.LBB6_3757:                             ;   in Loop: Header=BB6_130 Depth=2
	s_delay_alu instid0(SALU_CYCLE_1)
	s_or_b32 exec_lo, exec_lo, s40
.LBB6_3758:                             ;   in Loop: Header=BB6_130 Depth=2
	s_delay_alu instid0(SALU_CYCLE_1) | instskip(NEXT) | instid1(VALU_DEP_1)
	s_or_b32 exec_lo, exec_lo, s29
	v_dual_add_f32 v4, v4, v3 :: v_dual_mov_b32 v63, v1
	v_mov_b32_e32 v3, v1
                                        ; implicit-def: $vgpr66
	s_mov_b32 s10, exec_lo
	s_delay_alu instid0(VALU_DEP_2) | instskip(SKIP_2) | instid1(VALU_DEP_3)
	v_and_b32_e32 v62, 0x7f800000, v4
	v_and_b32_e32 v2, 0x7fffff, v4
	v_lshrrev_b32_e32 v5, 24, v4
	v_cmpx_ne_u64_e32 0x7f800000, v[62:63]
	s_xor_b32 s29, exec_lo, s10
	s_cbranch_execz .LBB6_3772
; %bb.3759:                             ;   in Loop: Header=BB6_130 Depth=2
	v_and_b32_e32 v62, 0x7fffffff, v4
	v_mov_b32_e32 v63, v1
	v_and_b32_e32 v69, 0x80, v5
                                        ; implicit-def: $vgpr66
	s_mov_b32 s10, exec_lo
	s_delay_alu instid0(VALU_DEP_2)
	v_cmpx_gt_u64_e32 0x47600001, v[62:63]
	s_xor_b32 s40, exec_lo, s10
	s_cbranch_execz .LBB6_3769
; %bb.3760:                             ;   in Loop: Header=BB6_130 Depth=2
	v_mov_b32_e32 v66, 0
	s_mov_b32 s41, exec_lo
	v_cmpx_ne_u32_e32 0, v4
	s_cbranch_execz .LBB6_3768
; %bb.3761:                             ;   in Loop: Header=BB6_130 Depth=2
	v_bfe_u32 v66, v4, 23, 8
	v_or_b32_e32 v5, 0x800000, v2
	s_delay_alu instid0(VALU_DEP_2) | instskip(SKIP_2) | instid1(VALU_DEP_2)
	v_cmp_gt_u32_e64 s10, 0x72, v66
	v_sub_nc_u32_e32 v4, 0x71, v66
	v_cmp_eq_u32_e32 vcc_lo, 0, v66
	v_dual_cndmask_b32 v4, 0, v4, s10 :: v_dual_cndmask_b32 v2, v5, v2, vcc_lo
	s_delay_alu instid0(VALU_DEP_1) | instskip(NEXT) | instid1(VALU_DEP_1)
	v_cndmask_b32_e64 v71, v4, 0x70, vcc_lo
	v_dual_add_nc_u32 v4, 21, v71 :: v_dual_add_nc_u32 v83, 20, v71
	s_delay_alu instid0(VALU_DEP_1) | instskip(NEXT) | instid1(VALU_DEP_2)
	v_lshlrev_b64_e64 v[4:5], v4, -1
	v_lshlrev_b64_e64 v[62:63], v83, 1
	s_delay_alu instid0(VALU_DEP_2) | instskip(SKIP_1) | instid1(VALU_DEP_4)
	v_bfi_b32 v4, v4, 0, v2
	v_lshrrev_b64 v[2:3], v71, v[2:3]
	v_bfi_b32 v5, v5, 0, 0
	s_delay_alu instid0(VALU_DEP_1) | instskip(NEXT) | instid1(VALU_DEP_3)
	v_cmp_eq_u64_e64 s10, v[4:5], v[62:63]
	v_mov_b64_e32 v[4:5], v[2:3]
	s_and_saveexec_b32 s42, s10
; %bb.3762:                             ;   in Loop: Header=BB6_130 Depth=2
	v_bfe_u32 v4, v2, 21, 1
	v_mov_b32_e32 v5, v1
	s_delay_alu instid0(VALU_DEP_1) | instskip(NEXT) | instid1(VALU_DEP_1)
	v_add_nc_u64_e32 v[4:5], v[2:3], v[4:5]
	v_add_nc_u64_e32 v[4:5], -1, v[4:5]
; %bb.3763:                             ;   in Loop: Header=BB6_130 Depth=2
	s_or_b32 exec_lo, exec_lo, s42
	v_add_nc_u32_e32 v3, 0xffffff81, v66
	v_lshrrev_b32_e32 v5, 23, v2
	s_mov_b32 s10, exec_lo
	s_delay_alu instid0(VALU_DEP_2) | instskip(NEXT) | instid1(VALU_DEP_1)
	v_cndmask_b32_e64 v3, v3, 0xffffff82, vcc_lo
	v_add3_u32 v66, v71, v3, v5
	v_and_b32_e32 v3, 0x1fffff, v4
                                        ; implicit-def: $vgpr4
	s_delay_alu instid0(VALU_DEP_2) | instskip(NEXT) | instid1(VALU_DEP_2)
	v_add_nc_u32_e32 v5, 14, v66
	v_dual_mov_b32 v3, v1 :: v_dual_add_nc_u32 v2, v3, v2
	s_delay_alu instid0(VALU_DEP_2)
	v_cmpx_ne_u32_e32 0, v5
	s_xor_b32 s10, exec_lo, s10
; %bb.3764:                             ;   in Loop: Header=BB6_130 Depth=2
	s_delay_alu instid0(VALU_DEP_2) | instskip(SKIP_1) | instid1(VALU_DEP_1)
	v_cmp_lt_u64_e32 vcc_lo, 0xffffff, v[2:3]
	v_add_nc_u32_e32 v4, 15, v66
	v_cndmask_b32_e32 v4, v5, v4, vcc_lo
	v_cndmask_b32_e64 v5, 0, 1, vcc_lo
	s_delay_alu instid0(VALU_DEP_1)
	v_lshrrev_b64 v[2:3], v5, v[2:3]
; %bb.3765:                             ;   in Loop: Header=BB6_130 Depth=2
	s_and_not1_saveexec_b32 s10, s10
; %bb.3766:                             ;   in Loop: Header=BB6_130 Depth=2
	s_delay_alu instid0(VALU_DEP_1)
	v_bfe_u32 v4, v2, 23, 1
; %bb.3767:                             ;   in Loop: Header=BB6_130 Depth=2
	s_or_b32 exec_lo, exec_lo, s10
	s_delay_alu instid0(VALU_DEP_2) | instskip(NEXT) | instid1(VALU_DEP_2)
	v_lshrrev_b64 v[2:3], 21, v[2:3]
	v_cmp_gt_i32_e32 vcc_lo, 32, v4
	v_min_i32_e32 v5, 31, v4
	v_cmp_eq_u32_e64 s10, 0, v4
	s_delay_alu instid0(VALU_DEP_2) | instskip(SKIP_1) | instid1(VALU_DEP_2)
	v_dual_cndmask_b32 v3, 0, v3, vcc_lo :: v_dual_lshlrev_b32 v5, 2, v5
	v_cndmask_b32_e32 v2, 3, v2, vcc_lo
	v_and_b32_e32 v5, 0xfc, v5
	s_delay_alu instid0(VALU_DEP_2) | instskip(NEXT) | instid1(VALU_DEP_2)
	v_cmp_eq_u64_e32 vcc_lo, 0, v[2:3]
	v_and_or_b32 v2, v2, 3, v5
	s_and_b32 s10, s10, vcc_lo
	s_delay_alu instid0(VALU_DEP_1) | instid1(SALU_CYCLE_1)
	v_cndmask_b32_e64 v2, v2, 0, s10
	s_delay_alu instid0(VALU_DEP_1)
	v_or_b32_e32 v66, v2, v69
.LBB6_3768:                             ;   in Loop: Header=BB6_130 Depth=2
	s_or_b32 exec_lo, exec_lo, s41
                                        ; implicit-def: $vgpr69
.LBB6_3769:                             ;   in Loop: Header=BB6_130 Depth=2
	s_and_not1_saveexec_b32 s10, s40
; %bb.3770:                             ;   in Loop: Header=BB6_130 Depth=2
	v_or_b32_e32 v66, 0x7b, v69
; %bb.3771:                             ;   in Loop: Header=BB6_130 Depth=2
	s_or_b32 exec_lo, exec_lo, s10
                                        ; implicit-def: $vgpr4
                                        ; implicit-def: $vgpr2_vgpr3
                                        ; implicit-def: $vgpr5
.LBB6_3772:                             ;   in Loop: Header=BB6_130 Depth=2
	s_and_not1_saveexec_b32 s10, s29
	s_cbranch_execz .LBB6_3778
; %bb.3773:                             ;   in Loop: Header=BB6_130 Depth=2
	s_mov_b32 s29, exec_lo
                                        ; implicit-def: $vgpr66
	v_cmpx_ne_u64_e32 0, v[2:3]
	s_xor_b32 s29, exec_lo, s29
; %bb.3774:                             ;   in Loop: Header=BB6_130 Depth=2
	v_or_b32_e32 v66, 0x7f, v5
                                        ; implicit-def: $vgpr4
; %bb.3775:                             ;   in Loop: Header=BB6_130 Depth=2
	s_and_not1_saveexec_b32 s29, s29
; %bb.3776:                             ;   in Loop: Header=BB6_130 Depth=2
	v_cmp_lt_i32_e32 vcc_lo, -1, v4
	v_mov_b32_e32 v2, 0x7c
	s_delay_alu instid0(VALU_DEP_1)
	v_cndmask_b32_e32 v66, 0xfc, v2, vcc_lo
; %bb.3777:                             ;   in Loop: Header=BB6_130 Depth=2
	s_or_b32 exec_lo, exec_lo, s29
.LBB6_3778:                             ;   in Loop: Header=BB6_130 Depth=2
	s_delay_alu instid0(SALU_CYCLE_1)
	s_or_b32 exec_lo, exec_lo, s10
	v_dual_mov_b32 v3, 0 :: v_dual_mov_b32 v4, 0
	s_mov_b32 s29, exec_lo
	v_cmpx_lt_u32_e32 0xffffff, v0
	s_cbranch_execz .LBB6_3788
; %bb.3779:                             ;   in Loop: Header=BB6_130 Depth=2
	v_lshrrev_b32_e32 v2, 24, v0
	v_bfrev_b32_e32 v4, 1
	s_mov_b32 s40, exec_lo
	s_delay_alu instid0(VALU_DEP_2)
	v_cmpx_ne_u32_e32 0x80, v2
	s_cbranch_execz .LBB6_3787
; %bb.3780:                             ;   in Loop: Header=BB6_130 Depth=2
	v_and_b32_e32 v4, 0x7c000000, v0
	v_bfe_u32 v5, v0, 24, 2
	s_delay_alu instid0(VALU_DEP_2) | instskip(SKIP_1) | instid1(SALU_CYCLE_1)
	v_cmp_ne_u32_e32 vcc_lo, 0x7c000000, v4
                                        ; implicit-def: $vgpr4
	s_and_saveexec_b32 s10, vcc_lo
	s_xor_b32 s10, exec_lo, s10
	s_cbranch_execz .LBB6_3784
; %bb.3781:                             ;   in Loop: Header=BB6_130 Depth=2
	v_bfe_u32 v4, v0, 26, 5
	s_mov_b32 s41, exec_lo
	s_delay_alu instid0(VALU_DEP_1)
	v_cmpx_eq_u32_e32 0, v4
; %bb.3782:                             ;   in Loop: Header=BB6_130 Depth=2
	v_clz_i32_u32_e32 v4, v5
	s_delay_alu instid0(VALU_DEP_1) | instskip(NEXT) | instid1(VALU_DEP_1)
	v_min_u32_e32 v4, 32, v4
	v_subrev_nc_u32_e32 v5, 29, v4
	s_delay_alu instid0(VALU_DEP_1) | instskip(NEXT) | instid1(VALU_DEP_1)
	v_lshlrev_b64_e32 v[62:63], v5, v[2:3]
	v_dual_sub_nc_u32 v4, 30, v4 :: v_dual_bitop2_b32 v5, 3, v62 bitop3:0x40
; %bb.3783:                             ;   in Loop: Header=BB6_130 Depth=2
	s_or_b32 exec_lo, exec_lo, s41
	v_and_b32_e32 v0, 0x80000000, v0
	s_delay_alu instid0(VALU_DEP_1) | instskip(NEXT) | instid1(VALU_DEP_1)
	v_lshl_add_u32 v0, v4, 23, v0
	v_lshl_or_b32 v0, v5, 21, v0
                                        ; implicit-def: $vgpr5
	s_delay_alu instid0(VALU_DEP_1)
	v_add_nc_u32_e32 v4, 0x38000000, v0
.LBB6_3784:                             ;   in Loop: Header=BB6_130 Depth=2
	s_and_not1_saveexec_b32 s41, s10
; %bb.3785:                             ;   in Loop: Header=BB6_130 Depth=2
	v_cmp_lt_i32_e64 s10, -1, v0
	v_mov_b32_e32 v0, 0x7f800000
	v_cmp_eq_u32_e32 vcc_lo, 0, v5
	s_delay_alu instid0(VALU_DEP_2) | instskip(NEXT) | instid1(VALU_DEP_1)
	v_cndmask_b32_e64 v0, 0xff800000, v0, s10
	v_cndmask_b32_e32 v4, 0x7f800001, v0, vcc_lo
; %bb.3786:                             ;   in Loop: Header=BB6_130 Depth=2
	s_or_b32 exec_lo, exec_lo, s41
.LBB6_3787:                             ;   in Loop: Header=BB6_130 Depth=2
	s_delay_alu instid0(SALU_CYCLE_1)
	s_or_b32 exec_lo, exec_lo, s40
.LBB6_3788:                             ;   in Loop: Header=BB6_130 Depth=2
	s_delay_alu instid0(SALU_CYCLE_1) | instskip(NEXT) | instid1(SALU_CYCLE_1)
	s_or_b32 exec_lo, exec_lo, s29
	s_mov_b32 s29, exec_lo
	v_cmpx_lt_u32_e32 0xffffff, v16
	s_cbranch_execz .LBB6_3798
; %bb.3789:                             ;   in Loop: Header=BB6_130 Depth=2
	v_lshrrev_b32_e32 v0, 24, v16
	v_bfrev_b32_e32 v3, 1
	s_mov_b32 s40, exec_lo
	s_delay_alu instid0(VALU_DEP_2)
	v_cmpx_ne_u32_e32 0x80, v0
	s_cbranch_execz .LBB6_3797
; %bb.3790:                             ;   in Loop: Header=BB6_130 Depth=2
	v_and_b32_e32 v3, 0x7c000000, v16
	v_bfe_u32 v2, v16, 24, 2
	s_delay_alu instid0(VALU_DEP_2) | instskip(SKIP_1) | instid1(SALU_CYCLE_1)
	v_cmp_ne_u32_e32 vcc_lo, 0x7c000000, v3
                                        ; implicit-def: $vgpr3
	s_and_saveexec_b32 s10, vcc_lo
	s_xor_b32 s10, exec_lo, s10
	s_cbranch_execz .LBB6_3794
; %bb.3791:                             ;   in Loop: Header=BB6_130 Depth=2
	v_bfe_u32 v3, v16, 26, 5
	s_mov_b32 s41, exec_lo
	s_delay_alu instid0(VALU_DEP_1)
	v_cmpx_eq_u32_e32 0, v3
; %bb.3792:                             ;   in Loop: Header=BB6_130 Depth=2
	v_clz_i32_u32_e32 v2, v2
	s_delay_alu instid0(VALU_DEP_1) | instskip(NEXT) | instid1(VALU_DEP_1)
	v_min_u32_e32 v5, 32, v2
	v_subrev_nc_u32_e32 v2, 29, v5
	s_delay_alu instid0(VALU_DEP_1) | instskip(NEXT) | instid1(VALU_DEP_1)
	v_lshlrev_b64_e32 v[2:3], v2, v[0:1]
	v_dual_sub_nc_u32 v3, 30, v5 :: v_dual_bitop2_b32 v2, 3, v2 bitop3:0x40
; %bb.3793:                             ;   in Loop: Header=BB6_130 Depth=2
	s_or_b32 exec_lo, exec_lo, s41
	v_and_b32_e32 v0, 0x80000000, v16
	s_delay_alu instid0(VALU_DEP_1) | instskip(NEXT) | instid1(VALU_DEP_1)
	v_lshl_add_u32 v0, v3, 23, v0
	v_lshl_or_b32 v0, v2, 21, v0
                                        ; implicit-def: $vgpr2
	s_delay_alu instid0(VALU_DEP_1)
	v_add_nc_u32_e32 v3, 0x38000000, v0
.LBB6_3794:                             ;   in Loop: Header=BB6_130 Depth=2
	s_and_not1_saveexec_b32 s41, s10
; %bb.3795:                             ;   in Loop: Header=BB6_130 Depth=2
	v_cmp_lt_i32_e64 s10, -1, v16
	v_mov_b32_e32 v0, 0x7f800000
	v_cmp_eq_u32_e32 vcc_lo, 0, v2
	s_delay_alu instid0(VALU_DEP_2) | instskip(NEXT) | instid1(VALU_DEP_1)
	v_cndmask_b32_e64 v0, 0xff800000, v0, s10
	v_cndmask_b32_e32 v3, 0x7f800001, v0, vcc_lo
; %bb.3796:                             ;   in Loop: Header=BB6_130 Depth=2
	s_or_b32 exec_lo, exec_lo, s41
.LBB6_3797:                             ;   in Loop: Header=BB6_130 Depth=2
	s_delay_alu instid0(SALU_CYCLE_1)
	s_or_b32 exec_lo, exec_lo, s40
.LBB6_3798:                             ;   in Loop: Header=BB6_130 Depth=2
	s_delay_alu instid0(SALU_CYCLE_1) | instskip(NEXT) | instid1(VALU_DEP_1)
	s_or_b32 exec_lo, exec_lo, s29
	v_dual_add_f32 v2, v4, v3 :: v_dual_mov_b32 v5, v1
                                        ; implicit-def: $vgpr69
	s_mov_b32 s10, exec_lo
	s_delay_alu instid0(VALU_DEP_1) | instskip(SKIP_2) | instid1(VALU_DEP_3)
	v_and_b32_e32 v4, 0x7f800000, v2
	v_and_b32_e32 v0, 0x7fffff, v2
	v_lshrrev_b32_e32 v3, 24, v2
	v_cmpx_ne_u64_e32 0x7f800000, v[4:5]
	s_xor_b32 s29, exec_lo, s10
	s_cbranch_execz .LBB6_3812
; %bb.3799:                             ;   in Loop: Header=BB6_130 Depth=2
	v_and_b32_e32 v4, 0x7fffffff, v2
	v_mov_b32_e32 v5, v1
	v_and_b32_e32 v71, 0x80, v3
                                        ; implicit-def: $vgpr69
	s_mov_b32 s10, exec_lo
	s_delay_alu instid0(VALU_DEP_2)
	v_cmpx_gt_u64_e32 0x47600001, v[4:5]
	s_xor_b32 s40, exec_lo, s10
	s_cbranch_execz .LBB6_3809
; %bb.3800:                             ;   in Loop: Header=BB6_130 Depth=2
	v_mov_b32_e32 v69, 0
	s_mov_b32 s41, exec_lo
	v_cmpx_ne_u32_e32 0, v2
	s_cbranch_execz .LBB6_3808
; %bb.3801:                             ;   in Loop: Header=BB6_130 Depth=2
	v_bfe_u32 v69, v2, 23, 8
	v_or_b32_e32 v3, 0x800000, v0
	s_delay_alu instid0(VALU_DEP_2) | instskip(SKIP_2) | instid1(VALU_DEP_2)
	v_cmp_gt_u32_e64 s10, 0x72, v69
	v_sub_nc_u32_e32 v2, 0x71, v69
	v_cmp_eq_u32_e32 vcc_lo, 0, v69
	v_cndmask_b32_e64 v2, 0, v2, s10
	s_delay_alu instid0(VALU_DEP_1) | instskip(SKIP_1) | instid1(VALU_DEP_2)
	v_cndmask_b32_e64 v83, v2, 0x70, vcc_lo
	v_dual_cndmask_b32 v2, v3, v0 :: v_dual_mov_b32 v3, v1
	v_add_nc_u32_e32 v0, 21, v83
	s_delay_alu instid0(VALU_DEP_1) | instskip(SKIP_1) | instid1(VALU_DEP_1)
	v_lshlrev_b64_e64 v[4:5], v0, -1
	v_add_nc_u32_e32 v0, 20, v83
	v_lshlrev_b64_e64 v[62:63], v0, 1
	s_delay_alu instid0(VALU_DEP_3) | instskip(SKIP_2) | instid1(VALU_DEP_1)
	v_bfi_b32 v4, v4, 0, v2
	v_lshrrev_b64 v[2:3], v83, v[2:3]
	v_bfi_b32 v5, v5, 0, 0
	v_cmp_eq_u64_e64 s10, v[4:5], v[62:63]
	s_delay_alu instid0(VALU_DEP_3)
	v_mov_b64_e32 v[4:5], v[2:3]
	s_and_saveexec_b32 s42, s10
; %bb.3802:                             ;   in Loop: Header=BB6_130 Depth=2
	v_bfe_u32 v4, v2, 21, 1
	v_mov_b32_e32 v5, v1
	s_delay_alu instid0(VALU_DEP_1) | instskip(NEXT) | instid1(VALU_DEP_1)
	v_add_nc_u64_e32 v[4:5], v[2:3], v[4:5]
	v_add_nc_u64_e32 v[4:5], -1, v[4:5]
; %bb.3803:                             ;   in Loop: Header=BB6_130 Depth=2
	s_or_b32 exec_lo, exec_lo, s42
	v_add_nc_u32_e32 v0, 0xffffff81, v69
	s_delay_alu instid0(VALU_DEP_2) | instskip(SKIP_2) | instid1(VALU_DEP_3)
	v_and_b32_e32 v4, 0x1fffff, v4
	v_lshrrev_b32_e32 v3, 23, v2
	s_mov_b32 s10, exec_lo
	v_cndmask_b32_e64 v0, v0, 0xffffff82, vcc_lo
	s_delay_alu instid0(VALU_DEP_1) | instskip(SKIP_1) | instid1(VALU_DEP_2)
	v_add3_u32 v69, v83, v0, v3
	v_add_nc_u32_e32 v0, v4, v2
                                        ; implicit-def: $vgpr2_vgpr3
                                        ; implicit-def: $vgpr4
	v_add_nc_u32_e32 v5, 14, v69
	s_delay_alu instid0(VALU_DEP_1)
	v_cmpx_ne_u32_e32 0, v5
	s_xor_b32 s10, exec_lo, s10
; %bb.3804:                             ;   in Loop: Header=BB6_130 Depth=2
	s_delay_alu instid0(VALU_DEP_3) | instskip(SKIP_1) | instid1(VALU_DEP_1)
	v_cmp_lt_u64_e32 vcc_lo, 0xffffff, v[0:1]
	v_add_nc_u32_e32 v2, 15, v69
	v_cndmask_b32_e32 v4, v5, v2, vcc_lo
	v_cndmask_b32_e64 v2, 0, 1, vcc_lo
	s_delay_alu instid0(VALU_DEP_1)
	v_lshrrev_b64 v[2:3], v2, v[0:1]
; %bb.3805:                             ;   in Loop: Header=BB6_130 Depth=2
	s_and_not1_saveexec_b32 s10, s10
; %bb.3806:                             ;   in Loop: Header=BB6_130 Depth=2
	v_mov_b64_e32 v[2:3], v[0:1]
	v_bfe_u32 v4, v0, 23, 1
; %bb.3807:                             ;   in Loop: Header=BB6_130 Depth=2
	s_or_b32 exec_lo, exec_lo, s10
	s_delay_alu instid0(VALU_DEP_2) | instskip(NEXT) | instid1(VALU_DEP_2)
	v_lshrrev_b64 v[2:3], 21, v[2:3]
	v_cmp_gt_i32_e32 vcc_lo, 32, v4
	v_min_i32_e32 v0, 31, v4
	v_cmp_eq_u32_e64 s10, 0, v4
	s_delay_alu instid0(VALU_DEP_2) | instskip(SKIP_1) | instid1(VALU_DEP_2)
	v_dual_cndmask_b32 v3, 0, v3 :: v_dual_lshlrev_b32 v0, 2, v0
	v_cndmask_b32_e32 v2, 3, v2, vcc_lo
	v_and_b32_e32 v0, 0xfc, v0
	s_delay_alu instid0(VALU_DEP_2) | instskip(NEXT) | instid1(VALU_DEP_2)
	v_cmp_eq_u64_e32 vcc_lo, 0, v[2:3]
	v_and_or_b32 v0, v2, 3, v0
	s_and_b32 s10, s10, vcc_lo
	s_delay_alu instid0(VALU_DEP_1) | instid1(SALU_CYCLE_1)
	v_cndmask_b32_e64 v0, v0, 0, s10
	s_delay_alu instid0(VALU_DEP_1)
	v_or_b32_e32 v69, v0, v71
.LBB6_3808:                             ;   in Loop: Header=BB6_130 Depth=2
	s_or_b32 exec_lo, exec_lo, s41
                                        ; implicit-def: $vgpr71
.LBB6_3809:                             ;   in Loop: Header=BB6_130 Depth=2
	s_and_not1_saveexec_b32 s10, s40
; %bb.3810:                             ;   in Loop: Header=BB6_130 Depth=2
	v_or_b32_e32 v69, 0x7b, v71
; %bb.3811:                             ;   in Loop: Header=BB6_130 Depth=2
	s_or_b32 exec_lo, exec_lo, s10
                                        ; implicit-def: $vgpr2
                                        ; implicit-def: $vgpr3
.LBB6_3812:                             ;   in Loop: Header=BB6_130 Depth=2
	s_and_not1_saveexec_b32 s10, s29
	s_cbranch_execz .LBB6_3818
; %bb.3813:                             ;   in Loop: Header=BB6_130 Depth=2
	s_mov_b32 s29, exec_lo
                                        ; implicit-def: $vgpr69
	v_cmpx_ne_u64_e32 0, v[0:1]
	s_xor_b32 s29, exec_lo, s29
; %bb.3814:                             ;   in Loop: Header=BB6_130 Depth=2
	v_or_b32_e32 v69, 0x7f, v3
                                        ; implicit-def: $vgpr2
; %bb.3815:                             ;   in Loop: Header=BB6_130 Depth=2
	s_and_not1_saveexec_b32 s29, s29
; %bb.3816:                             ;   in Loop: Header=BB6_130 Depth=2
	v_cmp_lt_i32_e32 vcc_lo, -1, v2
	v_mov_b32_e32 v0, 0x7c
	s_delay_alu instid0(VALU_DEP_1)
	v_cndmask_b32_e32 v69, 0xfc, v0, vcc_lo
; %bb.3817:                             ;   in Loop: Header=BB6_130 Depth=2
	s_or_b32 exec_lo, exec_lo, s29
.LBB6_3818:                             ;   in Loop: Header=BB6_130 Depth=2
	s_delay_alu instid0(SALU_CYCLE_1) | instskip(SKIP_4) | instid1(VALU_DEP_2)
	s_or_b32 exec_lo, exec_lo, s10
	v_dual_lshlrev_b32 v0, 24, v67 :: v_dual_lshlrev_b32 v2, 16, v64
	v_lshl_or_b32 v52, v52, 8, v49
	v_mov_b32_e32 v3, 0
	s_mov_b32 s29, exec_lo
	v_or3_b32 v0, v2, v0, v52
	v_mov_b32_e32 v2, 0
	v_cmpx_ne_u32_e32 0, v49
	s_cbranch_execz .LBB6_3828
; %bb.3819:                             ;   in Loop: Header=BB6_130 Depth=2
	v_bfrev_b32_e32 v2, 1
	s_mov_b32 s40, exec_lo
	v_cmpx_ne_u32_e32 0x80, v49
	s_cbranch_execz .LBB6_3827
; %bb.3820:                             ;   in Loop: Header=BB6_130 Depth=2
	v_and_b32_e32 v2, 0x7c, v49
	v_and_b32_e32 v4, 3, v49
	s_delay_alu instid0(VALU_DEP_2) | instskip(SKIP_1) | instid1(SALU_CYCLE_1)
	v_cmp_ne_u32_e32 vcc_lo, 0x7c, v2
                                        ; implicit-def: $vgpr2
	s_and_saveexec_b32 s10, vcc_lo
	s_xor_b32 s10, exec_lo, s10
	s_cbranch_execz .LBB6_3824
; %bb.3821:                             ;   in Loop: Header=BB6_130 Depth=2
	v_bfe_u32 v2, v49, 2, 5
	s_mov_b32 s41, exec_lo
	s_delay_alu instid0(VALU_DEP_1)
	v_cmpx_eq_u32_e32 0, v2
; %bb.3822:                             ;   in Loop: Header=BB6_130 Depth=2
	v_clz_i32_u32_e32 v2, v4
	s_delay_alu instid0(VALU_DEP_1) | instskip(NEXT) | instid1(VALU_DEP_1)
	v_min_u32_e32 v2, 32, v2
	v_subrev_nc_u32_e32 v4, 29, v2
	s_delay_alu instid0(VALU_DEP_1) | instskip(NEXT) | instid1(VALU_DEP_1)
	v_lshlrev_b64_e32 v[4:5], v4, v[0:1]
	v_dual_sub_nc_u32 v2, 30, v2 :: v_dual_bitop2_b32 v4, 3, v4 bitop3:0x40
; %bb.3823:                             ;   in Loop: Header=BB6_130 Depth=2
	s_or_b32 exec_lo, exec_lo, s41
	v_lshlrev_b32_e32 v5, 24, v49
                                        ; implicit-def: $vgpr49
	s_delay_alu instid0(VALU_DEP_1) | instskip(NEXT) | instid1(VALU_DEP_1)
	v_and_b32_e32 v5, 0x80000000, v5
	v_lshl_add_u32 v2, v2, 23, v5
	s_delay_alu instid0(VALU_DEP_1) | instskip(NEXT) | instid1(VALU_DEP_1)
	v_lshl_or_b32 v2, v4, 21, v2
                                        ; implicit-def: $vgpr4
	v_add_nc_u32_e32 v2, 0x38000000, v2
.LBB6_3824:                             ;   in Loop: Header=BB6_130 Depth=2
	s_and_not1_saveexec_b32 s41, s10
; %bb.3825:                             ;   in Loop: Header=BB6_130 Depth=2
	v_and_b32_e32 v2, 0x80, v49
	v_cmp_eq_u32_e32 vcc_lo, 0, v4
	s_delay_alu instid0(VALU_DEP_2) | instskip(SKIP_1) | instid1(VALU_DEP_1)
	v_cmp_eq_u32_e64 s10, 0, v2
	v_mov_b32_e32 v2, 0x7f800000
	v_cndmask_b32_e64 v2, 0xff800000, v2, s10
	s_delay_alu instid0(VALU_DEP_1)
	v_cndmask_b32_e32 v2, 0x7f800001, v2, vcc_lo
; %bb.3826:                             ;   in Loop: Header=BB6_130 Depth=2
	s_or_b32 exec_lo, exec_lo, s41
.LBB6_3827:                             ;   in Loop: Header=BB6_130 Depth=2
	s_delay_alu instid0(SALU_CYCLE_1)
	s_or_b32 exec_lo, exec_lo, s40
.LBB6_3828:                             ;   in Loop: Header=BB6_130 Depth=2
	s_delay_alu instid0(SALU_CYCLE_1) | instskip(SKIP_2) | instid1(VALU_DEP_1)
	s_or_b32 exec_lo, exec_lo, s29
	v_and_b32_e32 v4, 0xff, v17
	s_mov_b32 s29, exec_lo
	v_cmpx_ne_u16_e32 0, v4
	s_cbranch_execz .LBB6_3838
; %bb.3829:                             ;   in Loop: Header=BB6_130 Depth=2
	v_bfrev_b32_e32 v3, 1
	s_mov_b32 s40, exec_lo
	v_cmpx_ne_u16_e32 0x80, v4
	s_cbranch_execz .LBB6_3837
; %bb.3830:                             ;   in Loop: Header=BB6_130 Depth=2
	v_and_b32_e32 v3, 0x7c, v17
	v_and_b32_e32 v4, 3, v17
	s_delay_alu instid0(VALU_DEP_2) | instskip(SKIP_1) | instid1(SALU_CYCLE_1)
	v_cmp_ne_u32_e32 vcc_lo, 0x7c, v3
                                        ; implicit-def: $vgpr3
	s_and_saveexec_b32 s10, vcc_lo
	s_xor_b32 s10, exec_lo, s10
	s_cbranch_execz .LBB6_3834
; %bb.3831:                             ;   in Loop: Header=BB6_130 Depth=2
	v_bfe_u32 v3, v17, 2, 5
	s_mov_b32 s41, exec_lo
	s_delay_alu instid0(VALU_DEP_1)
	v_cmpx_eq_u32_e32 0, v3
; %bb.3832:                             ;   in Loop: Header=BB6_130 Depth=2
	v_clz_i32_u32_e32 v3, v4
	v_dual_mov_b32 v4, v17 :: v_dual_mov_b32 v5, v1
	s_delay_alu instid0(VALU_DEP_2) | instskip(NEXT) | instid1(VALU_DEP_1)
	v_min_u32_e32 v3, 32, v3
	v_subrev_nc_u32_e32 v49, 29, v3
	s_delay_alu instid0(VALU_DEP_1) | instskip(NEXT) | instid1(VALU_DEP_1)
	v_lshlrev_b64_e32 v[4:5], v49, v[4:5]
	v_dual_sub_nc_u32 v3, 30, v3 :: v_dual_bitop2_b32 v4, 3, v4 bitop3:0x40
; %bb.3833:                             ;   in Loop: Header=BB6_130 Depth=2
	s_or_b32 exec_lo, exec_lo, s41
	v_lshlrev_b32_e32 v5, 24, v17
	s_delay_alu instid0(VALU_DEP_1) | instskip(NEXT) | instid1(VALU_DEP_1)
	v_and_b32_e32 v5, 0x80000000, v5
	v_lshl_add_u32 v3, v3, 23, v5
	s_delay_alu instid0(VALU_DEP_1) | instskip(NEXT) | instid1(VALU_DEP_1)
	v_lshl_or_b32 v3, v4, 21, v3
                                        ; implicit-def: $vgpr4
	v_add_nc_u32_e32 v3, 0x38000000, v3
.LBB6_3834:                             ;   in Loop: Header=BB6_130 Depth=2
	s_and_not1_saveexec_b32 s41, s10
; %bb.3835:                             ;   in Loop: Header=BB6_130 Depth=2
	v_bfe_i32 v3, v17, 0, 8
	v_cmp_eq_u32_e32 vcc_lo, 0, v4
	s_delay_alu instid0(VALU_DEP_2) | instskip(SKIP_1) | instid1(VALU_DEP_1)
	v_cmp_lt_i16_e64 s10, -1, v3
	v_mov_b32_e32 v3, 0x7f800000
	v_cndmask_b32_e64 v3, 0xff800000, v3, s10
	s_delay_alu instid0(VALU_DEP_1)
	v_cndmask_b32_e32 v3, 0x7f800001, v3, vcc_lo
; %bb.3836:                             ;   in Loop: Header=BB6_130 Depth=2
	s_or_b32 exec_lo, exec_lo, s41
.LBB6_3837:                             ;   in Loop: Header=BB6_130 Depth=2
	s_delay_alu instid0(SALU_CYCLE_1)
	s_or_b32 exec_lo, exec_lo, s40
.LBB6_3838:                             ;   in Loop: Header=BB6_130 Depth=2
	s_delay_alu instid0(SALU_CYCLE_1) | instskip(NEXT) | instid1(VALU_DEP_1)
	s_or_b32 exec_lo, exec_lo, s29
	v_dual_add_f32 v4, v2, v3 :: v_dual_mov_b32 v63, v1
	v_mov_b32_e32 v3, v1
                                        ; implicit-def: $vgpr49
	s_mov_b32 s10, exec_lo
	s_delay_alu instid0(VALU_DEP_2) | instskip(SKIP_2) | instid1(VALU_DEP_3)
	v_and_b32_e32 v62, 0x7f800000, v4
	v_and_b32_e32 v2, 0x7fffff, v4
	v_lshrrev_b32_e32 v5, 24, v4
	v_cmpx_ne_u64_e32 0x7f800000, v[62:63]
	s_xor_b32 s29, exec_lo, s10
	s_cbranch_execz .LBB6_3852
; %bb.3839:                             ;   in Loop: Header=BB6_130 Depth=2
	v_and_b32_e32 v62, 0x7fffffff, v4
	v_mov_b32_e32 v63, v1
	v_and_b32_e32 v64, 0x80, v5
                                        ; implicit-def: $vgpr49
	s_mov_b32 s10, exec_lo
	s_delay_alu instid0(VALU_DEP_2)
	v_cmpx_gt_u64_e32 0x47600001, v[62:63]
	s_xor_b32 s40, exec_lo, s10
	s_cbranch_execz .LBB6_3849
; %bb.3840:                             ;   in Loop: Header=BB6_130 Depth=2
	v_mov_b32_e32 v49, 0
	s_mov_b32 s41, exec_lo
	v_cmpx_ne_u32_e32 0, v4
	s_cbranch_execz .LBB6_3848
; %bb.3841:                             ;   in Loop: Header=BB6_130 Depth=2
	v_bfe_u32 v49, v4, 23, 8
	v_or_b32_e32 v5, 0x800000, v2
	s_delay_alu instid0(VALU_DEP_2) | instskip(SKIP_2) | instid1(VALU_DEP_2)
	v_cmp_gt_u32_e64 s10, 0x72, v49
	v_sub_nc_u32_e32 v4, 0x71, v49
	v_cmp_eq_u32_e32 vcc_lo, 0, v49
	v_dual_cndmask_b32 v4, 0, v4, s10 :: v_dual_cndmask_b32 v2, v5, v2, vcc_lo
	s_delay_alu instid0(VALU_DEP_1) | instskip(NEXT) | instid1(VALU_DEP_1)
	v_cndmask_b32_e64 v67, v4, 0x70, vcc_lo
	v_dual_add_nc_u32 v4, 21, v67 :: v_dual_add_nc_u32 v71, 20, v67
	s_delay_alu instid0(VALU_DEP_1) | instskip(NEXT) | instid1(VALU_DEP_2)
	v_lshlrev_b64_e64 v[4:5], v4, -1
	v_lshlrev_b64_e64 v[62:63], v71, 1
	s_delay_alu instid0(VALU_DEP_2) | instskip(SKIP_1) | instid1(VALU_DEP_4)
	v_bfi_b32 v4, v4, 0, v2
	v_lshrrev_b64 v[2:3], v67, v[2:3]
	v_bfi_b32 v5, v5, 0, 0
	s_delay_alu instid0(VALU_DEP_1) | instskip(NEXT) | instid1(VALU_DEP_3)
	v_cmp_eq_u64_e64 s10, v[4:5], v[62:63]
	v_mov_b64_e32 v[4:5], v[2:3]
	s_and_saveexec_b32 s42, s10
; %bb.3842:                             ;   in Loop: Header=BB6_130 Depth=2
	v_bfe_u32 v4, v2, 21, 1
	v_mov_b32_e32 v5, v1
	s_delay_alu instid0(VALU_DEP_1) | instskip(NEXT) | instid1(VALU_DEP_1)
	v_add_nc_u64_e32 v[4:5], v[2:3], v[4:5]
	v_add_nc_u64_e32 v[4:5], -1, v[4:5]
; %bb.3843:                             ;   in Loop: Header=BB6_130 Depth=2
	s_or_b32 exec_lo, exec_lo, s42
	v_add_nc_u32_e32 v3, 0xffffff81, v49
	v_lshrrev_b32_e32 v5, 23, v2
	s_mov_b32 s10, exec_lo
	s_delay_alu instid0(VALU_DEP_2) | instskip(NEXT) | instid1(VALU_DEP_1)
	v_cndmask_b32_e64 v3, v3, 0xffffff82, vcc_lo
	v_add3_u32 v49, v67, v3, v5
	v_and_b32_e32 v3, 0x1fffff, v4
                                        ; implicit-def: $vgpr4
	s_delay_alu instid0(VALU_DEP_1) | instskip(SKIP_1) | instid1(VALU_DEP_2)
	v_dual_add_nc_u32 v5, 14, v49 :: v_dual_add_nc_u32 v2, v3, v2
	v_mov_b32_e32 v3, v1
	v_cmpx_ne_u32_e32 0, v5
	s_xor_b32 s10, exec_lo, s10
; %bb.3844:                             ;   in Loop: Header=BB6_130 Depth=2
	s_delay_alu instid0(VALU_DEP_2) | instskip(SKIP_1) | instid1(VALU_DEP_1)
	v_cmp_lt_u64_e32 vcc_lo, 0xffffff, v[2:3]
	v_add_nc_u32_e32 v4, 15, v49
	v_cndmask_b32_e32 v4, v5, v4, vcc_lo
	v_cndmask_b32_e64 v5, 0, 1, vcc_lo
	s_delay_alu instid0(VALU_DEP_1)
	v_lshrrev_b64 v[2:3], v5, v[2:3]
; %bb.3845:                             ;   in Loop: Header=BB6_130 Depth=2
	s_and_not1_saveexec_b32 s10, s10
; %bb.3846:                             ;   in Loop: Header=BB6_130 Depth=2
	s_delay_alu instid0(VALU_DEP_1)
	v_bfe_u32 v4, v2, 23, 1
; %bb.3847:                             ;   in Loop: Header=BB6_130 Depth=2
	s_or_b32 exec_lo, exec_lo, s10
	s_delay_alu instid0(VALU_DEP_2) | instskip(NEXT) | instid1(VALU_DEP_2)
	v_lshrrev_b64 v[2:3], 21, v[2:3]
	v_cmp_gt_i32_e32 vcc_lo, 32, v4
	v_min_i32_e32 v5, 31, v4
	v_cmp_eq_u32_e64 s10, 0, v4
	s_delay_alu instid0(VALU_DEP_2) | instskip(SKIP_1) | instid1(VALU_DEP_2)
	v_dual_cndmask_b32 v3, 0, v3, vcc_lo :: v_dual_lshlrev_b32 v5, 2, v5
	v_cndmask_b32_e32 v2, 3, v2, vcc_lo
	v_and_b32_e32 v5, 0xfc, v5
	s_delay_alu instid0(VALU_DEP_2) | instskip(NEXT) | instid1(VALU_DEP_2)
	v_cmp_eq_u64_e32 vcc_lo, 0, v[2:3]
	v_and_or_b32 v2, v2, 3, v5
	s_and_b32 s10, s10, vcc_lo
	s_delay_alu instid0(VALU_DEP_1) | instid1(SALU_CYCLE_1)
	v_cndmask_b32_e64 v2, v2, 0, s10
	s_delay_alu instid0(VALU_DEP_1)
	v_or_b32_e32 v49, v2, v64
.LBB6_3848:                             ;   in Loop: Header=BB6_130 Depth=2
	s_or_b32 exec_lo, exec_lo, s41
                                        ; implicit-def: $vgpr64
.LBB6_3849:                             ;   in Loop: Header=BB6_130 Depth=2
	s_and_not1_saveexec_b32 s10, s40
; %bb.3850:                             ;   in Loop: Header=BB6_130 Depth=2
	v_or_b32_e32 v49, 0x7b, v64
; %bb.3851:                             ;   in Loop: Header=BB6_130 Depth=2
	s_or_b32 exec_lo, exec_lo, s10
                                        ; implicit-def: $vgpr4
                                        ; implicit-def: $vgpr2_vgpr3
                                        ; implicit-def: $vgpr5
.LBB6_3852:                             ;   in Loop: Header=BB6_130 Depth=2
	s_and_not1_saveexec_b32 s10, s29
	s_cbranch_execz .LBB6_3858
; %bb.3853:                             ;   in Loop: Header=BB6_130 Depth=2
	s_mov_b32 s29, exec_lo
                                        ; implicit-def: $vgpr49
	v_cmpx_ne_u64_e32 0, v[2:3]
	s_xor_b32 s29, exec_lo, s29
; %bb.3854:                             ;   in Loop: Header=BB6_130 Depth=2
	v_or_b32_e32 v49, 0x7f, v5
                                        ; implicit-def: $vgpr4
; %bb.3855:                             ;   in Loop: Header=BB6_130 Depth=2
	s_and_not1_saveexec_b32 s29, s29
; %bb.3856:                             ;   in Loop: Header=BB6_130 Depth=2
	v_cmp_lt_i32_e32 vcc_lo, -1, v4
	v_mov_b32_e32 v2, 0x7c
	s_delay_alu instid0(VALU_DEP_1)
	v_cndmask_b32_e32 v49, 0xfc, v2, vcc_lo
; %bb.3857:                             ;   in Loop: Header=BB6_130 Depth=2
	s_or_b32 exec_lo, exec_lo, s29
.LBB6_3858:                             ;   in Loop: Header=BB6_130 Depth=2
	s_delay_alu instid0(SALU_CYCLE_1) | instskip(SKIP_3) | instid1(VALU_DEP_2)
	s_or_b32 exec_lo, exec_lo, s10
	v_lshrrev_b16 v2, 8, v52
	v_dual_mov_b32 v4, 0 :: v_dual_mov_b32 v5, 0
	s_mov_b32 s29, exec_lo
	v_cmpx_ne_u16_e32 0, v2
	s_cbranch_execz .LBB6_3868
; %bb.3859:                             ;   in Loop: Header=BB6_130 Depth=2
	v_bfrev_b32_e32 v5, 1
	s_mov_b32 s40, exec_lo
	v_cmpx_ne_u16_e32 0x80, v2
	s_cbranch_execz .LBB6_3867
; %bb.3860:                             ;   in Loop: Header=BB6_130 Depth=2
	v_and_b32_e32 v64, 0xffff, v2
	s_delay_alu instid0(VALU_DEP_1) | instskip(SKIP_1) | instid1(VALU_DEP_2)
	v_and_b32_e32 v5, 0x7c, v64
	v_and_b32_e32 v3, 3, v64
	v_cmp_ne_u32_e32 vcc_lo, 0x7c, v5
                                        ; implicit-def: $vgpr5
	s_and_saveexec_b32 s10, vcc_lo
	s_delay_alu instid0(SALU_CYCLE_1)
	s_xor_b32 s10, exec_lo, s10
	s_cbranch_execz .LBB6_3864
; %bb.3861:                             ;   in Loop: Header=BB6_130 Depth=2
	v_bfe_u32 v5, v64, 2, 5
	s_mov_b32 s41, exec_lo
	s_delay_alu instid0(VALU_DEP_1)
	v_cmpx_eq_u32_e32 0, v5
	s_cbranch_execz .LBB6_3863
; %bb.3862:                             ;   in Loop: Header=BB6_130 Depth=2
	v_clz_i32_u32_e32 v3, v3
	s_delay_alu instid0(VALU_DEP_1) | instskip(SKIP_1) | instid1(VALU_DEP_2)
	v_min_u32_e32 v5, 32, v3
	v_mov_b32_e32 v3, v1
	v_subrev_nc_u32_e32 v64, 29, v5
	v_sub_nc_u32_e32 v5, 30, v5
	s_delay_alu instid0(VALU_DEP_2) | instskip(NEXT) | instid1(VALU_DEP_1)
	v_lshlrev_b64_e32 v[2:3], v64, v[2:3]
	v_and_b32_e32 v3, 3, v2
.LBB6_3863:                             ;   in Loop: Header=BB6_130 Depth=2
	s_or_b32 exec_lo, exec_lo, s41
	v_lshlrev_b32_e32 v2, 16, v52
                                        ; implicit-def: $vgpr52
	s_delay_alu instid0(VALU_DEP_1) | instskip(NEXT) | instid1(VALU_DEP_1)
	v_and_b32_e32 v2, 0x80000000, v2
	v_lshl_add_u32 v2, v5, 23, v2
	s_delay_alu instid0(VALU_DEP_1) | instskip(NEXT) | instid1(VALU_DEP_1)
	v_lshl_or_b32 v2, v3, 21, v2
                                        ; implicit-def: $vgpr3
	v_add_nc_u32_e32 v5, 0x38000000, v2
.LBB6_3864:                             ;   in Loop: Header=BB6_130 Depth=2
	s_and_not1_saveexec_b32 s41, s10
; %bb.3865:                             ;   in Loop: Header=BB6_130 Depth=2
	v_cmp_lt_i16_e64 s10, -1, v52
	v_mov_b32_e32 v2, 0x7f800000
	v_cmp_eq_u32_e32 vcc_lo, 0, v3
	s_delay_alu instid0(VALU_DEP_2) | instskip(NEXT) | instid1(VALU_DEP_1)
	v_cndmask_b32_e64 v2, 0xff800000, v2, s10
	v_cndmask_b32_e32 v5, 0x7f800001, v2, vcc_lo
; %bb.3866:                             ;   in Loop: Header=BB6_130 Depth=2
	s_or_b32 exec_lo, exec_lo, s41
.LBB6_3867:                             ;   in Loop: Header=BB6_130 Depth=2
	s_delay_alu instid0(SALU_CYCLE_1)
	s_or_b32 exec_lo, exec_lo, s40
.LBB6_3868:                             ;   in Loop: Header=BB6_130 Depth=2
	s_delay_alu instid0(SALU_CYCLE_1) | instskip(SKIP_2) | instid1(VALU_DEP_1)
	s_or_b32 exec_lo, exec_lo, s29
	v_lshrrev_b16 v2, 8, v17
	s_mov_b32 s29, exec_lo
	v_cmpx_ne_u16_e32 0, v2
	s_cbranch_execz .LBB6_3878
; %bb.3869:                             ;   in Loop: Header=BB6_130 Depth=2
	v_bfrev_b32_e32 v4, 1
	s_mov_b32 s40, exec_lo
	v_cmpx_ne_u16_e32 0x80, v2
	s_cbranch_execz .LBB6_3877
; %bb.3870:                             ;   in Loop: Header=BB6_130 Depth=2
	v_and_b32_e32 v52, 0xffff, v2
	s_delay_alu instid0(VALU_DEP_1) | instskip(SKIP_1) | instid1(VALU_DEP_2)
	v_and_b32_e32 v4, 0x7c, v52
	v_and_b32_e32 v3, 3, v52
	v_cmp_ne_u32_e32 vcc_lo, 0x7c, v4
                                        ; implicit-def: $vgpr4
	s_and_saveexec_b32 s10, vcc_lo
	s_delay_alu instid0(SALU_CYCLE_1)
	s_xor_b32 s10, exec_lo, s10
	s_cbranch_execz .LBB6_3874
; %bb.3871:                             ;   in Loop: Header=BB6_130 Depth=2
	v_bfe_u32 v4, v52, 2, 5
	s_mov_b32 s41, exec_lo
	s_delay_alu instid0(VALU_DEP_1)
	v_cmpx_eq_u32_e32 0, v4
	s_cbranch_execz .LBB6_3873
; %bb.3872:                             ;   in Loop: Header=BB6_130 Depth=2
	v_clz_i32_u32_e32 v3, v3
	s_delay_alu instid0(VALU_DEP_1) | instskip(SKIP_1) | instid1(VALU_DEP_2)
	v_min_u32_e32 v4, 32, v3
	v_mov_b32_e32 v3, v1
	v_subrev_nc_u32_e32 v52, 29, v4
	v_sub_nc_u32_e32 v4, 30, v4
	s_delay_alu instid0(VALU_DEP_2) | instskip(NEXT) | instid1(VALU_DEP_1)
	v_lshlrev_b64_e32 v[2:3], v52, v[2:3]
	v_and_b32_e32 v3, 3, v2
.LBB6_3873:                             ;   in Loop: Header=BB6_130 Depth=2
	s_or_b32 exec_lo, exec_lo, s41
	v_lshlrev_b32_e32 v2, 16, v17
	s_delay_alu instid0(VALU_DEP_1) | instskip(NEXT) | instid1(VALU_DEP_1)
	v_and_b32_e32 v2, 0x80000000, v2
	v_lshl_add_u32 v2, v4, 23, v2
	s_delay_alu instid0(VALU_DEP_1) | instskip(NEXT) | instid1(VALU_DEP_1)
	v_lshl_or_b32 v2, v3, 21, v2
                                        ; implicit-def: $vgpr3
	v_add_nc_u32_e32 v4, 0x38000000, v2
.LBB6_3874:                             ;   in Loop: Header=BB6_130 Depth=2
	s_and_not1_saveexec_b32 s41, s10
; %bb.3875:                             ;   in Loop: Header=BB6_130 Depth=2
	v_cmp_lt_i16_e64 s10, -1, v17
	v_mov_b32_e32 v2, 0x7f800000
	v_cmp_eq_u32_e32 vcc_lo, 0, v3
	s_delay_alu instid0(VALU_DEP_2) | instskip(NEXT) | instid1(VALU_DEP_1)
	v_cndmask_b32_e64 v2, 0xff800000, v2, s10
	v_cndmask_b32_e32 v4, 0x7f800001, v2, vcc_lo
; %bb.3876:                             ;   in Loop: Header=BB6_130 Depth=2
	s_or_b32 exec_lo, exec_lo, s41
.LBB6_3877:                             ;   in Loop: Header=BB6_130 Depth=2
	s_delay_alu instid0(SALU_CYCLE_1)
	s_or_b32 exec_lo, exec_lo, s40
.LBB6_3878:                             ;   in Loop: Header=BB6_130 Depth=2
	s_delay_alu instid0(SALU_CYCLE_1) | instskip(NEXT) | instid1(VALU_DEP_1)
	s_or_b32 exec_lo, exec_lo, s29
	v_add_f32_e32 v4, v5, v4
	v_dual_mov_b32 v63, v1 :: v_dual_mov_b32 v3, v1
                                        ; implicit-def: $vgpr52
	s_mov_b32 s10, exec_lo
	s_delay_alu instid0(VALU_DEP_2) | instskip(SKIP_2) | instid1(VALU_DEP_3)
	v_and_b32_e32 v62, 0x7f800000, v4
	v_and_b32_e32 v2, 0x7fffff, v4
	v_lshrrev_b32_e32 v5, 24, v4
	v_cmpx_ne_u64_e32 0x7f800000, v[62:63]
	s_xor_b32 s29, exec_lo, s10
	s_cbranch_execz .LBB6_3892
; %bb.3879:                             ;   in Loop: Header=BB6_130 Depth=2
	v_and_b32_e32 v62, 0x7fffffff, v4
	v_mov_b32_e32 v63, v1
	v_and_b32_e32 v64, 0x80, v5
                                        ; implicit-def: $vgpr52
	s_mov_b32 s10, exec_lo
	s_delay_alu instid0(VALU_DEP_2)
	v_cmpx_gt_u64_e32 0x47600001, v[62:63]
	s_xor_b32 s40, exec_lo, s10
	s_cbranch_execz .LBB6_3889
; %bb.3880:                             ;   in Loop: Header=BB6_130 Depth=2
	v_mov_b32_e32 v52, 0
	s_mov_b32 s41, exec_lo
	v_cmpx_ne_u32_e32 0, v4
	s_cbranch_execz .LBB6_3888
; %bb.3881:                             ;   in Loop: Header=BB6_130 Depth=2
	v_bfe_u32 v52, v4, 23, 8
	v_or_b32_e32 v5, 0x800000, v2
	s_delay_alu instid0(VALU_DEP_2) | instskip(SKIP_2) | instid1(VALU_DEP_2)
	v_cmp_gt_u32_e64 s10, 0x72, v52
	v_sub_nc_u32_e32 v4, 0x71, v52
	v_cmp_eq_u32_e32 vcc_lo, 0, v52
	v_dual_cndmask_b32 v4, 0, v4, s10 :: v_dual_cndmask_b32 v2, v5, v2, vcc_lo
	s_delay_alu instid0(VALU_DEP_1) | instskip(NEXT) | instid1(VALU_DEP_1)
	v_cndmask_b32_e64 v67, v4, 0x70, vcc_lo
	v_dual_add_nc_u32 v4, 21, v67 :: v_dual_add_nc_u32 v71, 20, v67
	s_delay_alu instid0(VALU_DEP_1) | instskip(NEXT) | instid1(VALU_DEP_2)
	v_lshlrev_b64_e64 v[4:5], v4, -1
	v_lshlrev_b64_e64 v[62:63], v71, 1
	s_delay_alu instid0(VALU_DEP_2) | instskip(SKIP_1) | instid1(VALU_DEP_4)
	v_bfi_b32 v4, v4, 0, v2
	v_lshrrev_b64 v[2:3], v67, v[2:3]
	v_bfi_b32 v5, v5, 0, 0
	s_delay_alu instid0(VALU_DEP_1) | instskip(NEXT) | instid1(VALU_DEP_3)
	v_cmp_eq_u64_e64 s10, v[4:5], v[62:63]
	v_mov_b64_e32 v[4:5], v[2:3]
	s_and_saveexec_b32 s42, s10
; %bb.3882:                             ;   in Loop: Header=BB6_130 Depth=2
	v_bfe_u32 v4, v2, 21, 1
	v_mov_b32_e32 v5, v1
	s_delay_alu instid0(VALU_DEP_1) | instskip(NEXT) | instid1(VALU_DEP_1)
	v_add_nc_u64_e32 v[4:5], v[2:3], v[4:5]
	v_add_nc_u64_e32 v[4:5], -1, v[4:5]
; %bb.3883:                             ;   in Loop: Header=BB6_130 Depth=2
	s_or_b32 exec_lo, exec_lo, s42
	v_add_nc_u32_e32 v3, 0xffffff81, v52
	v_lshrrev_b32_e32 v5, 23, v2
	s_mov_b32 s10, exec_lo
	s_delay_alu instid0(VALU_DEP_2) | instskip(NEXT) | instid1(VALU_DEP_1)
	v_cndmask_b32_e64 v3, v3, 0xffffff82, vcc_lo
	v_add3_u32 v52, v67, v3, v5
	v_and_b32_e32 v3, 0x1fffff, v4
                                        ; implicit-def: $vgpr4
	s_delay_alu instid0(VALU_DEP_1) | instskip(SKIP_1) | instid1(VALU_DEP_2)
	v_dual_add_nc_u32 v5, 14, v52 :: v_dual_add_nc_u32 v2, v3, v2
	v_mov_b32_e32 v3, v1
	v_cmpx_ne_u32_e32 0, v5
	s_xor_b32 s10, exec_lo, s10
; %bb.3884:                             ;   in Loop: Header=BB6_130 Depth=2
	s_delay_alu instid0(VALU_DEP_2) | instskip(SKIP_1) | instid1(VALU_DEP_1)
	v_cmp_lt_u64_e32 vcc_lo, 0xffffff, v[2:3]
	v_add_nc_u32_e32 v4, 15, v52
	v_cndmask_b32_e32 v4, v5, v4, vcc_lo
	v_cndmask_b32_e64 v5, 0, 1, vcc_lo
	s_delay_alu instid0(VALU_DEP_1)
	v_lshrrev_b64 v[2:3], v5, v[2:3]
; %bb.3885:                             ;   in Loop: Header=BB6_130 Depth=2
	s_and_not1_saveexec_b32 s10, s10
; %bb.3886:                             ;   in Loop: Header=BB6_130 Depth=2
	s_delay_alu instid0(VALU_DEP_1)
	v_bfe_u32 v4, v2, 23, 1
; %bb.3887:                             ;   in Loop: Header=BB6_130 Depth=2
	s_or_b32 exec_lo, exec_lo, s10
	s_delay_alu instid0(VALU_DEP_2) | instskip(NEXT) | instid1(VALU_DEP_2)
	v_lshrrev_b64 v[2:3], 21, v[2:3]
	v_cmp_gt_i32_e32 vcc_lo, 32, v4
	v_min_i32_e32 v5, 31, v4
	v_cmp_eq_u32_e64 s10, 0, v4
	s_delay_alu instid0(VALU_DEP_2) | instskip(SKIP_1) | instid1(VALU_DEP_2)
	v_dual_cndmask_b32 v3, 0, v3, vcc_lo :: v_dual_lshlrev_b32 v5, 2, v5
	v_cndmask_b32_e32 v2, 3, v2, vcc_lo
	v_and_b32_e32 v5, 0xfc, v5
	s_delay_alu instid0(VALU_DEP_2) | instskip(NEXT) | instid1(VALU_DEP_2)
	v_cmp_eq_u64_e32 vcc_lo, 0, v[2:3]
	v_and_or_b32 v2, v2, 3, v5
	s_and_b32 s10, s10, vcc_lo
	s_delay_alu instid0(VALU_DEP_1) | instid1(SALU_CYCLE_1)
	v_cndmask_b32_e64 v2, v2, 0, s10
	s_delay_alu instid0(VALU_DEP_1)
	v_or_b32_e32 v52, v2, v64
.LBB6_3888:                             ;   in Loop: Header=BB6_130 Depth=2
	s_or_b32 exec_lo, exec_lo, s41
                                        ; implicit-def: $vgpr64
.LBB6_3889:                             ;   in Loop: Header=BB6_130 Depth=2
	s_and_not1_saveexec_b32 s10, s40
; %bb.3890:                             ;   in Loop: Header=BB6_130 Depth=2
	v_or_b32_e32 v52, 0x7b, v64
; %bb.3891:                             ;   in Loop: Header=BB6_130 Depth=2
	s_or_b32 exec_lo, exec_lo, s10
                                        ; implicit-def: $vgpr4
                                        ; implicit-def: $vgpr2_vgpr3
                                        ; implicit-def: $vgpr5
.LBB6_3892:                             ;   in Loop: Header=BB6_130 Depth=2
	s_and_not1_saveexec_b32 s10, s29
	s_cbranch_execz .LBB6_3898
; %bb.3893:                             ;   in Loop: Header=BB6_130 Depth=2
	s_mov_b32 s29, exec_lo
                                        ; implicit-def: $vgpr52
	v_cmpx_ne_u64_e32 0, v[2:3]
	s_xor_b32 s29, exec_lo, s29
; %bb.3894:                             ;   in Loop: Header=BB6_130 Depth=2
	v_or_b32_e32 v52, 0x7f, v5
                                        ; implicit-def: $vgpr4
; %bb.3895:                             ;   in Loop: Header=BB6_130 Depth=2
	s_and_not1_saveexec_b32 s29, s29
; %bb.3896:                             ;   in Loop: Header=BB6_130 Depth=2
	v_cmp_lt_i32_e32 vcc_lo, -1, v4
	v_mov_b32_e32 v2, 0x7c
	s_delay_alu instid0(VALU_DEP_1)
	v_cndmask_b32_e32 v52, 0xfc, v2, vcc_lo
; %bb.3897:                             ;   in Loop: Header=BB6_130 Depth=2
	s_or_b32 exec_lo, exec_lo, s29
.LBB6_3898:                             ;   in Loop: Header=BB6_130 Depth=2
	s_delay_alu instid0(SALU_CYCLE_1) | instskip(SKIP_3) | instid1(VALU_DEP_2)
	s_or_b32 exec_lo, exec_lo, s10
	v_dual_mov_b32 v3, 0 :: v_dual_lshrrev_b32 v2, 16, v0
	v_mov_b32_e32 v4, 0
	s_mov_b32 s29, exec_lo
	v_and_b32_e32 v5, 0xff, v2
	s_delay_alu instid0(VALU_DEP_1)
	v_cmpx_ne_u16_e32 0, v5
	s_cbranch_execz .LBB6_3908
; %bb.3899:                             ;   in Loop: Header=BB6_130 Depth=2
	v_bfrev_b32_e32 v4, 1
	s_mov_b32 s40, exec_lo
	v_cmpx_ne_u16_e32 0x80, v5
	s_cbranch_execz .LBB6_3907
; %bb.3900:                             ;   in Loop: Header=BB6_130 Depth=2
	v_and_b32_e32 v4, 0x7c0000, v0
	v_bfe_u32 v5, v0, 16, 2
	s_delay_alu instid0(VALU_DEP_2) | instskip(SKIP_1) | instid1(SALU_CYCLE_1)
	v_cmp_ne_u32_e32 vcc_lo, 0x7c0000, v4
                                        ; implicit-def: $vgpr4
	s_and_saveexec_b32 s10, vcc_lo
	s_xor_b32 s10, exec_lo, s10
	s_cbranch_execz .LBB6_3904
; %bb.3901:                             ;   in Loop: Header=BB6_130 Depth=2
	v_bfe_u32 v4, v0, 18, 5
	s_mov_b32 s41, exec_lo
	s_delay_alu instid0(VALU_DEP_1)
	v_cmpx_eq_u32_e32 0, v4
; %bb.3902:                             ;   in Loop: Header=BB6_130 Depth=2
	v_clz_i32_u32_e32 v4, v5
	s_delay_alu instid0(VALU_DEP_1) | instskip(NEXT) | instid1(VALU_DEP_1)
	v_min_u32_e32 v4, 32, v4
	v_subrev_nc_u32_e32 v5, 29, v4
	s_delay_alu instid0(VALU_DEP_1) | instskip(NEXT) | instid1(VALU_DEP_1)
	v_lshlrev_b64_e32 v[62:63], v5, v[2:3]
	v_dual_sub_nc_u32 v4, 30, v4 :: v_dual_bitop2_b32 v5, 3, v62 bitop3:0x40
; %bb.3903:                             ;   in Loop: Header=BB6_130 Depth=2
	s_or_b32 exec_lo, exec_lo, s41
	v_lshlrev_b32_e32 v2, 24, v2
	s_delay_alu instid0(VALU_DEP_1) | instskip(NEXT) | instid1(VALU_DEP_1)
	v_and_b32_e32 v2, 0x80000000, v2
	v_lshl_add_u32 v2, v4, 23, v2
	s_delay_alu instid0(VALU_DEP_1) | instskip(NEXT) | instid1(VALU_DEP_1)
	v_lshl_or_b32 v2, v5, 21, v2
                                        ; implicit-def: $vgpr5
	v_add_nc_u32_e32 v4, 0x38000000, v2
                                        ; implicit-def: $vgpr2
.LBB6_3904:                             ;   in Loop: Header=BB6_130 Depth=2
	s_and_not1_saveexec_b32 s41, s10
; %bb.3905:                             ;   in Loop: Header=BB6_130 Depth=2
	v_bfe_i32 v2, v2, 0, 8
	v_cmp_eq_u32_e32 vcc_lo, 0, v5
	s_delay_alu instid0(VALU_DEP_2) | instskip(SKIP_1) | instid1(VALU_DEP_1)
	v_cmp_lt_i16_e64 s10, -1, v2
	v_mov_b32_e32 v2, 0x7f800000
	v_cndmask_b32_e64 v2, 0xff800000, v2, s10
	s_delay_alu instid0(VALU_DEP_1)
	v_cndmask_b32_e32 v4, 0x7f800001, v2, vcc_lo
; %bb.3906:                             ;   in Loop: Header=BB6_130 Depth=2
	s_or_b32 exec_lo, exec_lo, s41
.LBB6_3907:                             ;   in Loop: Header=BB6_130 Depth=2
	s_delay_alu instid0(SALU_CYCLE_1)
	s_or_b32 exec_lo, exec_lo, s40
.LBB6_3908:                             ;   in Loop: Header=BB6_130 Depth=2
	s_delay_alu instid0(SALU_CYCLE_1) | instskip(SKIP_2) | instid1(VALU_DEP_1)
	s_or_b32 exec_lo, exec_lo, s29
	v_lshrrev_b32_e32 v2, 16, v17
	s_mov_b32 s29, exec_lo
	v_and_b32_e32 v5, 0xff, v2
	s_delay_alu instid0(VALU_DEP_1)
	v_cmpx_ne_u16_e32 0, v5
	s_cbranch_execz .LBB6_3918
; %bb.3909:                             ;   in Loop: Header=BB6_130 Depth=2
	v_bfrev_b32_e32 v3, 1
	s_mov_b32 s40, exec_lo
	v_cmpx_ne_u16_e32 0x80, v5
	s_cbranch_execz .LBB6_3917
; %bb.3910:                             ;   in Loop: Header=BB6_130 Depth=2
	v_and_b32_e32 v3, 0x7c0000, v17
	v_bfe_u32 v5, v17, 16, 2
	s_delay_alu instid0(VALU_DEP_2) | instskip(SKIP_1) | instid1(SALU_CYCLE_1)
	v_cmp_ne_u32_e32 vcc_lo, 0x7c0000, v3
                                        ; implicit-def: $vgpr3
	s_and_saveexec_b32 s10, vcc_lo
	s_xor_b32 s10, exec_lo, s10
	s_cbranch_execz .LBB6_3914
; %bb.3911:                             ;   in Loop: Header=BB6_130 Depth=2
	v_bfe_u32 v3, v17, 18, 5
	s_mov_b32 s41, exec_lo
	s_delay_alu instid0(VALU_DEP_1)
	v_cmpx_eq_u32_e32 0, v3
; %bb.3912:                             ;   in Loop: Header=BB6_130 Depth=2
	v_clz_i32_u32_e32 v3, v5
	s_delay_alu instid0(VALU_DEP_1) | instskip(NEXT) | instid1(VALU_DEP_1)
	v_min_u32_e32 v3, 32, v3
	v_subrev_nc_u32_e32 v5, 29, v3
	s_delay_alu instid0(VALU_DEP_1) | instskip(NEXT) | instid1(VALU_DEP_1)
	v_lshlrev_b64_e32 v[62:63], v5, v[2:3]
	v_dual_sub_nc_u32 v3, 30, v3 :: v_dual_bitop2_b32 v5, 3, v62 bitop3:0x40
; %bb.3913:                             ;   in Loop: Header=BB6_130 Depth=2
	s_or_b32 exec_lo, exec_lo, s41
	v_lshlrev_b32_e32 v2, 24, v2
	s_delay_alu instid0(VALU_DEP_1) | instskip(NEXT) | instid1(VALU_DEP_1)
	v_and_b32_e32 v2, 0x80000000, v2
	v_lshl_add_u32 v2, v3, 23, v2
	s_delay_alu instid0(VALU_DEP_1) | instskip(NEXT) | instid1(VALU_DEP_1)
	v_lshl_or_b32 v2, v5, 21, v2
                                        ; implicit-def: $vgpr5
	v_add_nc_u32_e32 v3, 0x38000000, v2
                                        ; implicit-def: $vgpr2
.LBB6_3914:                             ;   in Loop: Header=BB6_130 Depth=2
	s_and_not1_saveexec_b32 s41, s10
; %bb.3915:                             ;   in Loop: Header=BB6_130 Depth=2
	v_bfe_i32 v2, v2, 0, 8
	v_cmp_eq_u32_e32 vcc_lo, 0, v5
	s_delay_alu instid0(VALU_DEP_2) | instskip(SKIP_1) | instid1(VALU_DEP_1)
	v_cmp_lt_i16_e64 s10, -1, v2
	v_mov_b32_e32 v2, 0x7f800000
	v_cndmask_b32_e64 v2, 0xff800000, v2, s10
	s_delay_alu instid0(VALU_DEP_1)
	v_cndmask_b32_e32 v3, 0x7f800001, v2, vcc_lo
; %bb.3916:                             ;   in Loop: Header=BB6_130 Depth=2
	s_or_b32 exec_lo, exec_lo, s41
.LBB6_3917:                             ;   in Loop: Header=BB6_130 Depth=2
	s_delay_alu instid0(SALU_CYCLE_1)
	s_or_b32 exec_lo, exec_lo, s40
.LBB6_3918:                             ;   in Loop: Header=BB6_130 Depth=2
	s_delay_alu instid0(SALU_CYCLE_1) | instskip(NEXT) | instid1(VALU_DEP_1)
	s_or_b32 exec_lo, exec_lo, s29
	v_dual_add_f32 v4, v4, v3 :: v_dual_mov_b32 v63, v1
	v_mov_b32_e32 v3, v1
                                        ; implicit-def: $vgpr64
	s_mov_b32 s10, exec_lo
	s_delay_alu instid0(VALU_DEP_2) | instskip(SKIP_2) | instid1(VALU_DEP_3)
	v_and_b32_e32 v62, 0x7f800000, v4
	v_and_b32_e32 v2, 0x7fffff, v4
	v_lshrrev_b32_e32 v5, 24, v4
	v_cmpx_ne_u64_e32 0x7f800000, v[62:63]
	s_xor_b32 s29, exec_lo, s10
	s_cbranch_execz .LBB6_3932
; %bb.3919:                             ;   in Loop: Header=BB6_130 Depth=2
	v_and_b32_e32 v62, 0x7fffffff, v4
	v_mov_b32_e32 v63, v1
	v_and_b32_e32 v67, 0x80, v5
                                        ; implicit-def: $vgpr64
	s_mov_b32 s10, exec_lo
	s_delay_alu instid0(VALU_DEP_2)
	v_cmpx_gt_u64_e32 0x47600001, v[62:63]
	s_xor_b32 s40, exec_lo, s10
	s_cbranch_execz .LBB6_3929
; %bb.3920:                             ;   in Loop: Header=BB6_130 Depth=2
	v_mov_b32_e32 v64, 0
	s_mov_b32 s41, exec_lo
	v_cmpx_ne_u32_e32 0, v4
	s_cbranch_execz .LBB6_3928
; %bb.3921:                             ;   in Loop: Header=BB6_130 Depth=2
	v_bfe_u32 v64, v4, 23, 8
	v_or_b32_e32 v5, 0x800000, v2
	s_delay_alu instid0(VALU_DEP_2) | instskip(SKIP_2) | instid1(VALU_DEP_2)
	v_cmp_gt_u32_e64 s10, 0x72, v64
	v_sub_nc_u32_e32 v4, 0x71, v64
	v_cmp_eq_u32_e32 vcc_lo, 0, v64
	v_dual_cndmask_b32 v4, 0, v4, s10 :: v_dual_cndmask_b32 v2, v5, v2, vcc_lo
	s_delay_alu instid0(VALU_DEP_1) | instskip(NEXT) | instid1(VALU_DEP_1)
	v_cndmask_b32_e64 v71, v4, 0x70, vcc_lo
	v_dual_add_nc_u32 v4, 21, v71 :: v_dual_add_nc_u32 v83, 20, v71
	s_delay_alu instid0(VALU_DEP_1) | instskip(NEXT) | instid1(VALU_DEP_2)
	v_lshlrev_b64_e64 v[4:5], v4, -1
	v_lshlrev_b64_e64 v[62:63], v83, 1
	s_delay_alu instid0(VALU_DEP_2) | instskip(SKIP_1) | instid1(VALU_DEP_4)
	v_bfi_b32 v4, v4, 0, v2
	v_lshrrev_b64 v[2:3], v71, v[2:3]
	v_bfi_b32 v5, v5, 0, 0
	s_delay_alu instid0(VALU_DEP_1) | instskip(NEXT) | instid1(VALU_DEP_3)
	v_cmp_eq_u64_e64 s10, v[4:5], v[62:63]
	v_mov_b64_e32 v[4:5], v[2:3]
	s_and_saveexec_b32 s42, s10
; %bb.3922:                             ;   in Loop: Header=BB6_130 Depth=2
	v_bfe_u32 v4, v2, 21, 1
	v_mov_b32_e32 v5, v1
	s_delay_alu instid0(VALU_DEP_1) | instskip(NEXT) | instid1(VALU_DEP_1)
	v_add_nc_u64_e32 v[4:5], v[2:3], v[4:5]
	v_add_nc_u64_e32 v[4:5], -1, v[4:5]
; %bb.3923:                             ;   in Loop: Header=BB6_130 Depth=2
	s_or_b32 exec_lo, exec_lo, s42
	v_add_nc_u32_e32 v3, 0xffffff81, v64
	v_lshrrev_b32_e32 v5, 23, v2
	s_mov_b32 s10, exec_lo
	s_delay_alu instid0(VALU_DEP_2) | instskip(NEXT) | instid1(VALU_DEP_1)
	v_cndmask_b32_e64 v3, v3, 0xffffff82, vcc_lo
	v_add3_u32 v64, v71, v3, v5
	v_and_b32_e32 v3, 0x1fffff, v4
                                        ; implicit-def: $vgpr4
	s_delay_alu instid0(VALU_DEP_1) | instskip(SKIP_1) | instid1(VALU_DEP_2)
	v_dual_add_nc_u32 v5, 14, v64 :: v_dual_add_nc_u32 v2, v3, v2
	v_mov_b32_e32 v3, v1
	v_cmpx_ne_u32_e32 0, v5
	s_xor_b32 s10, exec_lo, s10
; %bb.3924:                             ;   in Loop: Header=BB6_130 Depth=2
	s_delay_alu instid0(VALU_DEP_2) | instskip(SKIP_1) | instid1(VALU_DEP_1)
	v_cmp_lt_u64_e32 vcc_lo, 0xffffff, v[2:3]
	v_add_nc_u32_e32 v4, 15, v64
	v_cndmask_b32_e32 v4, v5, v4, vcc_lo
	v_cndmask_b32_e64 v5, 0, 1, vcc_lo
	s_delay_alu instid0(VALU_DEP_1)
	v_lshrrev_b64 v[2:3], v5, v[2:3]
; %bb.3925:                             ;   in Loop: Header=BB6_130 Depth=2
	s_and_not1_saveexec_b32 s10, s10
; %bb.3926:                             ;   in Loop: Header=BB6_130 Depth=2
	s_delay_alu instid0(VALU_DEP_1)
	v_bfe_u32 v4, v2, 23, 1
; %bb.3927:                             ;   in Loop: Header=BB6_130 Depth=2
	s_or_b32 exec_lo, exec_lo, s10
	s_delay_alu instid0(VALU_DEP_2) | instskip(NEXT) | instid1(VALU_DEP_2)
	v_lshrrev_b64 v[2:3], 21, v[2:3]
	v_cmp_gt_i32_e32 vcc_lo, 32, v4
	v_min_i32_e32 v5, 31, v4
	v_cmp_eq_u32_e64 s10, 0, v4
	s_delay_alu instid0(VALU_DEP_2) | instskip(SKIP_1) | instid1(VALU_DEP_2)
	v_dual_cndmask_b32 v3, 0, v3, vcc_lo :: v_dual_lshlrev_b32 v5, 2, v5
	v_cndmask_b32_e32 v2, 3, v2, vcc_lo
	v_and_b32_e32 v5, 0xfc, v5
	s_delay_alu instid0(VALU_DEP_2) | instskip(NEXT) | instid1(VALU_DEP_2)
	v_cmp_eq_u64_e32 vcc_lo, 0, v[2:3]
	v_and_or_b32 v2, v2, 3, v5
	s_and_b32 s10, s10, vcc_lo
	s_delay_alu instid0(VALU_DEP_1) | instid1(SALU_CYCLE_1)
	v_cndmask_b32_e64 v2, v2, 0, s10
	s_delay_alu instid0(VALU_DEP_1)
	v_or_b32_e32 v64, v2, v67
.LBB6_3928:                             ;   in Loop: Header=BB6_130 Depth=2
	s_or_b32 exec_lo, exec_lo, s41
                                        ; implicit-def: $vgpr67
.LBB6_3929:                             ;   in Loop: Header=BB6_130 Depth=2
	s_and_not1_saveexec_b32 s10, s40
; %bb.3930:                             ;   in Loop: Header=BB6_130 Depth=2
	v_or_b32_e32 v64, 0x7b, v67
; %bb.3931:                             ;   in Loop: Header=BB6_130 Depth=2
	s_or_b32 exec_lo, exec_lo, s10
                                        ; implicit-def: $vgpr4
                                        ; implicit-def: $vgpr2_vgpr3
                                        ; implicit-def: $vgpr5
.LBB6_3932:                             ;   in Loop: Header=BB6_130 Depth=2
	s_and_not1_saveexec_b32 s10, s29
	s_cbranch_execz .LBB6_3938
; %bb.3933:                             ;   in Loop: Header=BB6_130 Depth=2
	s_mov_b32 s29, exec_lo
                                        ; implicit-def: $vgpr64
	v_cmpx_ne_u64_e32 0, v[2:3]
	s_xor_b32 s29, exec_lo, s29
; %bb.3934:                             ;   in Loop: Header=BB6_130 Depth=2
	v_or_b32_e32 v64, 0x7f, v5
                                        ; implicit-def: $vgpr4
; %bb.3935:                             ;   in Loop: Header=BB6_130 Depth=2
	s_and_not1_saveexec_b32 s29, s29
; %bb.3936:                             ;   in Loop: Header=BB6_130 Depth=2
	v_cmp_lt_i32_e32 vcc_lo, -1, v4
	v_mov_b32_e32 v2, 0x7c
	s_delay_alu instid0(VALU_DEP_1)
	v_cndmask_b32_e32 v64, 0xfc, v2, vcc_lo
; %bb.3937:                             ;   in Loop: Header=BB6_130 Depth=2
	s_or_b32 exec_lo, exec_lo, s29
.LBB6_3938:                             ;   in Loop: Header=BB6_130 Depth=2
	s_delay_alu instid0(SALU_CYCLE_1)
	s_or_b32 exec_lo, exec_lo, s10
	v_dual_mov_b32 v3, 0 :: v_dual_mov_b32 v4, 0
	s_mov_b32 s29, exec_lo
	v_cmpx_lt_u32_e32 0xffffff, v0
	s_cbranch_execz .LBB6_3948
; %bb.3939:                             ;   in Loop: Header=BB6_130 Depth=2
	v_lshrrev_b32_e32 v2, 24, v0
	v_bfrev_b32_e32 v4, 1
	s_mov_b32 s40, exec_lo
	s_delay_alu instid0(VALU_DEP_2)
	v_cmpx_ne_u32_e32 0x80, v2
	s_cbranch_execz .LBB6_3947
; %bb.3940:                             ;   in Loop: Header=BB6_130 Depth=2
	v_and_b32_e32 v4, 0x7c000000, v0
	v_bfe_u32 v5, v0, 24, 2
	s_delay_alu instid0(VALU_DEP_2) | instskip(SKIP_1) | instid1(SALU_CYCLE_1)
	v_cmp_ne_u32_e32 vcc_lo, 0x7c000000, v4
                                        ; implicit-def: $vgpr4
	s_and_saveexec_b32 s10, vcc_lo
	s_xor_b32 s10, exec_lo, s10
	s_cbranch_execz .LBB6_3944
; %bb.3941:                             ;   in Loop: Header=BB6_130 Depth=2
	v_bfe_u32 v4, v0, 26, 5
	s_mov_b32 s41, exec_lo
	s_delay_alu instid0(VALU_DEP_1)
	v_cmpx_eq_u32_e32 0, v4
; %bb.3942:                             ;   in Loop: Header=BB6_130 Depth=2
	v_clz_i32_u32_e32 v4, v5
	s_delay_alu instid0(VALU_DEP_1) | instskip(NEXT) | instid1(VALU_DEP_1)
	v_min_u32_e32 v4, 32, v4
	v_subrev_nc_u32_e32 v5, 29, v4
	s_delay_alu instid0(VALU_DEP_1) | instskip(NEXT) | instid1(VALU_DEP_1)
	v_lshlrev_b64_e32 v[62:63], v5, v[2:3]
	v_dual_sub_nc_u32 v4, 30, v4 :: v_dual_bitop2_b32 v5, 3, v62 bitop3:0x40
; %bb.3943:                             ;   in Loop: Header=BB6_130 Depth=2
	s_or_b32 exec_lo, exec_lo, s41
	v_and_b32_e32 v0, 0x80000000, v0
	s_delay_alu instid0(VALU_DEP_1) | instskip(NEXT) | instid1(VALU_DEP_1)
	v_lshl_add_u32 v0, v4, 23, v0
	v_lshl_or_b32 v0, v5, 21, v0
                                        ; implicit-def: $vgpr5
	s_delay_alu instid0(VALU_DEP_1)
	v_add_nc_u32_e32 v4, 0x38000000, v0
.LBB6_3944:                             ;   in Loop: Header=BB6_130 Depth=2
	s_and_not1_saveexec_b32 s41, s10
; %bb.3945:                             ;   in Loop: Header=BB6_130 Depth=2
	v_cmp_lt_i32_e64 s10, -1, v0
	v_mov_b32_e32 v0, 0x7f800000
	v_cmp_eq_u32_e32 vcc_lo, 0, v5
	s_delay_alu instid0(VALU_DEP_2) | instskip(NEXT) | instid1(VALU_DEP_1)
	v_cndmask_b32_e64 v0, 0xff800000, v0, s10
	v_cndmask_b32_e32 v4, 0x7f800001, v0, vcc_lo
; %bb.3946:                             ;   in Loop: Header=BB6_130 Depth=2
	s_or_b32 exec_lo, exec_lo, s41
.LBB6_3947:                             ;   in Loop: Header=BB6_130 Depth=2
	s_delay_alu instid0(SALU_CYCLE_1)
	s_or_b32 exec_lo, exec_lo, s40
.LBB6_3948:                             ;   in Loop: Header=BB6_130 Depth=2
	s_delay_alu instid0(SALU_CYCLE_1) | instskip(NEXT) | instid1(SALU_CYCLE_1)
	s_or_b32 exec_lo, exec_lo, s29
	s_mov_b32 s29, exec_lo
	v_cmpx_lt_u64_e64 s[12:13], v[16:17]
	s_cbranch_execz .LBB6_3958
; %bb.3949:                             ;   in Loop: Header=BB6_130 Depth=2
	v_lshrrev_b32_e32 v0, 24, v17
	v_bfrev_b32_e32 v3, 1
	s_mov_b32 s40, exec_lo
	s_delay_alu instid0(VALU_DEP_2)
	v_cmpx_ne_u32_e32 0x80, v0
	s_cbranch_execz .LBB6_3957
; %bb.3950:                             ;   in Loop: Header=BB6_130 Depth=2
	v_and_b32_e32 v3, 0x7c000000, v17
	v_bfe_u32 v2, v17, 24, 2
	s_delay_alu instid0(VALU_DEP_2) | instskip(SKIP_1) | instid1(SALU_CYCLE_1)
	v_cmp_ne_u32_e32 vcc_lo, 0x7c000000, v3
                                        ; implicit-def: $vgpr3
	s_and_saveexec_b32 s10, vcc_lo
	s_xor_b32 s10, exec_lo, s10
	s_cbranch_execz .LBB6_3954
; %bb.3951:                             ;   in Loop: Header=BB6_130 Depth=2
	v_bfe_u32 v3, v17, 26, 5
	s_mov_b32 s41, exec_lo
	s_delay_alu instid0(VALU_DEP_1)
	v_cmpx_eq_u32_e32 0, v3
; %bb.3952:                             ;   in Loop: Header=BB6_130 Depth=2
	v_clz_i32_u32_e32 v2, v2
	s_delay_alu instid0(VALU_DEP_1) | instskip(NEXT) | instid1(VALU_DEP_1)
	v_min_u32_e32 v5, 32, v2
	v_subrev_nc_u32_e32 v2, 29, v5
	s_delay_alu instid0(VALU_DEP_1) | instskip(NEXT) | instid1(VALU_DEP_1)
	v_lshlrev_b64_e32 v[2:3], v2, v[0:1]
	v_dual_sub_nc_u32 v3, 30, v5 :: v_dual_bitop2_b32 v2, 3, v2 bitop3:0x40
; %bb.3953:                             ;   in Loop: Header=BB6_130 Depth=2
	s_or_b32 exec_lo, exec_lo, s41
	v_and_b32_e32 v0, 0x80000000, v17
                                        ; implicit-def: $vgpr16_vgpr17
	s_delay_alu instid0(VALU_DEP_1) | instskip(NEXT) | instid1(VALU_DEP_1)
	v_lshl_add_u32 v0, v3, 23, v0
	v_lshl_or_b32 v0, v2, 21, v0
                                        ; implicit-def: $vgpr2
	s_delay_alu instid0(VALU_DEP_1)
	v_add_nc_u32_e32 v3, 0x38000000, v0
.LBB6_3954:                             ;   in Loop: Header=BB6_130 Depth=2
	s_and_not1_saveexec_b32 s41, s10
; %bb.3955:                             ;   in Loop: Header=BB6_130 Depth=2
	v_cmp_lt_i64_e64 s10, -1, v[16:17]
	v_mov_b32_e32 v0, 0x7f800000
	v_cmp_eq_u32_e32 vcc_lo, 0, v2
	s_delay_alu instid0(VALU_DEP_2) | instskip(NEXT) | instid1(VALU_DEP_1)
	v_cndmask_b32_e64 v0, 0xff800000, v0, s10
	v_cndmask_b32_e32 v3, 0x7f800001, v0, vcc_lo
; %bb.3956:                             ;   in Loop: Header=BB6_130 Depth=2
	s_or_b32 exec_lo, exec_lo, s41
.LBB6_3957:                             ;   in Loop: Header=BB6_130 Depth=2
	s_delay_alu instid0(SALU_CYCLE_1)
	s_or_b32 exec_lo, exec_lo, s40
.LBB6_3958:                             ;   in Loop: Header=BB6_130 Depth=2
	s_delay_alu instid0(SALU_CYCLE_1) | instskip(NEXT) | instid1(VALU_DEP_1)
	s_or_b32 exec_lo, exec_lo, s29
	v_dual_add_f32 v2, v4, v3 :: v_dual_mov_b32 v5, v1
                                        ; implicit-def: $vgpr16
	s_mov_b32 s10, exec_lo
	s_delay_alu instid0(VALU_DEP_1) | instskip(SKIP_2) | instid1(VALU_DEP_3)
	v_and_b32_e32 v4, 0x7f800000, v2
	v_and_b32_e32 v0, 0x7fffff, v2
	v_lshrrev_b32_e32 v3, 24, v2
	v_cmpx_ne_u64_e32 0x7f800000, v[4:5]
	s_xor_b32 s29, exec_lo, s10
	s_cbranch_execz .LBB6_3972
; %bb.3959:                             ;   in Loop: Header=BB6_130 Depth=2
	v_and_b32_e32 v4, 0x7fffffff, v2
	v_mov_b32_e32 v5, v1
	v_and_b32_e32 v17, 0x80, v3
                                        ; implicit-def: $vgpr16
	s_mov_b32 s10, exec_lo
	s_delay_alu instid0(VALU_DEP_2)
	v_cmpx_gt_u64_e32 0x47600001, v[4:5]
	s_xor_b32 s40, exec_lo, s10
	s_cbranch_execz .LBB6_3969
; %bb.3960:                             ;   in Loop: Header=BB6_130 Depth=2
	v_mov_b32_e32 v16, 0
	s_mov_b32 s41, exec_lo
	v_cmpx_ne_u32_e32 0, v2
	s_cbranch_execz .LBB6_3968
; %bb.3961:                             ;   in Loop: Header=BB6_130 Depth=2
	v_bfe_u32 v16, v2, 23, 8
	v_or_b32_e32 v3, 0x800000, v0
	s_delay_alu instid0(VALU_DEP_2) | instskip(SKIP_2) | instid1(VALU_DEP_2)
	v_cmp_gt_u32_e64 s10, 0x72, v16
	v_sub_nc_u32_e32 v2, 0x71, v16
	v_cmp_eq_u32_e32 vcc_lo, 0, v16
	v_cndmask_b32_e64 v2, 0, v2, s10
	s_delay_alu instid0(VALU_DEP_1) | instskip(SKIP_1) | instid1(VALU_DEP_2)
	v_cndmask_b32_e64 v67, v2, 0x70, vcc_lo
	v_dual_cndmask_b32 v2, v3, v0 :: v_dual_mov_b32 v3, v1
	v_add_nc_u32_e32 v0, 21, v67
	s_delay_alu instid0(VALU_DEP_1) | instskip(SKIP_1) | instid1(VALU_DEP_1)
	v_lshlrev_b64_e64 v[4:5], v0, -1
	v_add_nc_u32_e32 v0, 20, v67
	v_lshlrev_b64_e64 v[62:63], v0, 1
	s_delay_alu instid0(VALU_DEP_3) | instskip(SKIP_2) | instid1(VALU_DEP_1)
	v_bfi_b32 v4, v4, 0, v2
	v_lshrrev_b64 v[2:3], v67, v[2:3]
	v_bfi_b32 v5, v5, 0, 0
	v_cmp_eq_u64_e64 s10, v[4:5], v[62:63]
	s_delay_alu instid0(VALU_DEP_3)
	v_mov_b64_e32 v[4:5], v[2:3]
	s_and_saveexec_b32 s42, s10
; %bb.3962:                             ;   in Loop: Header=BB6_130 Depth=2
	v_bfe_u32 v4, v2, 21, 1
	v_mov_b32_e32 v5, v1
	s_delay_alu instid0(VALU_DEP_1) | instskip(NEXT) | instid1(VALU_DEP_1)
	v_add_nc_u64_e32 v[4:5], v[2:3], v[4:5]
	v_add_nc_u64_e32 v[4:5], -1, v[4:5]
; %bb.3963:                             ;   in Loop: Header=BB6_130 Depth=2
	s_or_b32 exec_lo, exec_lo, s42
	v_add_nc_u32_e32 v0, 0xffffff81, v16
	s_delay_alu instid0(VALU_DEP_2) | instskip(SKIP_2) | instid1(VALU_DEP_3)
	v_and_b32_e32 v4, 0x1fffff, v4
	v_lshrrev_b32_e32 v3, 23, v2
	s_mov_b32 s10, exec_lo
	v_cndmask_b32_e64 v0, v0, 0xffffff82, vcc_lo
	s_delay_alu instid0(VALU_DEP_1) | instskip(SKIP_1) | instid1(VALU_DEP_2)
	v_add3_u32 v16, v67, v0, v3
	v_add_nc_u32_e32 v0, v4, v2
                                        ; implicit-def: $vgpr2_vgpr3
                                        ; implicit-def: $vgpr4
	v_add_nc_u32_e32 v5, 14, v16
	s_delay_alu instid0(VALU_DEP_1)
	v_cmpx_ne_u32_e32 0, v5
	s_xor_b32 s10, exec_lo, s10
; %bb.3964:                             ;   in Loop: Header=BB6_130 Depth=2
	s_delay_alu instid0(VALU_DEP_3) | instskip(SKIP_1) | instid1(VALU_DEP_1)
	v_cmp_lt_u64_e32 vcc_lo, 0xffffff, v[0:1]
	v_add_nc_u32_e32 v2, 15, v16
	v_cndmask_b32_e32 v4, v5, v2, vcc_lo
	v_cndmask_b32_e64 v2, 0, 1, vcc_lo
	s_delay_alu instid0(VALU_DEP_1)
	v_lshrrev_b64 v[2:3], v2, v[0:1]
; %bb.3965:                             ;   in Loop: Header=BB6_130 Depth=2
	s_and_not1_saveexec_b32 s10, s10
; %bb.3966:                             ;   in Loop: Header=BB6_130 Depth=2
	v_mov_b64_e32 v[2:3], v[0:1]
	v_bfe_u32 v4, v0, 23, 1
; %bb.3967:                             ;   in Loop: Header=BB6_130 Depth=2
	s_or_b32 exec_lo, exec_lo, s10
	s_delay_alu instid0(VALU_DEP_2) | instskip(NEXT) | instid1(VALU_DEP_2)
	v_lshrrev_b64 v[2:3], 21, v[2:3]
	v_cmp_gt_i32_e32 vcc_lo, 32, v4
	v_min_i32_e32 v0, 31, v4
	v_cmp_eq_u32_e64 s10, 0, v4
	s_delay_alu instid0(VALU_DEP_2) | instskip(SKIP_1) | instid1(VALU_DEP_2)
	v_dual_cndmask_b32 v3, 0, v3 :: v_dual_lshlrev_b32 v0, 2, v0
	v_cndmask_b32_e32 v2, 3, v2, vcc_lo
	v_and_b32_e32 v0, 0xfc, v0
	s_delay_alu instid0(VALU_DEP_2) | instskip(NEXT) | instid1(VALU_DEP_2)
	v_cmp_eq_u64_e32 vcc_lo, 0, v[2:3]
	v_and_or_b32 v0, v2, 3, v0
	s_and_b32 s10, s10, vcc_lo
	s_delay_alu instid0(VALU_DEP_1) | instid1(SALU_CYCLE_1)
	v_cndmask_b32_e64 v0, v0, 0, s10
	s_delay_alu instid0(VALU_DEP_1)
	v_or_b32_e32 v16, v0, v17
.LBB6_3968:                             ;   in Loop: Header=BB6_130 Depth=2
	s_or_b32 exec_lo, exec_lo, s41
                                        ; implicit-def: $vgpr17
.LBB6_3969:                             ;   in Loop: Header=BB6_130 Depth=2
	s_and_not1_saveexec_b32 s10, s40
; %bb.3970:                             ;   in Loop: Header=BB6_130 Depth=2
	v_or_b32_e32 v16, 0x7b, v17
; %bb.3971:                             ;   in Loop: Header=BB6_130 Depth=2
	s_or_b32 exec_lo, exec_lo, s10
                                        ; implicit-def: $vgpr2
                                        ; implicit-def: $vgpr3
.LBB6_3972:                             ;   in Loop: Header=BB6_130 Depth=2
	s_and_not1_saveexec_b32 s10, s29
	s_cbranch_execz .LBB6_3978
; %bb.3973:                             ;   in Loop: Header=BB6_130 Depth=2
	s_mov_b32 s29, exec_lo
                                        ; implicit-def: $vgpr16
	v_cmpx_ne_u64_e32 0, v[0:1]
	s_xor_b32 s29, exec_lo, s29
; %bb.3974:                             ;   in Loop: Header=BB6_130 Depth=2
	v_or_b32_e32 v16, 0x7f, v3
                                        ; implicit-def: $vgpr2
; %bb.3975:                             ;   in Loop: Header=BB6_130 Depth=2
	s_and_not1_saveexec_b32 s29, s29
; %bb.3976:                             ;   in Loop: Header=BB6_130 Depth=2
	v_cmp_lt_i32_e32 vcc_lo, -1, v2
	v_mov_b32_e32 v0, 0x7c
	s_delay_alu instid0(VALU_DEP_1)
	v_cndmask_b32_e32 v16, 0xfc, v0, vcc_lo
; %bb.3977:                             ;   in Loop: Header=BB6_130 Depth=2
	s_or_b32 exec_lo, exec_lo, s29
.LBB6_3978:                             ;   in Loop: Header=BB6_130 Depth=2
	s_delay_alu instid0(SALU_CYCLE_1) | instskip(SKIP_4) | instid1(VALU_DEP_2)
	s_or_b32 exec_lo, exec_lo, s10
	v_lshl_or_b32 v39, v39, 8, v33
	v_dual_lshlrev_b32 v0, 16, v51 :: v_dual_lshlrev_b32 v2, 24, v54
	s_mov_b32 s29, exec_lo
	v_mov_b32_e32 v3, 0
	v_or3_b32 v0, v0, v2, v39
	v_mov_b32_e32 v2, 0
	v_cmpx_ne_u32_e32 0, v33
	s_cbranch_execz .LBB6_3988
; %bb.3979:                             ;   in Loop: Header=BB6_130 Depth=2
	v_bfrev_b32_e32 v3, 1
	s_mov_b32 s40, exec_lo
	v_cmpx_ne_u32_e32 0x80, v33
	s_cbranch_execz .LBB6_3987
; %bb.3980:                             ;   in Loop: Header=BB6_130 Depth=2
	v_and_b32_e32 v3, 0x7c, v33
	v_and_b32_e32 v4, 3, v33
	s_delay_alu instid0(VALU_DEP_2) | instskip(SKIP_1) | instid1(SALU_CYCLE_1)
	v_cmp_ne_u32_e32 vcc_lo, 0x7c, v3
                                        ; implicit-def: $vgpr3
	s_and_saveexec_b32 s10, vcc_lo
	s_xor_b32 s10, exec_lo, s10
	s_cbranch_execz .LBB6_3984
; %bb.3981:                             ;   in Loop: Header=BB6_130 Depth=2
	v_bfe_u32 v3, v33, 2, 5
	s_mov_b32 s41, exec_lo
	s_delay_alu instid0(VALU_DEP_1)
	v_cmpx_eq_u32_e32 0, v3
; %bb.3982:                             ;   in Loop: Header=BB6_130 Depth=2
	v_clz_i32_u32_e32 v3, v4
	s_delay_alu instid0(VALU_DEP_1) | instskip(NEXT) | instid1(VALU_DEP_1)
	v_min_u32_e32 v3, 32, v3
	v_subrev_nc_u32_e32 v4, 29, v3
	s_delay_alu instid0(VALU_DEP_1) | instskip(NEXT) | instid1(VALU_DEP_1)
	v_lshlrev_b64_e32 v[4:5], v4, v[0:1]
	v_dual_sub_nc_u32 v3, 30, v3 :: v_dual_bitop2_b32 v4, 3, v4 bitop3:0x40
; %bb.3983:                             ;   in Loop: Header=BB6_130 Depth=2
	s_or_b32 exec_lo, exec_lo, s41
	v_lshlrev_b32_e32 v5, 24, v33
                                        ; implicit-def: $vgpr33
	s_delay_alu instid0(VALU_DEP_1) | instskip(NEXT) | instid1(VALU_DEP_1)
	v_and_b32_e32 v5, 0x80000000, v5
	v_lshl_add_u32 v3, v3, 23, v5
	s_delay_alu instid0(VALU_DEP_1) | instskip(NEXT) | instid1(VALU_DEP_1)
	v_lshl_or_b32 v3, v4, 21, v3
                                        ; implicit-def: $vgpr4
	v_add_nc_u32_e32 v3, 0x38000000, v3
.LBB6_3984:                             ;   in Loop: Header=BB6_130 Depth=2
	s_and_not1_saveexec_b32 s41, s10
; %bb.3985:                             ;   in Loop: Header=BB6_130 Depth=2
	v_and_b32_e32 v3, 0x80, v33
	v_cmp_eq_u32_e32 vcc_lo, 0, v4
	s_delay_alu instid0(VALU_DEP_2) | instskip(SKIP_1) | instid1(VALU_DEP_1)
	v_cmp_eq_u32_e64 s10, 0, v3
	v_mov_b32_e32 v3, 0x7f800000
	v_cndmask_b32_e64 v3, 0xff800000, v3, s10
	s_delay_alu instid0(VALU_DEP_1)
	v_cndmask_b32_e32 v3, 0x7f800001, v3, vcc_lo
; %bb.3986:                             ;   in Loop: Header=BB6_130 Depth=2
	s_or_b32 exec_lo, exec_lo, s41
.LBB6_3987:                             ;   in Loop: Header=BB6_130 Depth=2
	s_delay_alu instid0(SALU_CYCLE_1)
	s_or_b32 exec_lo, exec_lo, s40
.LBB6_3988:                             ;   in Loop: Header=BB6_130 Depth=2
	s_delay_alu instid0(SALU_CYCLE_1) | instskip(SKIP_3) | instid1(VALU_DEP_1)
	s_or_b32 exec_lo, exec_lo, s29
	s_wait_loadcnt 0x0
	v_and_b32_e32 v4, 0xff, v10
	s_mov_b32 s29, exec_lo
	v_cmpx_ne_u16_e32 0, v4
	s_cbranch_execz .LBB6_3998
; %bb.3989:                             ;   in Loop: Header=BB6_130 Depth=2
	v_bfe_i32 v5, v10, 0, 8
	v_bfrev_b32_e32 v2, 1
	s_mov_b32 s40, exec_lo
	s_delay_alu instid0(VALU_DEP_2)
	v_cmpx_ne_u16_e32 0xff80, v5
	s_cbranch_execz .LBB6_3997
; %bb.3990:                             ;   in Loop: Header=BB6_130 Depth=2
	v_and_b32_e32 v2, 0x7c, v10
	v_and_b32_e32 v4, 3, v10
	s_delay_alu instid0(VALU_DEP_2) | instskip(SKIP_1) | instid1(SALU_CYCLE_1)
	v_cmp_ne_u32_e32 vcc_lo, 0x7c, v2
                                        ; implicit-def: $vgpr2
	s_and_saveexec_b32 s10, vcc_lo
	s_xor_b32 s10, exec_lo, s10
	s_cbranch_execz .LBB6_3994
; %bb.3991:                             ;   in Loop: Header=BB6_130 Depth=2
	v_bfe_u32 v2, v10, 2, 5
	s_mov_b32 s41, exec_lo
	s_delay_alu instid0(VALU_DEP_1)
	v_cmpx_eq_u32_e32 0, v2
; %bb.3992:                             ;   in Loop: Header=BB6_130 Depth=2
	v_clz_i32_u32_e32 v2, v4
	s_delay_alu instid0(VALU_DEP_1) | instskip(NEXT) | instid1(VALU_DEP_1)
	v_min_u32_e32 v2, 32, v2
	v_subrev_nc_u32_e32 v4, 29, v2
	s_delay_alu instid0(VALU_DEP_1) | instskip(NEXT) | instid1(VALU_DEP_1)
	v_lshlrev_b64_e32 v[4:5], v4, v[10:11]
	v_dual_sub_nc_u32 v2, 30, v2 :: v_dual_bitop2_b32 v4, 3, v4 bitop3:0x40
; %bb.3993:                             ;   in Loop: Header=BB6_130 Depth=2
	s_or_b32 exec_lo, exec_lo, s41
	v_lshlrev_b32_e32 v5, 24, v10
	s_delay_alu instid0(VALU_DEP_1) | instskip(NEXT) | instid1(VALU_DEP_1)
	v_and_b32_e32 v5, 0x80000000, v5
	v_lshl_add_u32 v2, v2, 23, v5
                                        ; implicit-def: $vgpr5
	s_delay_alu instid0(VALU_DEP_1) | instskip(NEXT) | instid1(VALU_DEP_1)
	v_lshl_or_b32 v2, v4, 21, v2
                                        ; implicit-def: $vgpr4
	v_add_nc_u32_e32 v2, 0x38000000, v2
.LBB6_3994:                             ;   in Loop: Header=BB6_130 Depth=2
	s_and_not1_saveexec_b32 s41, s10
; %bb.3995:                             ;   in Loop: Header=BB6_130 Depth=2
	v_cmp_lt_i16_e64 s10, -1, v5
	v_mov_b32_e32 v2, 0x7f800000
	v_cmp_eq_u32_e32 vcc_lo, 0, v4
	s_delay_alu instid0(VALU_DEP_2) | instskip(NEXT) | instid1(VALU_DEP_1)
	v_cndmask_b32_e64 v2, 0xff800000, v2, s10
	v_cndmask_b32_e32 v2, 0x7f800001, v2, vcc_lo
; %bb.3996:                             ;   in Loop: Header=BB6_130 Depth=2
	s_or_b32 exec_lo, exec_lo, s41
.LBB6_3997:                             ;   in Loop: Header=BB6_130 Depth=2
	s_delay_alu instid0(SALU_CYCLE_1)
	s_or_b32 exec_lo, exec_lo, s40
.LBB6_3998:                             ;   in Loop: Header=BB6_130 Depth=2
	s_delay_alu instid0(SALU_CYCLE_1) | instskip(NEXT) | instid1(VALU_DEP_1)
	s_or_b32 exec_lo, exec_lo, s29
	v_dual_add_f32 v4, v3, v2 :: v_dual_mov_b32 v63, v1
	v_mov_b32_e32 v3, v1
                                        ; implicit-def: $vgpr17
	s_mov_b32 s10, exec_lo
	s_delay_alu instid0(VALU_DEP_2) | instskip(SKIP_2) | instid1(VALU_DEP_3)
	v_and_b32_e32 v62, 0x7f800000, v4
	v_and_b32_e32 v2, 0x7fffff, v4
	v_lshrrev_b32_e32 v5, 24, v4
	v_cmpx_ne_u64_e32 0x7f800000, v[62:63]
	s_xor_b32 s29, exec_lo, s10
	s_cbranch_execz .LBB6_4012
; %bb.3999:                             ;   in Loop: Header=BB6_130 Depth=2
	v_and_b32_e32 v62, 0x7fffffff, v4
	v_mov_b32_e32 v63, v1
	v_and_b32_e32 v33, 0x80, v5
                                        ; implicit-def: $vgpr17
	s_mov_b32 s10, exec_lo
	s_delay_alu instid0(VALU_DEP_2)
	v_cmpx_gt_u64_e32 0x47600001, v[62:63]
	s_xor_b32 s40, exec_lo, s10
	s_cbranch_execz .LBB6_4009
; %bb.4000:                             ;   in Loop: Header=BB6_130 Depth=2
	v_mov_b32_e32 v17, 0
	s_mov_b32 s41, exec_lo
	v_cmpx_ne_u32_e32 0, v4
	s_cbranch_execz .LBB6_4008
; %bb.4001:                             ;   in Loop: Header=BB6_130 Depth=2
	v_bfe_u32 v17, v4, 23, 8
	v_or_b32_e32 v5, 0x800000, v2
	s_delay_alu instid0(VALU_DEP_2) | instskip(SKIP_2) | instid1(VALU_DEP_2)
	v_cmp_gt_u32_e64 s10, 0x72, v17
	v_sub_nc_u32_e32 v4, 0x71, v17
	v_cmp_eq_u32_e32 vcc_lo, 0, v17
	v_dual_cndmask_b32 v4, 0, v4, s10 :: v_dual_cndmask_b32 v2, v5, v2, vcc_lo
	s_delay_alu instid0(VALU_DEP_1) | instskip(NEXT) | instid1(VALU_DEP_1)
	v_cndmask_b32_e64 v51, v4, 0x70, vcc_lo
	v_dual_add_nc_u32 v4, 21, v51 :: v_dual_add_nc_u32 v54, 20, v51
	s_delay_alu instid0(VALU_DEP_1) | instskip(NEXT) | instid1(VALU_DEP_2)
	v_lshlrev_b64_e64 v[4:5], v4, -1
	v_lshlrev_b64_e64 v[62:63], v54, 1
	s_delay_alu instid0(VALU_DEP_2) | instskip(SKIP_1) | instid1(VALU_DEP_4)
	v_bfi_b32 v4, v4, 0, v2
	v_lshrrev_b64 v[2:3], v51, v[2:3]
	v_bfi_b32 v5, v5, 0, 0
	s_delay_alu instid0(VALU_DEP_1) | instskip(NEXT) | instid1(VALU_DEP_3)
	v_cmp_eq_u64_e64 s10, v[4:5], v[62:63]
	v_mov_b64_e32 v[4:5], v[2:3]
	s_and_saveexec_b32 s42, s10
; %bb.4002:                             ;   in Loop: Header=BB6_130 Depth=2
	v_bfe_u32 v4, v2, 21, 1
	v_mov_b32_e32 v5, v1
	s_delay_alu instid0(VALU_DEP_1) | instskip(NEXT) | instid1(VALU_DEP_1)
	v_add_nc_u64_e32 v[4:5], v[2:3], v[4:5]
	v_add_nc_u64_e32 v[4:5], -1, v[4:5]
; %bb.4003:                             ;   in Loop: Header=BB6_130 Depth=2
	s_or_b32 exec_lo, exec_lo, s42
	v_add_nc_u32_e32 v3, 0xffffff81, v17
	v_lshrrev_b32_e32 v5, 23, v2
	s_mov_b32 s10, exec_lo
	s_delay_alu instid0(VALU_DEP_2) | instskip(NEXT) | instid1(VALU_DEP_1)
	v_cndmask_b32_e64 v3, v3, 0xffffff82, vcc_lo
	v_add3_u32 v17, v51, v3, v5
	v_and_b32_e32 v3, 0x1fffff, v4
                                        ; implicit-def: $vgpr4
	s_delay_alu instid0(VALU_DEP_1) | instskip(SKIP_1) | instid1(VALU_DEP_2)
	v_dual_add_nc_u32 v5, 14, v17 :: v_dual_add_nc_u32 v2, v3, v2
	v_mov_b32_e32 v3, v1
	v_cmpx_ne_u32_e32 0, v5
	s_xor_b32 s10, exec_lo, s10
; %bb.4004:                             ;   in Loop: Header=BB6_130 Depth=2
	s_delay_alu instid0(VALU_DEP_2) | instskip(SKIP_1) | instid1(VALU_DEP_1)
	v_cmp_lt_u64_e32 vcc_lo, 0xffffff, v[2:3]
	v_add_nc_u32_e32 v4, 15, v17
	v_cndmask_b32_e32 v4, v5, v4, vcc_lo
	v_cndmask_b32_e64 v5, 0, 1, vcc_lo
	s_delay_alu instid0(VALU_DEP_1)
	v_lshrrev_b64 v[2:3], v5, v[2:3]
; %bb.4005:                             ;   in Loop: Header=BB6_130 Depth=2
	s_and_not1_saveexec_b32 s10, s10
; %bb.4006:                             ;   in Loop: Header=BB6_130 Depth=2
	s_delay_alu instid0(VALU_DEP_1)
	v_bfe_u32 v4, v2, 23, 1
; %bb.4007:                             ;   in Loop: Header=BB6_130 Depth=2
	s_or_b32 exec_lo, exec_lo, s10
	s_delay_alu instid0(VALU_DEP_2) | instskip(NEXT) | instid1(VALU_DEP_2)
	v_lshrrev_b64 v[2:3], 21, v[2:3]
	v_cmp_gt_i32_e32 vcc_lo, 32, v4
	v_min_i32_e32 v5, 31, v4
	v_cmp_eq_u32_e64 s10, 0, v4
	s_delay_alu instid0(VALU_DEP_2) | instskip(SKIP_1) | instid1(VALU_DEP_2)
	v_dual_cndmask_b32 v3, 0, v3, vcc_lo :: v_dual_lshlrev_b32 v5, 2, v5
	v_cndmask_b32_e32 v2, 3, v2, vcc_lo
	v_and_b32_e32 v5, 0xfc, v5
	s_delay_alu instid0(VALU_DEP_2) | instskip(NEXT) | instid1(VALU_DEP_2)
	v_cmp_eq_u64_e32 vcc_lo, 0, v[2:3]
	v_and_or_b32 v2, v2, 3, v5
	s_and_b32 s10, s10, vcc_lo
	s_delay_alu instid0(VALU_DEP_1) | instid1(SALU_CYCLE_1)
	v_cndmask_b32_e64 v2, v2, 0, s10
	s_delay_alu instid0(VALU_DEP_1)
	v_or_b32_e32 v17, v2, v33
.LBB6_4008:                             ;   in Loop: Header=BB6_130 Depth=2
	s_or_b32 exec_lo, exec_lo, s41
                                        ; implicit-def: $vgpr33
.LBB6_4009:                             ;   in Loop: Header=BB6_130 Depth=2
	s_and_not1_saveexec_b32 s10, s40
; %bb.4010:                             ;   in Loop: Header=BB6_130 Depth=2
	v_or_b32_e32 v17, 0x7b, v33
; %bb.4011:                             ;   in Loop: Header=BB6_130 Depth=2
	s_or_b32 exec_lo, exec_lo, s10
                                        ; implicit-def: $vgpr4
                                        ; implicit-def: $vgpr2_vgpr3
                                        ; implicit-def: $vgpr5
.LBB6_4012:                             ;   in Loop: Header=BB6_130 Depth=2
	s_and_not1_saveexec_b32 s10, s29
	s_cbranch_execz .LBB6_4018
; %bb.4013:                             ;   in Loop: Header=BB6_130 Depth=2
	s_mov_b32 s29, exec_lo
                                        ; implicit-def: $vgpr17
	v_cmpx_ne_u64_e32 0, v[2:3]
	s_xor_b32 s29, exec_lo, s29
; %bb.4014:                             ;   in Loop: Header=BB6_130 Depth=2
	v_or_b32_e32 v17, 0x7f, v5
                                        ; implicit-def: $vgpr4
; %bb.4015:                             ;   in Loop: Header=BB6_130 Depth=2
	s_and_not1_saveexec_b32 s29, s29
; %bb.4016:                             ;   in Loop: Header=BB6_130 Depth=2
	v_cmp_lt_i32_e32 vcc_lo, -1, v4
	v_mov_b32_e32 v2, 0x7c
	s_delay_alu instid0(VALU_DEP_1)
	v_cndmask_b32_e32 v17, 0xfc, v2, vcc_lo
; %bb.4017:                             ;   in Loop: Header=BB6_130 Depth=2
	s_or_b32 exec_lo, exec_lo, s29
.LBB6_4018:                             ;   in Loop: Header=BB6_130 Depth=2
	s_delay_alu instid0(SALU_CYCLE_1) | instskip(SKIP_3) | instid1(VALU_DEP_2)
	s_or_b32 exec_lo, exec_lo, s10
	v_lshrrev_b16 v2, 8, v39
	v_dual_mov_b32 v4, 0 :: v_dual_mov_b32 v5, 0
	s_mov_b32 s29, exec_lo
	v_cmpx_ne_u16_e32 0, v2
	s_cbranch_execz .LBB6_4028
; %bb.4019:                             ;   in Loop: Header=BB6_130 Depth=2
	v_bfrev_b32_e32 v5, 1
	s_mov_b32 s40, exec_lo
	v_cmpx_ne_u16_e32 0x80, v2
	s_cbranch_execz .LBB6_4027
; %bb.4020:                             ;   in Loop: Header=BB6_130 Depth=2
	v_and_b32_e32 v33, 0xffff, v2
	s_delay_alu instid0(VALU_DEP_1) | instskip(SKIP_1) | instid1(VALU_DEP_2)
	v_and_b32_e32 v5, 0x7c, v33
	v_and_b32_e32 v3, 3, v33
	v_cmp_ne_u32_e32 vcc_lo, 0x7c, v5
                                        ; implicit-def: $vgpr5
	s_and_saveexec_b32 s10, vcc_lo
	s_delay_alu instid0(SALU_CYCLE_1)
	s_xor_b32 s10, exec_lo, s10
	s_cbranch_execz .LBB6_4024
; %bb.4021:                             ;   in Loop: Header=BB6_130 Depth=2
	v_bfe_u32 v5, v33, 2, 5
	s_mov_b32 s41, exec_lo
	s_delay_alu instid0(VALU_DEP_1)
	v_cmpx_eq_u32_e32 0, v5
	s_cbranch_execz .LBB6_4023
; %bb.4022:                             ;   in Loop: Header=BB6_130 Depth=2
	v_clz_i32_u32_e32 v3, v3
	s_delay_alu instid0(VALU_DEP_1) | instskip(SKIP_1) | instid1(VALU_DEP_2)
	v_min_u32_e32 v5, 32, v3
	v_mov_b32_e32 v3, v1
	v_subrev_nc_u32_e32 v33, 29, v5
	v_sub_nc_u32_e32 v5, 30, v5
	s_delay_alu instid0(VALU_DEP_2) | instskip(NEXT) | instid1(VALU_DEP_1)
	v_lshlrev_b64_e32 v[2:3], v33, v[2:3]
	v_and_b32_e32 v3, 3, v2
.LBB6_4023:                             ;   in Loop: Header=BB6_130 Depth=2
	s_or_b32 exec_lo, exec_lo, s41
	v_lshlrev_b32_e32 v2, 16, v39
                                        ; implicit-def: $vgpr39
	s_delay_alu instid0(VALU_DEP_1) | instskip(NEXT) | instid1(VALU_DEP_1)
	v_and_b32_e32 v2, 0x80000000, v2
	v_lshl_add_u32 v2, v5, 23, v2
	s_delay_alu instid0(VALU_DEP_1) | instskip(NEXT) | instid1(VALU_DEP_1)
	v_lshl_or_b32 v2, v3, 21, v2
                                        ; implicit-def: $vgpr3
	v_add_nc_u32_e32 v5, 0x38000000, v2
.LBB6_4024:                             ;   in Loop: Header=BB6_130 Depth=2
	s_and_not1_saveexec_b32 s41, s10
; %bb.4025:                             ;   in Loop: Header=BB6_130 Depth=2
	v_cmp_lt_i16_e64 s10, -1, v39
	v_mov_b32_e32 v2, 0x7f800000
	v_cmp_eq_u32_e32 vcc_lo, 0, v3
	s_delay_alu instid0(VALU_DEP_2) | instskip(NEXT) | instid1(VALU_DEP_1)
	v_cndmask_b32_e64 v2, 0xff800000, v2, s10
	v_cndmask_b32_e32 v5, 0x7f800001, v2, vcc_lo
; %bb.4026:                             ;   in Loop: Header=BB6_130 Depth=2
	s_or_b32 exec_lo, exec_lo, s41
.LBB6_4027:                             ;   in Loop: Header=BB6_130 Depth=2
	s_delay_alu instid0(SALU_CYCLE_1)
	s_or_b32 exec_lo, exec_lo, s40
.LBB6_4028:                             ;   in Loop: Header=BB6_130 Depth=2
	s_delay_alu instid0(SALU_CYCLE_1) | instskip(SKIP_2) | instid1(VALU_DEP_1)
	s_or_b32 exec_lo, exec_lo, s29
	v_lshrrev_b16 v2, 8, v10
	s_mov_b32 s29, exec_lo
	v_cmpx_ne_u16_e32 0, v2
	s_cbranch_execz .LBB6_4038
; %bb.4029:                             ;   in Loop: Header=BB6_130 Depth=2
	v_bfrev_b32_e32 v4, 1
	s_mov_b32 s40, exec_lo
	v_cmpx_ne_u16_e32 0x80, v2
	s_cbranch_execz .LBB6_4037
; %bb.4030:                             ;   in Loop: Header=BB6_130 Depth=2
	v_and_b32_e32 v33, 0xffff, v2
	s_delay_alu instid0(VALU_DEP_1) | instskip(SKIP_1) | instid1(VALU_DEP_2)
	v_and_b32_e32 v4, 0x7c, v33
	v_and_b32_e32 v3, 3, v33
	v_cmp_ne_u32_e32 vcc_lo, 0x7c, v4
                                        ; implicit-def: $vgpr4
	s_and_saveexec_b32 s10, vcc_lo
	s_delay_alu instid0(SALU_CYCLE_1)
	s_xor_b32 s10, exec_lo, s10
	s_cbranch_execz .LBB6_4034
; %bb.4031:                             ;   in Loop: Header=BB6_130 Depth=2
	v_bfe_u32 v4, v33, 2, 5
	s_mov_b32 s41, exec_lo
	s_delay_alu instid0(VALU_DEP_1)
	v_cmpx_eq_u32_e32 0, v4
	s_cbranch_execz .LBB6_4033
; %bb.4032:                             ;   in Loop: Header=BB6_130 Depth=2
	v_clz_i32_u32_e32 v3, v3
	s_delay_alu instid0(VALU_DEP_1) | instskip(SKIP_1) | instid1(VALU_DEP_2)
	v_min_u32_e32 v4, 32, v3
	v_mov_b32_e32 v3, v1
	v_subrev_nc_u32_e32 v33, 29, v4
	v_sub_nc_u32_e32 v4, 30, v4
	s_delay_alu instid0(VALU_DEP_2) | instskip(NEXT) | instid1(VALU_DEP_1)
	v_lshlrev_b64_e32 v[2:3], v33, v[2:3]
	v_and_b32_e32 v3, 3, v2
.LBB6_4033:                             ;   in Loop: Header=BB6_130 Depth=2
	s_or_b32 exec_lo, exec_lo, s41
	v_lshlrev_b32_e32 v2, 16, v10
	s_delay_alu instid0(VALU_DEP_1) | instskip(NEXT) | instid1(VALU_DEP_1)
	v_and_b32_e32 v2, 0x80000000, v2
	v_lshl_add_u32 v2, v4, 23, v2
	s_delay_alu instid0(VALU_DEP_1) | instskip(NEXT) | instid1(VALU_DEP_1)
	v_lshl_or_b32 v2, v3, 21, v2
                                        ; implicit-def: $vgpr3
	v_add_nc_u32_e32 v4, 0x38000000, v2
.LBB6_4034:                             ;   in Loop: Header=BB6_130 Depth=2
	s_and_not1_saveexec_b32 s41, s10
; %bb.4035:                             ;   in Loop: Header=BB6_130 Depth=2
	v_cmp_lt_i16_e64 s10, -1, v10
	v_mov_b32_e32 v2, 0x7f800000
	v_cmp_eq_u32_e32 vcc_lo, 0, v3
	s_delay_alu instid0(VALU_DEP_2) | instskip(NEXT) | instid1(VALU_DEP_1)
	v_cndmask_b32_e64 v2, 0xff800000, v2, s10
	v_cndmask_b32_e32 v4, 0x7f800001, v2, vcc_lo
; %bb.4036:                             ;   in Loop: Header=BB6_130 Depth=2
	s_or_b32 exec_lo, exec_lo, s41
.LBB6_4037:                             ;   in Loop: Header=BB6_130 Depth=2
	s_delay_alu instid0(SALU_CYCLE_1)
	s_or_b32 exec_lo, exec_lo, s40
.LBB6_4038:                             ;   in Loop: Header=BB6_130 Depth=2
	s_delay_alu instid0(SALU_CYCLE_1) | instskip(NEXT) | instid1(VALU_DEP_1)
	s_or_b32 exec_lo, exec_lo, s29
	v_add_f32_e32 v4, v5, v4
	v_dual_mov_b32 v63, v1 :: v_dual_mov_b32 v3, v1
                                        ; implicit-def: $vgpr33
	s_mov_b32 s10, exec_lo
	s_delay_alu instid0(VALU_DEP_2) | instskip(SKIP_2) | instid1(VALU_DEP_3)
	v_and_b32_e32 v62, 0x7f800000, v4
	v_and_b32_e32 v2, 0x7fffff, v4
	v_lshrrev_b32_e32 v5, 24, v4
	v_cmpx_ne_u64_e32 0x7f800000, v[62:63]
	s_xor_b32 s29, exec_lo, s10
	s_cbranch_execz .LBB6_4052
; %bb.4039:                             ;   in Loop: Header=BB6_130 Depth=2
	v_and_b32_e32 v62, 0x7fffffff, v4
	v_mov_b32_e32 v63, v1
	v_and_b32_e32 v39, 0x80, v5
                                        ; implicit-def: $vgpr33
	s_mov_b32 s10, exec_lo
	s_delay_alu instid0(VALU_DEP_2)
	v_cmpx_gt_u64_e32 0x47600001, v[62:63]
	s_xor_b32 s40, exec_lo, s10
	s_cbranch_execz .LBB6_4049
; %bb.4040:                             ;   in Loop: Header=BB6_130 Depth=2
	v_mov_b32_e32 v33, 0
	s_mov_b32 s41, exec_lo
	v_cmpx_ne_u32_e32 0, v4
	s_cbranch_execz .LBB6_4048
; %bb.4041:                             ;   in Loop: Header=BB6_130 Depth=2
	v_bfe_u32 v33, v4, 23, 8
	v_or_b32_e32 v5, 0x800000, v2
	s_delay_alu instid0(VALU_DEP_2) | instskip(SKIP_2) | instid1(VALU_DEP_2)
	v_cmp_gt_u32_e64 s10, 0x72, v33
	v_sub_nc_u32_e32 v4, 0x71, v33
	v_cmp_eq_u32_e32 vcc_lo, 0, v33
	v_dual_cndmask_b32 v4, 0, v4, s10 :: v_dual_cndmask_b32 v2, v5, v2, vcc_lo
	s_delay_alu instid0(VALU_DEP_1) | instskip(NEXT) | instid1(VALU_DEP_1)
	v_cndmask_b32_e64 v51, v4, 0x70, vcc_lo
	v_dual_add_nc_u32 v4, 21, v51 :: v_dual_add_nc_u32 v54, 20, v51
	s_delay_alu instid0(VALU_DEP_1) | instskip(NEXT) | instid1(VALU_DEP_2)
	v_lshlrev_b64_e64 v[4:5], v4, -1
	v_lshlrev_b64_e64 v[62:63], v54, 1
	s_delay_alu instid0(VALU_DEP_2) | instskip(SKIP_1) | instid1(VALU_DEP_4)
	v_bfi_b32 v4, v4, 0, v2
	v_lshrrev_b64 v[2:3], v51, v[2:3]
	v_bfi_b32 v5, v5, 0, 0
	s_delay_alu instid0(VALU_DEP_1) | instskip(NEXT) | instid1(VALU_DEP_3)
	v_cmp_eq_u64_e64 s10, v[4:5], v[62:63]
	v_mov_b64_e32 v[4:5], v[2:3]
	s_and_saveexec_b32 s42, s10
; %bb.4042:                             ;   in Loop: Header=BB6_130 Depth=2
	v_bfe_u32 v4, v2, 21, 1
	v_mov_b32_e32 v5, v1
	s_delay_alu instid0(VALU_DEP_1) | instskip(NEXT) | instid1(VALU_DEP_1)
	v_add_nc_u64_e32 v[4:5], v[2:3], v[4:5]
	v_add_nc_u64_e32 v[4:5], -1, v[4:5]
; %bb.4043:                             ;   in Loop: Header=BB6_130 Depth=2
	s_or_b32 exec_lo, exec_lo, s42
	v_add_nc_u32_e32 v3, 0xffffff81, v33
	v_lshrrev_b32_e32 v5, 23, v2
	s_mov_b32 s10, exec_lo
	s_delay_alu instid0(VALU_DEP_2) | instskip(NEXT) | instid1(VALU_DEP_1)
	v_cndmask_b32_e64 v3, v3, 0xffffff82, vcc_lo
	v_add3_u32 v33, v51, v3, v5
	v_and_b32_e32 v3, 0x1fffff, v4
                                        ; implicit-def: $vgpr4
	s_delay_alu instid0(VALU_DEP_1) | instskip(SKIP_1) | instid1(VALU_DEP_2)
	v_dual_add_nc_u32 v5, 14, v33 :: v_dual_add_nc_u32 v2, v3, v2
	v_mov_b32_e32 v3, v1
	v_cmpx_ne_u32_e32 0, v5
	s_xor_b32 s10, exec_lo, s10
; %bb.4044:                             ;   in Loop: Header=BB6_130 Depth=2
	s_delay_alu instid0(VALU_DEP_2) | instskip(SKIP_1) | instid1(VALU_DEP_1)
	v_cmp_lt_u64_e32 vcc_lo, 0xffffff, v[2:3]
	v_add_nc_u32_e32 v4, 15, v33
	v_cndmask_b32_e32 v4, v5, v4, vcc_lo
	v_cndmask_b32_e64 v5, 0, 1, vcc_lo
	s_delay_alu instid0(VALU_DEP_1)
	v_lshrrev_b64 v[2:3], v5, v[2:3]
; %bb.4045:                             ;   in Loop: Header=BB6_130 Depth=2
	s_and_not1_saveexec_b32 s10, s10
; %bb.4046:                             ;   in Loop: Header=BB6_130 Depth=2
	s_delay_alu instid0(VALU_DEP_1)
	v_bfe_u32 v4, v2, 23, 1
; %bb.4047:                             ;   in Loop: Header=BB6_130 Depth=2
	s_or_b32 exec_lo, exec_lo, s10
	s_delay_alu instid0(VALU_DEP_2) | instskip(NEXT) | instid1(VALU_DEP_2)
	v_lshrrev_b64 v[2:3], 21, v[2:3]
	v_cmp_gt_i32_e32 vcc_lo, 32, v4
	v_min_i32_e32 v5, 31, v4
	v_cmp_eq_u32_e64 s10, 0, v4
	s_delay_alu instid0(VALU_DEP_2) | instskip(SKIP_1) | instid1(VALU_DEP_2)
	v_dual_cndmask_b32 v3, 0, v3, vcc_lo :: v_dual_lshlrev_b32 v5, 2, v5
	v_cndmask_b32_e32 v2, 3, v2, vcc_lo
	v_and_b32_e32 v5, 0xfc, v5
	s_delay_alu instid0(VALU_DEP_2) | instskip(NEXT) | instid1(VALU_DEP_2)
	v_cmp_eq_u64_e32 vcc_lo, 0, v[2:3]
	v_and_or_b32 v2, v2, 3, v5
	s_and_b32 s10, s10, vcc_lo
	s_delay_alu instid0(VALU_DEP_1) | instid1(SALU_CYCLE_1)
	v_cndmask_b32_e64 v2, v2, 0, s10
	s_delay_alu instid0(VALU_DEP_1)
	v_or_b32_e32 v33, v2, v39
.LBB6_4048:                             ;   in Loop: Header=BB6_130 Depth=2
	s_or_b32 exec_lo, exec_lo, s41
                                        ; implicit-def: $vgpr39
.LBB6_4049:                             ;   in Loop: Header=BB6_130 Depth=2
	s_and_not1_saveexec_b32 s10, s40
; %bb.4050:                             ;   in Loop: Header=BB6_130 Depth=2
	v_or_b32_e32 v33, 0x7b, v39
; %bb.4051:                             ;   in Loop: Header=BB6_130 Depth=2
	s_or_b32 exec_lo, exec_lo, s10
                                        ; implicit-def: $vgpr4
                                        ; implicit-def: $vgpr2_vgpr3
                                        ; implicit-def: $vgpr5
.LBB6_4052:                             ;   in Loop: Header=BB6_130 Depth=2
	s_and_not1_saveexec_b32 s10, s29
	s_cbranch_execz .LBB6_4058
; %bb.4053:                             ;   in Loop: Header=BB6_130 Depth=2
	s_mov_b32 s29, exec_lo
                                        ; implicit-def: $vgpr33
	v_cmpx_ne_u64_e32 0, v[2:3]
	s_xor_b32 s29, exec_lo, s29
; %bb.4054:                             ;   in Loop: Header=BB6_130 Depth=2
	v_or_b32_e32 v33, 0x7f, v5
                                        ; implicit-def: $vgpr4
; %bb.4055:                             ;   in Loop: Header=BB6_130 Depth=2
	s_and_not1_saveexec_b32 s29, s29
; %bb.4056:                             ;   in Loop: Header=BB6_130 Depth=2
	v_cmp_lt_i32_e32 vcc_lo, -1, v4
	v_mov_b32_e32 v2, 0x7c
	s_delay_alu instid0(VALU_DEP_1)
	v_cndmask_b32_e32 v33, 0xfc, v2, vcc_lo
; %bb.4057:                             ;   in Loop: Header=BB6_130 Depth=2
	s_or_b32 exec_lo, exec_lo, s29
.LBB6_4058:                             ;   in Loop: Header=BB6_130 Depth=2
	s_delay_alu instid0(SALU_CYCLE_1) | instskip(SKIP_3) | instid1(VALU_DEP_2)
	s_or_b32 exec_lo, exec_lo, s10
	v_dual_mov_b32 v3, 0 :: v_dual_lshrrev_b32 v2, 16, v0
	v_mov_b32_e32 v4, 0
	s_mov_b32 s29, exec_lo
	v_and_b32_e32 v5, 0xff, v2
	s_delay_alu instid0(VALU_DEP_1)
	v_cmpx_ne_u16_e32 0, v5
	s_cbranch_execz .LBB6_4068
; %bb.4059:                             ;   in Loop: Header=BB6_130 Depth=2
	v_bfrev_b32_e32 v4, 1
	s_mov_b32 s40, exec_lo
	v_cmpx_ne_u16_e32 0x80, v5
	s_cbranch_execz .LBB6_4067
; %bb.4060:                             ;   in Loop: Header=BB6_130 Depth=2
	v_and_b32_e32 v4, 0x7c0000, v0
	v_bfe_u32 v5, v0, 16, 2
	s_delay_alu instid0(VALU_DEP_2) | instskip(SKIP_1) | instid1(SALU_CYCLE_1)
	v_cmp_ne_u32_e32 vcc_lo, 0x7c0000, v4
                                        ; implicit-def: $vgpr4
	s_and_saveexec_b32 s10, vcc_lo
	s_xor_b32 s10, exec_lo, s10
	s_cbranch_execz .LBB6_4064
; %bb.4061:                             ;   in Loop: Header=BB6_130 Depth=2
	v_bfe_u32 v4, v0, 18, 5
	s_mov_b32 s41, exec_lo
	s_delay_alu instid0(VALU_DEP_1)
	v_cmpx_eq_u32_e32 0, v4
; %bb.4062:                             ;   in Loop: Header=BB6_130 Depth=2
	v_clz_i32_u32_e32 v4, v5
	s_delay_alu instid0(VALU_DEP_1) | instskip(NEXT) | instid1(VALU_DEP_1)
	v_min_u32_e32 v4, 32, v4
	v_subrev_nc_u32_e32 v5, 29, v4
	s_delay_alu instid0(VALU_DEP_1) | instskip(NEXT) | instid1(VALU_DEP_1)
	v_lshlrev_b64_e32 v[62:63], v5, v[2:3]
	v_dual_sub_nc_u32 v4, 30, v4 :: v_dual_bitop2_b32 v5, 3, v62 bitop3:0x40
; %bb.4063:                             ;   in Loop: Header=BB6_130 Depth=2
	s_or_b32 exec_lo, exec_lo, s41
	v_lshlrev_b32_e32 v2, 24, v2
	s_delay_alu instid0(VALU_DEP_1) | instskip(NEXT) | instid1(VALU_DEP_1)
	v_and_b32_e32 v2, 0x80000000, v2
	v_lshl_add_u32 v2, v4, 23, v2
	s_delay_alu instid0(VALU_DEP_1) | instskip(NEXT) | instid1(VALU_DEP_1)
	v_lshl_or_b32 v2, v5, 21, v2
                                        ; implicit-def: $vgpr5
	v_add_nc_u32_e32 v4, 0x38000000, v2
                                        ; implicit-def: $vgpr2
.LBB6_4064:                             ;   in Loop: Header=BB6_130 Depth=2
	s_and_not1_saveexec_b32 s41, s10
; %bb.4065:                             ;   in Loop: Header=BB6_130 Depth=2
	v_bfe_i32 v2, v2, 0, 8
	v_cmp_eq_u32_e32 vcc_lo, 0, v5
	s_delay_alu instid0(VALU_DEP_2) | instskip(SKIP_1) | instid1(VALU_DEP_1)
	v_cmp_lt_i16_e64 s10, -1, v2
	v_mov_b32_e32 v2, 0x7f800000
	v_cndmask_b32_e64 v2, 0xff800000, v2, s10
	s_delay_alu instid0(VALU_DEP_1)
	v_cndmask_b32_e32 v4, 0x7f800001, v2, vcc_lo
; %bb.4066:                             ;   in Loop: Header=BB6_130 Depth=2
	s_or_b32 exec_lo, exec_lo, s41
.LBB6_4067:                             ;   in Loop: Header=BB6_130 Depth=2
	s_delay_alu instid0(SALU_CYCLE_1)
	s_or_b32 exec_lo, exec_lo, s40
.LBB6_4068:                             ;   in Loop: Header=BB6_130 Depth=2
	s_delay_alu instid0(SALU_CYCLE_1) | instskip(SKIP_2) | instid1(VALU_DEP_1)
	s_or_b32 exec_lo, exec_lo, s29
	v_lshrrev_b32_e32 v2, 16, v10
	s_mov_b32 s29, exec_lo
	v_and_b32_e32 v5, 0xff, v2
	s_delay_alu instid0(VALU_DEP_1)
	v_cmpx_ne_u16_e32 0, v5
	s_cbranch_execz .LBB6_4078
; %bb.4069:                             ;   in Loop: Header=BB6_130 Depth=2
	v_bfrev_b32_e32 v3, 1
	s_mov_b32 s40, exec_lo
	v_cmpx_ne_u16_e32 0x80, v5
	s_cbranch_execz .LBB6_4077
; %bb.4070:                             ;   in Loop: Header=BB6_130 Depth=2
	v_and_b32_e32 v3, 0x7c0000, v10
	v_bfe_u32 v5, v10, 16, 2
	s_delay_alu instid0(VALU_DEP_2) | instskip(SKIP_1) | instid1(SALU_CYCLE_1)
	v_cmp_ne_u32_e32 vcc_lo, 0x7c0000, v3
                                        ; implicit-def: $vgpr3
	s_and_saveexec_b32 s10, vcc_lo
	s_xor_b32 s10, exec_lo, s10
	s_cbranch_execz .LBB6_4074
; %bb.4071:                             ;   in Loop: Header=BB6_130 Depth=2
	v_bfe_u32 v3, v10, 18, 5
	s_mov_b32 s41, exec_lo
	s_delay_alu instid0(VALU_DEP_1)
	v_cmpx_eq_u32_e32 0, v3
; %bb.4072:                             ;   in Loop: Header=BB6_130 Depth=2
	v_clz_i32_u32_e32 v3, v5
	s_delay_alu instid0(VALU_DEP_1) | instskip(NEXT) | instid1(VALU_DEP_1)
	v_min_u32_e32 v3, 32, v3
	v_subrev_nc_u32_e32 v5, 29, v3
	s_delay_alu instid0(VALU_DEP_1) | instskip(NEXT) | instid1(VALU_DEP_1)
	v_lshlrev_b64_e32 v[62:63], v5, v[2:3]
	v_dual_sub_nc_u32 v3, 30, v3 :: v_dual_bitop2_b32 v5, 3, v62 bitop3:0x40
; %bb.4073:                             ;   in Loop: Header=BB6_130 Depth=2
	s_or_b32 exec_lo, exec_lo, s41
	v_lshlrev_b32_e32 v2, 24, v2
	s_delay_alu instid0(VALU_DEP_1) | instskip(NEXT) | instid1(VALU_DEP_1)
	v_and_b32_e32 v2, 0x80000000, v2
	v_lshl_add_u32 v2, v3, 23, v2
	s_delay_alu instid0(VALU_DEP_1) | instskip(NEXT) | instid1(VALU_DEP_1)
	v_lshl_or_b32 v2, v5, 21, v2
                                        ; implicit-def: $vgpr5
	v_add_nc_u32_e32 v3, 0x38000000, v2
                                        ; implicit-def: $vgpr2
.LBB6_4074:                             ;   in Loop: Header=BB6_130 Depth=2
	s_and_not1_saveexec_b32 s41, s10
; %bb.4075:                             ;   in Loop: Header=BB6_130 Depth=2
	v_bfe_i32 v2, v2, 0, 8
	v_cmp_eq_u32_e32 vcc_lo, 0, v5
	s_delay_alu instid0(VALU_DEP_2) | instskip(SKIP_1) | instid1(VALU_DEP_1)
	v_cmp_lt_i16_e64 s10, -1, v2
	v_mov_b32_e32 v2, 0x7f800000
	v_cndmask_b32_e64 v2, 0xff800000, v2, s10
	s_delay_alu instid0(VALU_DEP_1)
	v_cndmask_b32_e32 v3, 0x7f800001, v2, vcc_lo
; %bb.4076:                             ;   in Loop: Header=BB6_130 Depth=2
	s_or_b32 exec_lo, exec_lo, s41
.LBB6_4077:                             ;   in Loop: Header=BB6_130 Depth=2
	s_delay_alu instid0(SALU_CYCLE_1)
	s_or_b32 exec_lo, exec_lo, s40
.LBB6_4078:                             ;   in Loop: Header=BB6_130 Depth=2
	s_delay_alu instid0(SALU_CYCLE_1) | instskip(NEXT) | instid1(VALU_DEP_1)
	s_or_b32 exec_lo, exec_lo, s29
	v_dual_add_f32 v4, v4, v3 :: v_dual_mov_b32 v63, v1
	v_mov_b32_e32 v3, v1
                                        ; implicit-def: $vgpr39
	s_mov_b32 s10, exec_lo
	s_delay_alu instid0(VALU_DEP_2) | instskip(SKIP_2) | instid1(VALU_DEP_3)
	v_and_b32_e32 v62, 0x7f800000, v4
	v_and_b32_e32 v2, 0x7fffff, v4
	v_lshrrev_b32_e32 v5, 24, v4
	v_cmpx_ne_u64_e32 0x7f800000, v[62:63]
	s_xor_b32 s29, exec_lo, s10
	s_cbranch_execz .LBB6_4092
; %bb.4079:                             ;   in Loop: Header=BB6_130 Depth=2
	v_and_b32_e32 v62, 0x7fffffff, v4
	v_mov_b32_e32 v63, v1
	v_and_b32_e32 v51, 0x80, v5
                                        ; implicit-def: $vgpr39
	s_mov_b32 s10, exec_lo
	s_delay_alu instid0(VALU_DEP_2)
	v_cmpx_gt_u64_e32 0x47600001, v[62:63]
	s_xor_b32 s40, exec_lo, s10
	s_cbranch_execz .LBB6_4089
; %bb.4080:                             ;   in Loop: Header=BB6_130 Depth=2
	v_mov_b32_e32 v39, 0
	s_mov_b32 s41, exec_lo
	v_cmpx_ne_u32_e32 0, v4
	s_cbranch_execz .LBB6_4088
; %bb.4081:                             ;   in Loop: Header=BB6_130 Depth=2
	v_bfe_u32 v39, v4, 23, 8
	v_or_b32_e32 v5, 0x800000, v2
	s_delay_alu instid0(VALU_DEP_2) | instskip(SKIP_2) | instid1(VALU_DEP_2)
	v_cmp_gt_u32_e64 s10, 0x72, v39
	v_sub_nc_u32_e32 v4, 0x71, v39
	v_cmp_eq_u32_e32 vcc_lo, 0, v39
	v_dual_cndmask_b32 v4, 0, v4, s10 :: v_dual_cndmask_b32 v2, v5, v2, vcc_lo
	s_delay_alu instid0(VALU_DEP_1) | instskip(NEXT) | instid1(VALU_DEP_1)
	v_cndmask_b32_e64 v54, v4, 0x70, vcc_lo
	v_dual_add_nc_u32 v4, 21, v54 :: v_dual_add_nc_u32 v67, 20, v54
	s_delay_alu instid0(VALU_DEP_1) | instskip(NEXT) | instid1(VALU_DEP_2)
	v_lshlrev_b64_e64 v[4:5], v4, -1
	v_lshlrev_b64_e64 v[62:63], v67, 1
	s_delay_alu instid0(VALU_DEP_2) | instskip(SKIP_1) | instid1(VALU_DEP_4)
	v_bfi_b32 v4, v4, 0, v2
	v_lshrrev_b64 v[2:3], v54, v[2:3]
	v_bfi_b32 v5, v5, 0, 0
	s_delay_alu instid0(VALU_DEP_1) | instskip(NEXT) | instid1(VALU_DEP_3)
	v_cmp_eq_u64_e64 s10, v[4:5], v[62:63]
	v_mov_b64_e32 v[4:5], v[2:3]
	s_and_saveexec_b32 s42, s10
; %bb.4082:                             ;   in Loop: Header=BB6_130 Depth=2
	v_bfe_u32 v4, v2, 21, 1
	v_mov_b32_e32 v5, v1
	s_delay_alu instid0(VALU_DEP_1) | instskip(NEXT) | instid1(VALU_DEP_1)
	v_add_nc_u64_e32 v[4:5], v[2:3], v[4:5]
	v_add_nc_u64_e32 v[4:5], -1, v[4:5]
; %bb.4083:                             ;   in Loop: Header=BB6_130 Depth=2
	s_or_b32 exec_lo, exec_lo, s42
	v_add_nc_u32_e32 v3, 0xffffff81, v39
	v_lshrrev_b32_e32 v5, 23, v2
	s_mov_b32 s10, exec_lo
	s_delay_alu instid0(VALU_DEP_2) | instskip(NEXT) | instid1(VALU_DEP_1)
	v_cndmask_b32_e64 v3, v3, 0xffffff82, vcc_lo
	v_add3_u32 v39, v54, v3, v5
	v_and_b32_e32 v3, 0x1fffff, v4
                                        ; implicit-def: $vgpr4
	s_delay_alu instid0(VALU_DEP_1) | instskip(SKIP_1) | instid1(VALU_DEP_2)
	v_dual_add_nc_u32 v5, 14, v39 :: v_dual_add_nc_u32 v2, v3, v2
	v_mov_b32_e32 v3, v1
	v_cmpx_ne_u32_e32 0, v5
	s_xor_b32 s10, exec_lo, s10
; %bb.4084:                             ;   in Loop: Header=BB6_130 Depth=2
	s_delay_alu instid0(VALU_DEP_2) | instskip(SKIP_1) | instid1(VALU_DEP_1)
	v_cmp_lt_u64_e32 vcc_lo, 0xffffff, v[2:3]
	v_add_nc_u32_e32 v4, 15, v39
	v_cndmask_b32_e32 v4, v5, v4, vcc_lo
	v_cndmask_b32_e64 v5, 0, 1, vcc_lo
	s_delay_alu instid0(VALU_DEP_1)
	v_lshrrev_b64 v[2:3], v5, v[2:3]
; %bb.4085:                             ;   in Loop: Header=BB6_130 Depth=2
	s_and_not1_saveexec_b32 s10, s10
; %bb.4086:                             ;   in Loop: Header=BB6_130 Depth=2
	s_delay_alu instid0(VALU_DEP_1)
	v_bfe_u32 v4, v2, 23, 1
; %bb.4087:                             ;   in Loop: Header=BB6_130 Depth=2
	s_or_b32 exec_lo, exec_lo, s10
	s_delay_alu instid0(VALU_DEP_2) | instskip(NEXT) | instid1(VALU_DEP_2)
	v_lshrrev_b64 v[2:3], 21, v[2:3]
	v_cmp_gt_i32_e32 vcc_lo, 32, v4
	v_min_i32_e32 v5, 31, v4
	v_cmp_eq_u32_e64 s10, 0, v4
	s_delay_alu instid0(VALU_DEP_2) | instskip(SKIP_1) | instid1(VALU_DEP_2)
	v_dual_cndmask_b32 v3, 0, v3, vcc_lo :: v_dual_lshlrev_b32 v5, 2, v5
	v_cndmask_b32_e32 v2, 3, v2, vcc_lo
	v_and_b32_e32 v5, 0xfc, v5
	s_delay_alu instid0(VALU_DEP_2) | instskip(NEXT) | instid1(VALU_DEP_2)
	v_cmp_eq_u64_e32 vcc_lo, 0, v[2:3]
	v_and_or_b32 v2, v2, 3, v5
	s_and_b32 s10, s10, vcc_lo
	s_delay_alu instid0(VALU_DEP_1) | instid1(SALU_CYCLE_1)
	v_cndmask_b32_e64 v2, v2, 0, s10
	s_delay_alu instid0(VALU_DEP_1)
	v_or_b32_e32 v39, v2, v51
.LBB6_4088:                             ;   in Loop: Header=BB6_130 Depth=2
	s_or_b32 exec_lo, exec_lo, s41
                                        ; implicit-def: $vgpr51
.LBB6_4089:                             ;   in Loop: Header=BB6_130 Depth=2
	s_and_not1_saveexec_b32 s10, s40
; %bb.4090:                             ;   in Loop: Header=BB6_130 Depth=2
	v_or_b32_e32 v39, 0x7b, v51
; %bb.4091:                             ;   in Loop: Header=BB6_130 Depth=2
	s_or_b32 exec_lo, exec_lo, s10
                                        ; implicit-def: $vgpr4
                                        ; implicit-def: $vgpr2_vgpr3
                                        ; implicit-def: $vgpr5
.LBB6_4092:                             ;   in Loop: Header=BB6_130 Depth=2
	s_and_not1_saveexec_b32 s10, s29
	s_cbranch_execz .LBB6_4098
; %bb.4093:                             ;   in Loop: Header=BB6_130 Depth=2
	s_mov_b32 s29, exec_lo
                                        ; implicit-def: $vgpr39
	v_cmpx_ne_u64_e32 0, v[2:3]
	s_xor_b32 s29, exec_lo, s29
; %bb.4094:                             ;   in Loop: Header=BB6_130 Depth=2
	v_or_b32_e32 v39, 0x7f, v5
                                        ; implicit-def: $vgpr4
; %bb.4095:                             ;   in Loop: Header=BB6_130 Depth=2
	s_and_not1_saveexec_b32 s29, s29
; %bb.4096:                             ;   in Loop: Header=BB6_130 Depth=2
	v_cmp_lt_i32_e32 vcc_lo, -1, v4
	v_mov_b32_e32 v2, 0x7c
	s_delay_alu instid0(VALU_DEP_1)
	v_cndmask_b32_e32 v39, 0xfc, v2, vcc_lo
; %bb.4097:                             ;   in Loop: Header=BB6_130 Depth=2
	s_or_b32 exec_lo, exec_lo, s29
.LBB6_4098:                             ;   in Loop: Header=BB6_130 Depth=2
	s_delay_alu instid0(SALU_CYCLE_1)
	s_or_b32 exec_lo, exec_lo, s10
	v_dual_mov_b32 v3, 0 :: v_dual_mov_b32 v4, 0
	s_mov_b32 s29, exec_lo
	v_cmpx_lt_u32_e32 0xffffff, v0
	s_cbranch_execz .LBB6_4108
; %bb.4099:                             ;   in Loop: Header=BB6_130 Depth=2
	v_lshrrev_b32_e32 v2, 24, v0
	v_bfrev_b32_e32 v4, 1
	s_mov_b32 s40, exec_lo
	s_delay_alu instid0(VALU_DEP_2)
	v_cmpx_ne_u32_e32 0x80, v2
	s_cbranch_execz .LBB6_4107
; %bb.4100:                             ;   in Loop: Header=BB6_130 Depth=2
	v_and_b32_e32 v4, 0x7c000000, v0
	v_bfe_u32 v5, v0, 24, 2
	s_delay_alu instid0(VALU_DEP_2) | instskip(SKIP_1) | instid1(SALU_CYCLE_1)
	v_cmp_ne_u32_e32 vcc_lo, 0x7c000000, v4
                                        ; implicit-def: $vgpr4
	s_and_saveexec_b32 s10, vcc_lo
	s_xor_b32 s10, exec_lo, s10
	s_cbranch_execz .LBB6_4104
; %bb.4101:                             ;   in Loop: Header=BB6_130 Depth=2
	v_bfe_u32 v4, v0, 26, 5
	s_mov_b32 s41, exec_lo
	s_delay_alu instid0(VALU_DEP_1)
	v_cmpx_eq_u32_e32 0, v4
; %bb.4102:                             ;   in Loop: Header=BB6_130 Depth=2
	v_clz_i32_u32_e32 v4, v5
	s_delay_alu instid0(VALU_DEP_1) | instskip(NEXT) | instid1(VALU_DEP_1)
	v_min_u32_e32 v4, 32, v4
	v_subrev_nc_u32_e32 v5, 29, v4
	s_delay_alu instid0(VALU_DEP_1) | instskip(NEXT) | instid1(VALU_DEP_1)
	v_lshlrev_b64_e32 v[62:63], v5, v[2:3]
	v_dual_sub_nc_u32 v4, 30, v4 :: v_dual_bitop2_b32 v5, 3, v62 bitop3:0x40
; %bb.4103:                             ;   in Loop: Header=BB6_130 Depth=2
	s_or_b32 exec_lo, exec_lo, s41
	v_and_b32_e32 v0, 0x80000000, v0
	s_delay_alu instid0(VALU_DEP_1) | instskip(NEXT) | instid1(VALU_DEP_1)
	v_lshl_add_u32 v0, v4, 23, v0
	v_lshl_or_b32 v0, v5, 21, v0
                                        ; implicit-def: $vgpr5
	s_delay_alu instid0(VALU_DEP_1)
	v_add_nc_u32_e32 v4, 0x38000000, v0
.LBB6_4104:                             ;   in Loop: Header=BB6_130 Depth=2
	s_and_not1_saveexec_b32 s41, s10
; %bb.4105:                             ;   in Loop: Header=BB6_130 Depth=2
	v_cmp_lt_i32_e64 s10, -1, v0
	v_mov_b32_e32 v0, 0x7f800000
	v_cmp_eq_u32_e32 vcc_lo, 0, v5
	s_delay_alu instid0(VALU_DEP_2) | instskip(NEXT) | instid1(VALU_DEP_1)
	v_cndmask_b32_e64 v0, 0xff800000, v0, s10
	v_cndmask_b32_e32 v4, 0x7f800001, v0, vcc_lo
; %bb.4106:                             ;   in Loop: Header=BB6_130 Depth=2
	s_or_b32 exec_lo, exec_lo, s41
.LBB6_4107:                             ;   in Loop: Header=BB6_130 Depth=2
	s_delay_alu instid0(SALU_CYCLE_1)
	s_or_b32 exec_lo, exec_lo, s40
.LBB6_4108:                             ;   in Loop: Header=BB6_130 Depth=2
	s_delay_alu instid0(SALU_CYCLE_1) | instskip(NEXT) | instid1(SALU_CYCLE_1)
	s_or_b32 exec_lo, exec_lo, s29
	s_mov_b32 s29, exec_lo
	v_cmpx_lt_u32_e32 0xffffff, v10
	s_cbranch_execz .LBB6_4118
; %bb.4109:                             ;   in Loop: Header=BB6_130 Depth=2
	v_lshrrev_b32_e32 v0, 24, v10
	v_bfrev_b32_e32 v3, 1
	s_mov_b32 s40, exec_lo
	s_delay_alu instid0(VALU_DEP_2)
	v_cmpx_ne_u32_e32 0x80, v0
	s_cbranch_execz .LBB6_4117
; %bb.4110:                             ;   in Loop: Header=BB6_130 Depth=2
	v_and_b32_e32 v3, 0x7c000000, v10
	v_bfe_u32 v2, v10, 24, 2
	s_delay_alu instid0(VALU_DEP_2) | instskip(SKIP_1) | instid1(SALU_CYCLE_1)
	v_cmp_ne_u32_e32 vcc_lo, 0x7c000000, v3
                                        ; implicit-def: $vgpr3
	s_and_saveexec_b32 s10, vcc_lo
	s_xor_b32 s10, exec_lo, s10
	s_cbranch_execz .LBB6_4114
; %bb.4111:                             ;   in Loop: Header=BB6_130 Depth=2
	v_bfe_u32 v3, v10, 26, 5
	s_mov_b32 s41, exec_lo
	s_delay_alu instid0(VALU_DEP_1)
	v_cmpx_eq_u32_e32 0, v3
; %bb.4112:                             ;   in Loop: Header=BB6_130 Depth=2
	v_clz_i32_u32_e32 v2, v2
	s_delay_alu instid0(VALU_DEP_1) | instskip(NEXT) | instid1(VALU_DEP_1)
	v_min_u32_e32 v5, 32, v2
	v_subrev_nc_u32_e32 v2, 29, v5
	s_delay_alu instid0(VALU_DEP_1) | instskip(NEXT) | instid1(VALU_DEP_1)
	v_lshlrev_b64_e32 v[2:3], v2, v[0:1]
	v_dual_sub_nc_u32 v3, 30, v5 :: v_dual_bitop2_b32 v2, 3, v2 bitop3:0x40
; %bb.4113:                             ;   in Loop: Header=BB6_130 Depth=2
	s_or_b32 exec_lo, exec_lo, s41
	v_and_b32_e32 v0, 0x80000000, v10
	s_delay_alu instid0(VALU_DEP_1) | instskip(NEXT) | instid1(VALU_DEP_1)
	v_lshl_add_u32 v0, v3, 23, v0
	v_lshl_or_b32 v0, v2, 21, v0
                                        ; implicit-def: $vgpr2
	s_delay_alu instid0(VALU_DEP_1)
	v_add_nc_u32_e32 v3, 0x38000000, v0
.LBB6_4114:                             ;   in Loop: Header=BB6_130 Depth=2
	s_and_not1_saveexec_b32 s41, s10
; %bb.4115:                             ;   in Loop: Header=BB6_130 Depth=2
	v_cmp_lt_i32_e64 s10, -1, v10
	v_mov_b32_e32 v0, 0x7f800000
	v_cmp_eq_u32_e32 vcc_lo, 0, v2
	s_delay_alu instid0(VALU_DEP_2) | instskip(NEXT) | instid1(VALU_DEP_1)
	v_cndmask_b32_e64 v0, 0xff800000, v0, s10
	v_cndmask_b32_e32 v3, 0x7f800001, v0, vcc_lo
; %bb.4116:                             ;   in Loop: Header=BB6_130 Depth=2
	s_or_b32 exec_lo, exec_lo, s41
.LBB6_4117:                             ;   in Loop: Header=BB6_130 Depth=2
	s_delay_alu instid0(SALU_CYCLE_1)
	s_or_b32 exec_lo, exec_lo, s40
.LBB6_4118:                             ;   in Loop: Header=BB6_130 Depth=2
	s_delay_alu instid0(SALU_CYCLE_1) | instskip(NEXT) | instid1(VALU_DEP_1)
	s_or_b32 exec_lo, exec_lo, s29
	v_dual_add_f32 v2, v4, v3 :: v_dual_mov_b32 v5, v1
                                        ; implicit-def: $vgpr51
	s_mov_b32 s10, exec_lo
	s_delay_alu instid0(VALU_DEP_1) | instskip(SKIP_2) | instid1(VALU_DEP_3)
	v_and_b32_e32 v4, 0x7f800000, v2
	v_and_b32_e32 v0, 0x7fffff, v2
	v_lshrrev_b32_e32 v3, 24, v2
	v_cmpx_ne_u64_e32 0x7f800000, v[4:5]
	s_xor_b32 s29, exec_lo, s10
	s_cbranch_execz .LBB6_4132
; %bb.4119:                             ;   in Loop: Header=BB6_130 Depth=2
	v_and_b32_e32 v4, 0x7fffffff, v2
	v_mov_b32_e32 v5, v1
	v_and_b32_e32 v54, 0x80, v3
                                        ; implicit-def: $vgpr51
	s_mov_b32 s10, exec_lo
	s_delay_alu instid0(VALU_DEP_2)
	v_cmpx_gt_u64_e32 0x47600001, v[4:5]
	s_xor_b32 s40, exec_lo, s10
	s_cbranch_execz .LBB6_4129
; %bb.4120:                             ;   in Loop: Header=BB6_130 Depth=2
	v_mov_b32_e32 v51, 0
	s_mov_b32 s41, exec_lo
	v_cmpx_ne_u32_e32 0, v2
	s_cbranch_execz .LBB6_4128
; %bb.4121:                             ;   in Loop: Header=BB6_130 Depth=2
	v_bfe_u32 v51, v2, 23, 8
	v_or_b32_e32 v3, 0x800000, v0
	s_delay_alu instid0(VALU_DEP_2) | instskip(SKIP_2) | instid1(VALU_DEP_2)
	v_cmp_gt_u32_e64 s10, 0x72, v51
	v_sub_nc_u32_e32 v2, 0x71, v51
	v_cmp_eq_u32_e32 vcc_lo, 0, v51
	v_cndmask_b32_e64 v2, 0, v2, s10
	s_delay_alu instid0(VALU_DEP_1) | instskip(SKIP_1) | instid1(VALU_DEP_2)
	v_cndmask_b32_e64 v67, v2, 0x70, vcc_lo
	v_dual_cndmask_b32 v2, v3, v0 :: v_dual_mov_b32 v3, v1
	v_add_nc_u32_e32 v0, 21, v67
	s_delay_alu instid0(VALU_DEP_1) | instskip(SKIP_1) | instid1(VALU_DEP_1)
	v_lshlrev_b64_e64 v[4:5], v0, -1
	v_add_nc_u32_e32 v0, 20, v67
	v_lshlrev_b64_e64 v[62:63], v0, 1
	s_delay_alu instid0(VALU_DEP_3) | instskip(SKIP_2) | instid1(VALU_DEP_1)
	v_bfi_b32 v4, v4, 0, v2
	v_lshrrev_b64 v[2:3], v67, v[2:3]
	v_bfi_b32 v5, v5, 0, 0
	v_cmp_eq_u64_e64 s10, v[4:5], v[62:63]
	s_delay_alu instid0(VALU_DEP_3)
	v_mov_b64_e32 v[4:5], v[2:3]
	s_and_saveexec_b32 s42, s10
; %bb.4122:                             ;   in Loop: Header=BB6_130 Depth=2
	v_bfe_u32 v4, v2, 21, 1
	v_mov_b32_e32 v5, v1
	s_delay_alu instid0(VALU_DEP_1) | instskip(NEXT) | instid1(VALU_DEP_1)
	v_add_nc_u64_e32 v[4:5], v[2:3], v[4:5]
	v_add_nc_u64_e32 v[4:5], -1, v[4:5]
; %bb.4123:                             ;   in Loop: Header=BB6_130 Depth=2
	s_or_b32 exec_lo, exec_lo, s42
	v_add_nc_u32_e32 v0, 0xffffff81, v51
	s_delay_alu instid0(VALU_DEP_2) | instskip(SKIP_2) | instid1(VALU_DEP_3)
	v_and_b32_e32 v4, 0x1fffff, v4
	v_lshrrev_b32_e32 v3, 23, v2
	s_mov_b32 s10, exec_lo
	v_cndmask_b32_e64 v0, v0, 0xffffff82, vcc_lo
	s_delay_alu instid0(VALU_DEP_1) | instskip(SKIP_1) | instid1(VALU_DEP_2)
	v_add3_u32 v51, v67, v0, v3
	v_add_nc_u32_e32 v0, v4, v2
                                        ; implicit-def: $vgpr2_vgpr3
                                        ; implicit-def: $vgpr4
	v_add_nc_u32_e32 v5, 14, v51
	s_delay_alu instid0(VALU_DEP_1)
	v_cmpx_ne_u32_e32 0, v5
	s_xor_b32 s10, exec_lo, s10
; %bb.4124:                             ;   in Loop: Header=BB6_130 Depth=2
	s_delay_alu instid0(VALU_DEP_3) | instskip(SKIP_1) | instid1(VALU_DEP_1)
	v_cmp_lt_u64_e32 vcc_lo, 0xffffff, v[0:1]
	v_add_nc_u32_e32 v2, 15, v51
	v_cndmask_b32_e32 v4, v5, v2, vcc_lo
	v_cndmask_b32_e64 v2, 0, 1, vcc_lo
	s_delay_alu instid0(VALU_DEP_1)
	v_lshrrev_b64 v[2:3], v2, v[0:1]
; %bb.4125:                             ;   in Loop: Header=BB6_130 Depth=2
	s_and_not1_saveexec_b32 s10, s10
; %bb.4126:                             ;   in Loop: Header=BB6_130 Depth=2
	v_mov_b64_e32 v[2:3], v[0:1]
	v_bfe_u32 v4, v0, 23, 1
; %bb.4127:                             ;   in Loop: Header=BB6_130 Depth=2
	s_or_b32 exec_lo, exec_lo, s10
	s_delay_alu instid0(VALU_DEP_2) | instskip(NEXT) | instid1(VALU_DEP_2)
	v_lshrrev_b64 v[2:3], 21, v[2:3]
	v_cmp_gt_i32_e32 vcc_lo, 32, v4
	v_min_i32_e32 v0, 31, v4
	v_cmp_eq_u32_e64 s10, 0, v4
	s_delay_alu instid0(VALU_DEP_2) | instskip(SKIP_1) | instid1(VALU_DEP_2)
	v_dual_cndmask_b32 v3, 0, v3 :: v_dual_lshlrev_b32 v0, 2, v0
	v_cndmask_b32_e32 v2, 3, v2, vcc_lo
	v_and_b32_e32 v0, 0xfc, v0
	s_delay_alu instid0(VALU_DEP_2) | instskip(NEXT) | instid1(VALU_DEP_2)
	v_cmp_eq_u64_e32 vcc_lo, 0, v[2:3]
	v_and_or_b32 v0, v2, 3, v0
	s_and_b32 s10, s10, vcc_lo
	s_delay_alu instid0(VALU_DEP_1) | instid1(SALU_CYCLE_1)
	v_cndmask_b32_e64 v0, v0, 0, s10
	s_delay_alu instid0(VALU_DEP_1)
	v_or_b32_e32 v51, v0, v54
.LBB6_4128:                             ;   in Loop: Header=BB6_130 Depth=2
	s_or_b32 exec_lo, exec_lo, s41
                                        ; implicit-def: $vgpr54
.LBB6_4129:                             ;   in Loop: Header=BB6_130 Depth=2
	s_and_not1_saveexec_b32 s10, s40
; %bb.4130:                             ;   in Loop: Header=BB6_130 Depth=2
	v_or_b32_e32 v51, 0x7b, v54
; %bb.4131:                             ;   in Loop: Header=BB6_130 Depth=2
	s_or_b32 exec_lo, exec_lo, s10
                                        ; implicit-def: $vgpr2
                                        ; implicit-def: $vgpr3
.LBB6_4132:                             ;   in Loop: Header=BB6_130 Depth=2
	s_and_not1_saveexec_b32 s10, s29
	s_cbranch_execz .LBB6_4138
; %bb.4133:                             ;   in Loop: Header=BB6_130 Depth=2
	s_mov_b32 s29, exec_lo
                                        ; implicit-def: $vgpr51
	v_cmpx_ne_u64_e32 0, v[0:1]
	s_xor_b32 s29, exec_lo, s29
; %bb.4134:                             ;   in Loop: Header=BB6_130 Depth=2
	v_or_b32_e32 v51, 0x7f, v3
                                        ; implicit-def: $vgpr2
; %bb.4135:                             ;   in Loop: Header=BB6_130 Depth=2
	s_and_not1_saveexec_b32 s29, s29
; %bb.4136:                             ;   in Loop: Header=BB6_130 Depth=2
	v_cmp_lt_i32_e32 vcc_lo, -1, v2
	v_mov_b32_e32 v0, 0x7c
	s_delay_alu instid0(VALU_DEP_1)
	v_cndmask_b32_e32 v51, 0xfc, v0, vcc_lo
; %bb.4137:                             ;   in Loop: Header=BB6_130 Depth=2
	s_or_b32 exec_lo, exec_lo, s29
.LBB6_4138:                             ;   in Loop: Header=BB6_130 Depth=2
	s_delay_alu instid0(SALU_CYCLE_1) | instskip(SKIP_4) | instid1(VALU_DEP_1)
	s_or_b32 exec_lo, exec_lo, s10
	v_lshl_or_b32 v36, v36, 8, v29
	v_dual_mov_b32 v3, 0 :: v_dual_lshlrev_b32 v0, 16, v38
	v_lshlrev_b32_e32 v2, 24, v50
	s_mov_b32 s29, exec_lo
	v_or3_b32 v0, v0, v2, v36
	v_mov_b32_e32 v2, 0
	v_cmpx_ne_u32_e32 0, v29
	s_cbranch_execz .LBB6_4148
; %bb.4139:                             ;   in Loop: Header=BB6_130 Depth=2
	v_bfrev_b32_e32 v2, 1
	s_mov_b32 s40, exec_lo
	v_cmpx_ne_u32_e32 0x80, v29
	s_cbranch_execz .LBB6_4147
; %bb.4140:                             ;   in Loop: Header=BB6_130 Depth=2
	v_and_b32_e32 v2, 0x7c, v29
	v_and_b32_e32 v4, 3, v29
	s_delay_alu instid0(VALU_DEP_2) | instskip(SKIP_1) | instid1(SALU_CYCLE_1)
	v_cmp_ne_u32_e32 vcc_lo, 0x7c, v2
                                        ; implicit-def: $vgpr2
	s_and_saveexec_b32 s10, vcc_lo
	s_xor_b32 s10, exec_lo, s10
	s_cbranch_execz .LBB6_4144
; %bb.4141:                             ;   in Loop: Header=BB6_130 Depth=2
	v_bfe_u32 v2, v29, 2, 5
	s_mov_b32 s41, exec_lo
	s_delay_alu instid0(VALU_DEP_1)
	v_cmpx_eq_u32_e32 0, v2
; %bb.4142:                             ;   in Loop: Header=BB6_130 Depth=2
	v_clz_i32_u32_e32 v2, v4
	s_delay_alu instid0(VALU_DEP_1) | instskip(NEXT) | instid1(VALU_DEP_1)
	v_min_u32_e32 v2, 32, v2
	v_subrev_nc_u32_e32 v4, 29, v2
	s_delay_alu instid0(VALU_DEP_1) | instskip(NEXT) | instid1(VALU_DEP_1)
	v_lshlrev_b64_e32 v[4:5], v4, v[0:1]
	v_dual_sub_nc_u32 v2, 30, v2 :: v_dual_bitop2_b32 v4, 3, v4 bitop3:0x40
; %bb.4143:                             ;   in Loop: Header=BB6_130 Depth=2
	s_or_b32 exec_lo, exec_lo, s41
	v_lshlrev_b32_e32 v5, 24, v29
                                        ; implicit-def: $vgpr29
	s_delay_alu instid0(VALU_DEP_1) | instskip(NEXT) | instid1(VALU_DEP_1)
	v_and_b32_e32 v5, 0x80000000, v5
	v_lshl_add_u32 v2, v2, 23, v5
	s_delay_alu instid0(VALU_DEP_1) | instskip(NEXT) | instid1(VALU_DEP_1)
	v_lshl_or_b32 v2, v4, 21, v2
                                        ; implicit-def: $vgpr4
	v_add_nc_u32_e32 v2, 0x38000000, v2
.LBB6_4144:                             ;   in Loop: Header=BB6_130 Depth=2
	s_and_not1_saveexec_b32 s41, s10
; %bb.4145:                             ;   in Loop: Header=BB6_130 Depth=2
	v_and_b32_e32 v2, 0x80, v29
	v_cmp_eq_u32_e32 vcc_lo, 0, v4
	s_delay_alu instid0(VALU_DEP_2) | instskip(SKIP_1) | instid1(VALU_DEP_1)
	v_cmp_eq_u32_e64 s10, 0, v2
	v_mov_b32_e32 v2, 0x7f800000
	v_cndmask_b32_e64 v2, 0xff800000, v2, s10
	s_delay_alu instid0(VALU_DEP_1)
	v_cndmask_b32_e32 v2, 0x7f800001, v2, vcc_lo
; %bb.4146:                             ;   in Loop: Header=BB6_130 Depth=2
	s_or_b32 exec_lo, exec_lo, s41
.LBB6_4147:                             ;   in Loop: Header=BB6_130 Depth=2
	s_delay_alu instid0(SALU_CYCLE_1)
	s_or_b32 exec_lo, exec_lo, s40
.LBB6_4148:                             ;   in Loop: Header=BB6_130 Depth=2
	s_delay_alu instid0(SALU_CYCLE_1) | instskip(SKIP_2) | instid1(VALU_DEP_1)
	s_or_b32 exec_lo, exec_lo, s29
	v_and_b32_e32 v4, 0xff, v11
	s_mov_b32 s29, exec_lo
	v_cmpx_ne_u16_e32 0, v4
	s_cbranch_execz .LBB6_4158
; %bb.4149:                             ;   in Loop: Header=BB6_130 Depth=2
	v_bfrev_b32_e32 v3, 1
	s_mov_b32 s40, exec_lo
	v_cmpx_ne_u16_e32 0x80, v4
	s_cbranch_execz .LBB6_4157
; %bb.4150:                             ;   in Loop: Header=BB6_130 Depth=2
	v_and_b32_e32 v3, 0x7c, v11
	v_and_b32_e32 v4, 3, v11
	s_delay_alu instid0(VALU_DEP_2) | instskip(SKIP_1) | instid1(SALU_CYCLE_1)
	v_cmp_ne_u32_e32 vcc_lo, 0x7c, v3
                                        ; implicit-def: $vgpr3
	s_and_saveexec_b32 s10, vcc_lo
	s_xor_b32 s10, exec_lo, s10
	s_cbranch_execz .LBB6_4154
; %bb.4151:                             ;   in Loop: Header=BB6_130 Depth=2
	v_bfe_u32 v3, v11, 2, 5
	s_mov_b32 s41, exec_lo
	s_delay_alu instid0(VALU_DEP_1)
	v_cmpx_eq_u32_e32 0, v3
; %bb.4152:                             ;   in Loop: Header=BB6_130 Depth=2
	v_clz_i32_u32_e32 v3, v4
	v_dual_mov_b32 v4, v11 :: v_dual_mov_b32 v5, v1
	s_delay_alu instid0(VALU_DEP_2) | instskip(NEXT) | instid1(VALU_DEP_1)
	v_min_u32_e32 v3, 32, v3
	v_subrev_nc_u32_e32 v29, 29, v3
	s_delay_alu instid0(VALU_DEP_1) | instskip(NEXT) | instid1(VALU_DEP_1)
	v_lshlrev_b64_e32 v[4:5], v29, v[4:5]
	v_dual_sub_nc_u32 v3, 30, v3 :: v_dual_bitop2_b32 v4, 3, v4 bitop3:0x40
; %bb.4153:                             ;   in Loop: Header=BB6_130 Depth=2
	s_or_b32 exec_lo, exec_lo, s41
	v_lshlrev_b32_e32 v5, 24, v11
	s_delay_alu instid0(VALU_DEP_1) | instskip(NEXT) | instid1(VALU_DEP_1)
	v_and_b32_e32 v5, 0x80000000, v5
	v_lshl_add_u32 v3, v3, 23, v5
	s_delay_alu instid0(VALU_DEP_1) | instskip(NEXT) | instid1(VALU_DEP_1)
	v_lshl_or_b32 v3, v4, 21, v3
                                        ; implicit-def: $vgpr4
	v_add_nc_u32_e32 v3, 0x38000000, v3
.LBB6_4154:                             ;   in Loop: Header=BB6_130 Depth=2
	s_and_not1_saveexec_b32 s41, s10
; %bb.4155:                             ;   in Loop: Header=BB6_130 Depth=2
	v_bfe_i32 v3, v11, 0, 8
	v_cmp_eq_u32_e32 vcc_lo, 0, v4
	s_delay_alu instid0(VALU_DEP_2) | instskip(SKIP_1) | instid1(VALU_DEP_1)
	v_cmp_lt_i16_e64 s10, -1, v3
	v_mov_b32_e32 v3, 0x7f800000
	v_cndmask_b32_e64 v3, 0xff800000, v3, s10
	s_delay_alu instid0(VALU_DEP_1)
	v_cndmask_b32_e32 v3, 0x7f800001, v3, vcc_lo
; %bb.4156:                             ;   in Loop: Header=BB6_130 Depth=2
	s_or_b32 exec_lo, exec_lo, s41
.LBB6_4157:                             ;   in Loop: Header=BB6_130 Depth=2
	s_delay_alu instid0(SALU_CYCLE_1)
	s_or_b32 exec_lo, exec_lo, s40
.LBB6_4158:                             ;   in Loop: Header=BB6_130 Depth=2
	s_delay_alu instid0(SALU_CYCLE_1) | instskip(NEXT) | instid1(VALU_DEP_1)
	s_or_b32 exec_lo, exec_lo, s29
	v_dual_add_f32 v4, v2, v3 :: v_dual_mov_b32 v63, v1
	v_mov_b32_e32 v3, v1
                                        ; implicit-def: $vgpr29
	s_mov_b32 s10, exec_lo
	s_delay_alu instid0(VALU_DEP_2) | instskip(SKIP_2) | instid1(VALU_DEP_3)
	v_and_b32_e32 v62, 0x7f800000, v4
	v_and_b32_e32 v2, 0x7fffff, v4
	v_lshrrev_b32_e32 v5, 24, v4
	v_cmpx_ne_u64_e32 0x7f800000, v[62:63]
	s_xor_b32 s29, exec_lo, s10
	s_cbranch_execz .LBB6_4172
; %bb.4159:                             ;   in Loop: Header=BB6_130 Depth=2
	v_and_b32_e32 v62, 0x7fffffff, v4
	v_mov_b32_e32 v63, v1
	v_and_b32_e32 v38, 0x80, v5
                                        ; implicit-def: $vgpr29
	s_mov_b32 s10, exec_lo
	s_delay_alu instid0(VALU_DEP_2)
	v_cmpx_gt_u64_e32 0x47600001, v[62:63]
	s_xor_b32 s40, exec_lo, s10
	s_cbranch_execz .LBB6_4169
; %bb.4160:                             ;   in Loop: Header=BB6_130 Depth=2
	v_mov_b32_e32 v29, 0
	s_mov_b32 s41, exec_lo
	v_cmpx_ne_u32_e32 0, v4
	s_cbranch_execz .LBB6_4168
; %bb.4161:                             ;   in Loop: Header=BB6_130 Depth=2
	v_bfe_u32 v29, v4, 23, 8
	v_or_b32_e32 v5, 0x800000, v2
	s_delay_alu instid0(VALU_DEP_2) | instskip(SKIP_2) | instid1(VALU_DEP_2)
	v_cmp_gt_u32_e64 s10, 0x72, v29
	v_sub_nc_u32_e32 v4, 0x71, v29
	v_cmp_eq_u32_e32 vcc_lo, 0, v29
	v_dual_cndmask_b32 v4, 0, v4, s10 :: v_dual_cndmask_b32 v2, v5, v2, vcc_lo
	s_delay_alu instid0(VALU_DEP_1) | instskip(NEXT) | instid1(VALU_DEP_1)
	v_cndmask_b32_e64 v50, v4, 0x70, vcc_lo
	v_dual_add_nc_u32 v4, 21, v50 :: v_dual_add_nc_u32 v54, 20, v50
	s_delay_alu instid0(VALU_DEP_1) | instskip(NEXT) | instid1(VALU_DEP_2)
	v_lshlrev_b64_e64 v[4:5], v4, -1
	v_lshlrev_b64_e64 v[62:63], v54, 1
	s_delay_alu instid0(VALU_DEP_2) | instskip(SKIP_1) | instid1(VALU_DEP_4)
	v_bfi_b32 v4, v4, 0, v2
	v_lshrrev_b64 v[2:3], v50, v[2:3]
	v_bfi_b32 v5, v5, 0, 0
	s_delay_alu instid0(VALU_DEP_1) | instskip(NEXT) | instid1(VALU_DEP_3)
	v_cmp_eq_u64_e64 s10, v[4:5], v[62:63]
	v_mov_b64_e32 v[4:5], v[2:3]
	s_and_saveexec_b32 s42, s10
; %bb.4162:                             ;   in Loop: Header=BB6_130 Depth=2
	v_bfe_u32 v4, v2, 21, 1
	v_mov_b32_e32 v5, v1
	s_delay_alu instid0(VALU_DEP_1) | instskip(NEXT) | instid1(VALU_DEP_1)
	v_add_nc_u64_e32 v[4:5], v[2:3], v[4:5]
	v_add_nc_u64_e32 v[4:5], -1, v[4:5]
; %bb.4163:                             ;   in Loop: Header=BB6_130 Depth=2
	s_or_b32 exec_lo, exec_lo, s42
	v_add_nc_u32_e32 v3, 0xffffff81, v29
	v_lshrrev_b32_e32 v5, 23, v2
	s_mov_b32 s10, exec_lo
	s_delay_alu instid0(VALU_DEP_2) | instskip(NEXT) | instid1(VALU_DEP_1)
	v_cndmask_b32_e64 v3, v3, 0xffffff82, vcc_lo
	v_add3_u32 v29, v50, v3, v5
	v_and_b32_e32 v3, 0x1fffff, v4
                                        ; implicit-def: $vgpr4
	s_delay_alu instid0(VALU_DEP_1) | instskip(SKIP_1) | instid1(VALU_DEP_2)
	v_dual_add_nc_u32 v5, 14, v29 :: v_dual_add_nc_u32 v2, v3, v2
	v_mov_b32_e32 v3, v1
	v_cmpx_ne_u32_e32 0, v5
	s_xor_b32 s10, exec_lo, s10
; %bb.4164:                             ;   in Loop: Header=BB6_130 Depth=2
	s_delay_alu instid0(VALU_DEP_2) | instskip(SKIP_1) | instid1(VALU_DEP_1)
	v_cmp_lt_u64_e32 vcc_lo, 0xffffff, v[2:3]
	v_add_nc_u32_e32 v4, 15, v29
	v_cndmask_b32_e32 v4, v5, v4, vcc_lo
	v_cndmask_b32_e64 v5, 0, 1, vcc_lo
	s_delay_alu instid0(VALU_DEP_1)
	v_lshrrev_b64 v[2:3], v5, v[2:3]
; %bb.4165:                             ;   in Loop: Header=BB6_130 Depth=2
	s_and_not1_saveexec_b32 s10, s10
; %bb.4166:                             ;   in Loop: Header=BB6_130 Depth=2
	s_delay_alu instid0(VALU_DEP_1)
	v_bfe_u32 v4, v2, 23, 1
; %bb.4167:                             ;   in Loop: Header=BB6_130 Depth=2
	s_or_b32 exec_lo, exec_lo, s10
	s_delay_alu instid0(VALU_DEP_2) | instskip(NEXT) | instid1(VALU_DEP_2)
	v_lshrrev_b64 v[2:3], 21, v[2:3]
	v_cmp_gt_i32_e32 vcc_lo, 32, v4
	v_min_i32_e32 v5, 31, v4
	v_cmp_eq_u32_e64 s10, 0, v4
	s_delay_alu instid0(VALU_DEP_2) | instskip(SKIP_1) | instid1(VALU_DEP_2)
	v_dual_cndmask_b32 v3, 0, v3, vcc_lo :: v_dual_lshlrev_b32 v5, 2, v5
	v_cndmask_b32_e32 v2, 3, v2, vcc_lo
	v_and_b32_e32 v5, 0xfc, v5
	s_delay_alu instid0(VALU_DEP_2) | instskip(NEXT) | instid1(VALU_DEP_2)
	v_cmp_eq_u64_e32 vcc_lo, 0, v[2:3]
	v_and_or_b32 v2, v2, 3, v5
	s_and_b32 s10, s10, vcc_lo
	s_delay_alu instid0(VALU_DEP_1) | instid1(SALU_CYCLE_1)
	v_cndmask_b32_e64 v2, v2, 0, s10
	s_delay_alu instid0(VALU_DEP_1)
	v_or_b32_e32 v29, v2, v38
.LBB6_4168:                             ;   in Loop: Header=BB6_130 Depth=2
	s_or_b32 exec_lo, exec_lo, s41
                                        ; implicit-def: $vgpr38
.LBB6_4169:                             ;   in Loop: Header=BB6_130 Depth=2
	s_and_not1_saveexec_b32 s10, s40
; %bb.4170:                             ;   in Loop: Header=BB6_130 Depth=2
	v_or_b32_e32 v29, 0x7b, v38
; %bb.4171:                             ;   in Loop: Header=BB6_130 Depth=2
	s_or_b32 exec_lo, exec_lo, s10
                                        ; implicit-def: $vgpr4
                                        ; implicit-def: $vgpr2_vgpr3
                                        ; implicit-def: $vgpr5
.LBB6_4172:                             ;   in Loop: Header=BB6_130 Depth=2
	s_and_not1_saveexec_b32 s10, s29
	s_cbranch_execz .LBB6_4178
; %bb.4173:                             ;   in Loop: Header=BB6_130 Depth=2
	s_mov_b32 s29, exec_lo
                                        ; implicit-def: $vgpr29
	v_cmpx_ne_u64_e32 0, v[2:3]
	s_xor_b32 s29, exec_lo, s29
; %bb.4174:                             ;   in Loop: Header=BB6_130 Depth=2
	v_or_b32_e32 v29, 0x7f, v5
                                        ; implicit-def: $vgpr4
; %bb.4175:                             ;   in Loop: Header=BB6_130 Depth=2
	s_and_not1_saveexec_b32 s29, s29
; %bb.4176:                             ;   in Loop: Header=BB6_130 Depth=2
	v_cmp_lt_i32_e32 vcc_lo, -1, v4
	v_mov_b32_e32 v2, 0x7c
	s_delay_alu instid0(VALU_DEP_1)
	v_cndmask_b32_e32 v29, 0xfc, v2, vcc_lo
; %bb.4177:                             ;   in Loop: Header=BB6_130 Depth=2
	s_or_b32 exec_lo, exec_lo, s29
.LBB6_4178:                             ;   in Loop: Header=BB6_130 Depth=2
	s_delay_alu instid0(SALU_CYCLE_1) | instskip(SKIP_3) | instid1(VALU_DEP_2)
	s_or_b32 exec_lo, exec_lo, s10
	v_lshrrev_b16 v2, 8, v36
	v_dual_mov_b32 v4, 0 :: v_dual_mov_b32 v5, 0
	s_mov_b32 s29, exec_lo
	v_cmpx_ne_u16_e32 0, v2
	s_cbranch_execz .LBB6_4188
; %bb.4179:                             ;   in Loop: Header=BB6_130 Depth=2
	v_bfrev_b32_e32 v5, 1
	s_mov_b32 s40, exec_lo
	v_cmpx_ne_u16_e32 0x80, v2
	s_cbranch_execz .LBB6_4187
; %bb.4180:                             ;   in Loop: Header=BB6_130 Depth=2
	v_and_b32_e32 v38, 0xffff, v2
	s_delay_alu instid0(VALU_DEP_1) | instskip(SKIP_1) | instid1(VALU_DEP_2)
	v_and_b32_e32 v5, 0x7c, v38
	v_and_b32_e32 v3, 3, v38
	v_cmp_ne_u32_e32 vcc_lo, 0x7c, v5
                                        ; implicit-def: $vgpr5
	s_and_saveexec_b32 s10, vcc_lo
	s_delay_alu instid0(SALU_CYCLE_1)
	s_xor_b32 s10, exec_lo, s10
	s_cbranch_execz .LBB6_4184
; %bb.4181:                             ;   in Loop: Header=BB6_130 Depth=2
	v_bfe_u32 v5, v38, 2, 5
	s_mov_b32 s41, exec_lo
	s_delay_alu instid0(VALU_DEP_1)
	v_cmpx_eq_u32_e32 0, v5
	s_cbranch_execz .LBB6_4183
; %bb.4182:                             ;   in Loop: Header=BB6_130 Depth=2
	v_clz_i32_u32_e32 v3, v3
	s_delay_alu instid0(VALU_DEP_1) | instskip(SKIP_1) | instid1(VALU_DEP_2)
	v_min_u32_e32 v5, 32, v3
	v_mov_b32_e32 v3, v1
	v_subrev_nc_u32_e32 v38, 29, v5
	v_sub_nc_u32_e32 v5, 30, v5
	s_delay_alu instid0(VALU_DEP_2) | instskip(NEXT) | instid1(VALU_DEP_1)
	v_lshlrev_b64_e32 v[2:3], v38, v[2:3]
	v_and_b32_e32 v3, 3, v2
.LBB6_4183:                             ;   in Loop: Header=BB6_130 Depth=2
	s_or_b32 exec_lo, exec_lo, s41
	v_lshlrev_b32_e32 v2, 16, v36
                                        ; implicit-def: $vgpr36
	s_delay_alu instid0(VALU_DEP_1) | instskip(NEXT) | instid1(VALU_DEP_1)
	v_and_b32_e32 v2, 0x80000000, v2
	v_lshl_add_u32 v2, v5, 23, v2
	s_delay_alu instid0(VALU_DEP_1) | instskip(NEXT) | instid1(VALU_DEP_1)
	v_lshl_or_b32 v2, v3, 21, v2
                                        ; implicit-def: $vgpr3
	v_add_nc_u32_e32 v5, 0x38000000, v2
.LBB6_4184:                             ;   in Loop: Header=BB6_130 Depth=2
	s_and_not1_saveexec_b32 s41, s10
; %bb.4185:                             ;   in Loop: Header=BB6_130 Depth=2
	v_cmp_lt_i16_e64 s10, -1, v36
	v_mov_b32_e32 v2, 0x7f800000
	v_cmp_eq_u32_e32 vcc_lo, 0, v3
	s_delay_alu instid0(VALU_DEP_2) | instskip(NEXT) | instid1(VALU_DEP_1)
	v_cndmask_b32_e64 v2, 0xff800000, v2, s10
	v_cndmask_b32_e32 v5, 0x7f800001, v2, vcc_lo
; %bb.4186:                             ;   in Loop: Header=BB6_130 Depth=2
	s_or_b32 exec_lo, exec_lo, s41
.LBB6_4187:                             ;   in Loop: Header=BB6_130 Depth=2
	s_delay_alu instid0(SALU_CYCLE_1)
	s_or_b32 exec_lo, exec_lo, s40
.LBB6_4188:                             ;   in Loop: Header=BB6_130 Depth=2
	s_delay_alu instid0(SALU_CYCLE_1) | instskip(SKIP_2) | instid1(VALU_DEP_1)
	s_or_b32 exec_lo, exec_lo, s29
	v_lshrrev_b16 v2, 8, v11
	s_mov_b32 s29, exec_lo
	v_cmpx_ne_u16_e32 0, v2
	s_cbranch_execz .LBB6_4198
; %bb.4189:                             ;   in Loop: Header=BB6_130 Depth=2
	v_bfrev_b32_e32 v4, 1
	s_mov_b32 s40, exec_lo
	v_cmpx_ne_u16_e32 0x80, v2
	s_cbranch_execz .LBB6_4197
; %bb.4190:                             ;   in Loop: Header=BB6_130 Depth=2
	v_and_b32_e32 v36, 0xffff, v2
	s_delay_alu instid0(VALU_DEP_1) | instskip(SKIP_1) | instid1(VALU_DEP_2)
	v_and_b32_e32 v4, 0x7c, v36
	v_and_b32_e32 v3, 3, v36
	v_cmp_ne_u32_e32 vcc_lo, 0x7c, v4
                                        ; implicit-def: $vgpr4
	s_and_saveexec_b32 s10, vcc_lo
	s_delay_alu instid0(SALU_CYCLE_1)
	s_xor_b32 s10, exec_lo, s10
	s_cbranch_execz .LBB6_4194
; %bb.4191:                             ;   in Loop: Header=BB6_130 Depth=2
	v_bfe_u32 v4, v36, 2, 5
	s_mov_b32 s41, exec_lo
	s_delay_alu instid0(VALU_DEP_1)
	v_cmpx_eq_u32_e32 0, v4
	s_cbranch_execz .LBB6_4193
; %bb.4192:                             ;   in Loop: Header=BB6_130 Depth=2
	v_clz_i32_u32_e32 v3, v3
	s_delay_alu instid0(VALU_DEP_1) | instskip(SKIP_1) | instid1(VALU_DEP_2)
	v_min_u32_e32 v4, 32, v3
	v_mov_b32_e32 v3, v1
	v_subrev_nc_u32_e32 v36, 29, v4
	v_sub_nc_u32_e32 v4, 30, v4
	s_delay_alu instid0(VALU_DEP_2) | instskip(NEXT) | instid1(VALU_DEP_1)
	v_lshlrev_b64_e32 v[2:3], v36, v[2:3]
	v_and_b32_e32 v3, 3, v2
.LBB6_4193:                             ;   in Loop: Header=BB6_130 Depth=2
	s_or_b32 exec_lo, exec_lo, s41
	v_lshlrev_b32_e32 v2, 16, v11
	s_delay_alu instid0(VALU_DEP_1) | instskip(NEXT) | instid1(VALU_DEP_1)
	v_and_b32_e32 v2, 0x80000000, v2
	v_lshl_add_u32 v2, v4, 23, v2
	s_delay_alu instid0(VALU_DEP_1) | instskip(NEXT) | instid1(VALU_DEP_1)
	v_lshl_or_b32 v2, v3, 21, v2
                                        ; implicit-def: $vgpr3
	v_add_nc_u32_e32 v4, 0x38000000, v2
.LBB6_4194:                             ;   in Loop: Header=BB6_130 Depth=2
	s_and_not1_saveexec_b32 s41, s10
; %bb.4195:                             ;   in Loop: Header=BB6_130 Depth=2
	v_cmp_lt_i16_e64 s10, -1, v11
	v_mov_b32_e32 v2, 0x7f800000
	v_cmp_eq_u32_e32 vcc_lo, 0, v3
	s_delay_alu instid0(VALU_DEP_2) | instskip(NEXT) | instid1(VALU_DEP_1)
	v_cndmask_b32_e64 v2, 0xff800000, v2, s10
	v_cndmask_b32_e32 v4, 0x7f800001, v2, vcc_lo
; %bb.4196:                             ;   in Loop: Header=BB6_130 Depth=2
	s_or_b32 exec_lo, exec_lo, s41
.LBB6_4197:                             ;   in Loop: Header=BB6_130 Depth=2
	s_delay_alu instid0(SALU_CYCLE_1)
	s_or_b32 exec_lo, exec_lo, s40
.LBB6_4198:                             ;   in Loop: Header=BB6_130 Depth=2
	s_delay_alu instid0(SALU_CYCLE_1) | instskip(NEXT) | instid1(VALU_DEP_1)
	s_or_b32 exec_lo, exec_lo, s29
	v_add_f32_e32 v4, v5, v4
	v_dual_mov_b32 v63, v1 :: v_dual_mov_b32 v3, v1
                                        ; implicit-def: $vgpr36
	s_mov_b32 s10, exec_lo
	s_delay_alu instid0(VALU_DEP_2) | instskip(SKIP_2) | instid1(VALU_DEP_3)
	v_and_b32_e32 v62, 0x7f800000, v4
	v_and_b32_e32 v2, 0x7fffff, v4
	v_lshrrev_b32_e32 v5, 24, v4
	v_cmpx_ne_u64_e32 0x7f800000, v[62:63]
	s_xor_b32 s29, exec_lo, s10
	s_cbranch_execz .LBB6_4212
; %bb.4199:                             ;   in Loop: Header=BB6_130 Depth=2
	v_and_b32_e32 v62, 0x7fffffff, v4
	v_mov_b32_e32 v63, v1
	v_and_b32_e32 v38, 0x80, v5
                                        ; implicit-def: $vgpr36
	s_mov_b32 s10, exec_lo
	s_delay_alu instid0(VALU_DEP_2)
	v_cmpx_gt_u64_e32 0x47600001, v[62:63]
	s_xor_b32 s40, exec_lo, s10
	s_cbranch_execz .LBB6_4209
; %bb.4200:                             ;   in Loop: Header=BB6_130 Depth=2
	v_mov_b32_e32 v36, 0
	s_mov_b32 s41, exec_lo
	v_cmpx_ne_u32_e32 0, v4
	s_cbranch_execz .LBB6_4208
; %bb.4201:                             ;   in Loop: Header=BB6_130 Depth=2
	v_bfe_u32 v36, v4, 23, 8
	v_or_b32_e32 v5, 0x800000, v2
	s_delay_alu instid0(VALU_DEP_2) | instskip(SKIP_2) | instid1(VALU_DEP_2)
	v_cmp_gt_u32_e64 s10, 0x72, v36
	v_sub_nc_u32_e32 v4, 0x71, v36
	v_cmp_eq_u32_e32 vcc_lo, 0, v36
	v_dual_cndmask_b32 v4, 0, v4, s10 :: v_dual_cndmask_b32 v2, v5, v2, vcc_lo
	s_delay_alu instid0(VALU_DEP_1) | instskip(NEXT) | instid1(VALU_DEP_1)
	v_cndmask_b32_e64 v50, v4, 0x70, vcc_lo
	v_dual_add_nc_u32 v4, 21, v50 :: v_dual_add_nc_u32 v54, 20, v50
	s_delay_alu instid0(VALU_DEP_1) | instskip(NEXT) | instid1(VALU_DEP_2)
	v_lshlrev_b64_e64 v[4:5], v4, -1
	v_lshlrev_b64_e64 v[62:63], v54, 1
	s_delay_alu instid0(VALU_DEP_2) | instskip(SKIP_1) | instid1(VALU_DEP_4)
	v_bfi_b32 v4, v4, 0, v2
	v_lshrrev_b64 v[2:3], v50, v[2:3]
	v_bfi_b32 v5, v5, 0, 0
	s_delay_alu instid0(VALU_DEP_1) | instskip(NEXT) | instid1(VALU_DEP_3)
	v_cmp_eq_u64_e64 s10, v[4:5], v[62:63]
	v_mov_b64_e32 v[4:5], v[2:3]
	s_and_saveexec_b32 s42, s10
; %bb.4202:                             ;   in Loop: Header=BB6_130 Depth=2
	v_bfe_u32 v4, v2, 21, 1
	v_mov_b32_e32 v5, v1
	s_delay_alu instid0(VALU_DEP_1) | instskip(NEXT) | instid1(VALU_DEP_1)
	v_add_nc_u64_e32 v[4:5], v[2:3], v[4:5]
	v_add_nc_u64_e32 v[4:5], -1, v[4:5]
; %bb.4203:                             ;   in Loop: Header=BB6_130 Depth=2
	s_or_b32 exec_lo, exec_lo, s42
	v_add_nc_u32_e32 v3, 0xffffff81, v36
	v_lshrrev_b32_e32 v5, 23, v2
	s_mov_b32 s10, exec_lo
	s_delay_alu instid0(VALU_DEP_2) | instskip(NEXT) | instid1(VALU_DEP_1)
	v_cndmask_b32_e64 v3, v3, 0xffffff82, vcc_lo
	v_add3_u32 v36, v50, v3, v5
	v_and_b32_e32 v3, 0x1fffff, v4
                                        ; implicit-def: $vgpr4
	s_delay_alu instid0(VALU_DEP_1) | instskip(SKIP_1) | instid1(VALU_DEP_2)
	v_dual_add_nc_u32 v5, 14, v36 :: v_dual_add_nc_u32 v2, v3, v2
	v_mov_b32_e32 v3, v1
	v_cmpx_ne_u32_e32 0, v5
	s_xor_b32 s10, exec_lo, s10
; %bb.4204:                             ;   in Loop: Header=BB6_130 Depth=2
	s_delay_alu instid0(VALU_DEP_2) | instskip(SKIP_1) | instid1(VALU_DEP_1)
	v_cmp_lt_u64_e32 vcc_lo, 0xffffff, v[2:3]
	v_add_nc_u32_e32 v4, 15, v36
	v_cndmask_b32_e32 v4, v5, v4, vcc_lo
	v_cndmask_b32_e64 v5, 0, 1, vcc_lo
	s_delay_alu instid0(VALU_DEP_1)
	v_lshrrev_b64 v[2:3], v5, v[2:3]
; %bb.4205:                             ;   in Loop: Header=BB6_130 Depth=2
	s_and_not1_saveexec_b32 s10, s10
; %bb.4206:                             ;   in Loop: Header=BB6_130 Depth=2
	s_delay_alu instid0(VALU_DEP_1)
	v_bfe_u32 v4, v2, 23, 1
; %bb.4207:                             ;   in Loop: Header=BB6_130 Depth=2
	s_or_b32 exec_lo, exec_lo, s10
	s_delay_alu instid0(VALU_DEP_2) | instskip(NEXT) | instid1(VALU_DEP_2)
	v_lshrrev_b64 v[2:3], 21, v[2:3]
	v_cmp_gt_i32_e32 vcc_lo, 32, v4
	v_min_i32_e32 v5, 31, v4
	v_cmp_eq_u32_e64 s10, 0, v4
	s_delay_alu instid0(VALU_DEP_2) | instskip(SKIP_1) | instid1(VALU_DEP_2)
	v_dual_cndmask_b32 v3, 0, v3, vcc_lo :: v_dual_lshlrev_b32 v5, 2, v5
	v_cndmask_b32_e32 v2, 3, v2, vcc_lo
	v_and_b32_e32 v5, 0xfc, v5
	s_delay_alu instid0(VALU_DEP_2) | instskip(NEXT) | instid1(VALU_DEP_2)
	v_cmp_eq_u64_e32 vcc_lo, 0, v[2:3]
	v_and_or_b32 v2, v2, 3, v5
	s_and_b32 s10, s10, vcc_lo
	s_delay_alu instid0(VALU_DEP_1) | instid1(SALU_CYCLE_1)
	v_cndmask_b32_e64 v2, v2, 0, s10
	s_delay_alu instid0(VALU_DEP_1)
	v_or_b32_e32 v36, v2, v38
.LBB6_4208:                             ;   in Loop: Header=BB6_130 Depth=2
	s_or_b32 exec_lo, exec_lo, s41
                                        ; implicit-def: $vgpr38
.LBB6_4209:                             ;   in Loop: Header=BB6_130 Depth=2
	s_and_not1_saveexec_b32 s10, s40
; %bb.4210:                             ;   in Loop: Header=BB6_130 Depth=2
	v_or_b32_e32 v36, 0x7b, v38
; %bb.4211:                             ;   in Loop: Header=BB6_130 Depth=2
	s_or_b32 exec_lo, exec_lo, s10
                                        ; implicit-def: $vgpr4
                                        ; implicit-def: $vgpr2_vgpr3
                                        ; implicit-def: $vgpr5
.LBB6_4212:                             ;   in Loop: Header=BB6_130 Depth=2
	s_and_not1_saveexec_b32 s10, s29
	s_cbranch_execz .LBB6_4218
; %bb.4213:                             ;   in Loop: Header=BB6_130 Depth=2
	s_mov_b32 s29, exec_lo
                                        ; implicit-def: $vgpr36
	v_cmpx_ne_u64_e32 0, v[2:3]
	s_xor_b32 s29, exec_lo, s29
; %bb.4214:                             ;   in Loop: Header=BB6_130 Depth=2
	v_or_b32_e32 v36, 0x7f, v5
                                        ; implicit-def: $vgpr4
; %bb.4215:                             ;   in Loop: Header=BB6_130 Depth=2
	s_and_not1_saveexec_b32 s29, s29
; %bb.4216:                             ;   in Loop: Header=BB6_130 Depth=2
	v_cmp_lt_i32_e32 vcc_lo, -1, v4
	v_mov_b32_e32 v2, 0x7c
	s_delay_alu instid0(VALU_DEP_1)
	v_cndmask_b32_e32 v36, 0xfc, v2, vcc_lo
; %bb.4217:                             ;   in Loop: Header=BB6_130 Depth=2
	s_or_b32 exec_lo, exec_lo, s29
.LBB6_4218:                             ;   in Loop: Header=BB6_130 Depth=2
	s_delay_alu instid0(SALU_CYCLE_1) | instskip(SKIP_3) | instid1(VALU_DEP_2)
	s_or_b32 exec_lo, exec_lo, s10
	v_dual_mov_b32 v3, 0 :: v_dual_lshrrev_b32 v2, 16, v0
	v_mov_b32_e32 v4, 0
	s_mov_b32 s29, exec_lo
	v_and_b32_e32 v5, 0xff, v2
	s_delay_alu instid0(VALU_DEP_1)
	v_cmpx_ne_u16_e32 0, v5
	s_cbranch_execz .LBB6_4228
; %bb.4219:                             ;   in Loop: Header=BB6_130 Depth=2
	v_bfrev_b32_e32 v4, 1
	s_mov_b32 s40, exec_lo
	v_cmpx_ne_u16_e32 0x80, v5
	s_cbranch_execz .LBB6_4227
; %bb.4220:                             ;   in Loop: Header=BB6_130 Depth=2
	v_and_b32_e32 v4, 0x7c0000, v0
	v_bfe_u32 v5, v0, 16, 2
	s_delay_alu instid0(VALU_DEP_2) | instskip(SKIP_1) | instid1(SALU_CYCLE_1)
	v_cmp_ne_u32_e32 vcc_lo, 0x7c0000, v4
                                        ; implicit-def: $vgpr4
	s_and_saveexec_b32 s10, vcc_lo
	s_xor_b32 s10, exec_lo, s10
	s_cbranch_execz .LBB6_4224
; %bb.4221:                             ;   in Loop: Header=BB6_130 Depth=2
	v_bfe_u32 v4, v0, 18, 5
	s_mov_b32 s41, exec_lo
	s_delay_alu instid0(VALU_DEP_1)
	v_cmpx_eq_u32_e32 0, v4
; %bb.4222:                             ;   in Loop: Header=BB6_130 Depth=2
	v_clz_i32_u32_e32 v4, v5
	s_delay_alu instid0(VALU_DEP_1) | instskip(NEXT) | instid1(VALU_DEP_1)
	v_min_u32_e32 v4, 32, v4
	v_subrev_nc_u32_e32 v5, 29, v4
	s_delay_alu instid0(VALU_DEP_1) | instskip(NEXT) | instid1(VALU_DEP_1)
	v_lshlrev_b64_e32 v[62:63], v5, v[2:3]
	v_dual_sub_nc_u32 v4, 30, v4 :: v_dual_bitop2_b32 v5, 3, v62 bitop3:0x40
; %bb.4223:                             ;   in Loop: Header=BB6_130 Depth=2
	s_or_b32 exec_lo, exec_lo, s41
	v_lshlrev_b32_e32 v2, 24, v2
	s_delay_alu instid0(VALU_DEP_1) | instskip(NEXT) | instid1(VALU_DEP_1)
	v_and_b32_e32 v2, 0x80000000, v2
	v_lshl_add_u32 v2, v4, 23, v2
	s_delay_alu instid0(VALU_DEP_1) | instskip(NEXT) | instid1(VALU_DEP_1)
	v_lshl_or_b32 v2, v5, 21, v2
                                        ; implicit-def: $vgpr5
	v_add_nc_u32_e32 v4, 0x38000000, v2
                                        ; implicit-def: $vgpr2
.LBB6_4224:                             ;   in Loop: Header=BB6_130 Depth=2
	s_and_not1_saveexec_b32 s41, s10
; %bb.4225:                             ;   in Loop: Header=BB6_130 Depth=2
	v_bfe_i32 v2, v2, 0, 8
	v_cmp_eq_u32_e32 vcc_lo, 0, v5
	s_delay_alu instid0(VALU_DEP_2) | instskip(SKIP_1) | instid1(VALU_DEP_1)
	v_cmp_lt_i16_e64 s10, -1, v2
	v_mov_b32_e32 v2, 0x7f800000
	v_cndmask_b32_e64 v2, 0xff800000, v2, s10
	s_delay_alu instid0(VALU_DEP_1)
	v_cndmask_b32_e32 v4, 0x7f800001, v2, vcc_lo
; %bb.4226:                             ;   in Loop: Header=BB6_130 Depth=2
	s_or_b32 exec_lo, exec_lo, s41
.LBB6_4227:                             ;   in Loop: Header=BB6_130 Depth=2
	s_delay_alu instid0(SALU_CYCLE_1)
	s_or_b32 exec_lo, exec_lo, s40
.LBB6_4228:                             ;   in Loop: Header=BB6_130 Depth=2
	s_delay_alu instid0(SALU_CYCLE_1) | instskip(SKIP_2) | instid1(VALU_DEP_1)
	s_or_b32 exec_lo, exec_lo, s29
	v_lshrrev_b32_e32 v2, 16, v11
	s_mov_b32 s29, exec_lo
	v_and_b32_e32 v5, 0xff, v2
	s_delay_alu instid0(VALU_DEP_1)
	v_cmpx_ne_u16_e32 0, v5
	s_cbranch_execz .LBB6_4238
; %bb.4229:                             ;   in Loop: Header=BB6_130 Depth=2
	v_bfrev_b32_e32 v3, 1
	s_mov_b32 s40, exec_lo
	v_cmpx_ne_u16_e32 0x80, v5
	s_cbranch_execz .LBB6_4237
; %bb.4230:                             ;   in Loop: Header=BB6_130 Depth=2
	v_and_b32_e32 v3, 0x7c0000, v11
	v_bfe_u32 v5, v11, 16, 2
	s_delay_alu instid0(VALU_DEP_2) | instskip(SKIP_1) | instid1(SALU_CYCLE_1)
	v_cmp_ne_u32_e32 vcc_lo, 0x7c0000, v3
                                        ; implicit-def: $vgpr3
	s_and_saveexec_b32 s10, vcc_lo
	s_xor_b32 s10, exec_lo, s10
	s_cbranch_execz .LBB6_4234
; %bb.4231:                             ;   in Loop: Header=BB6_130 Depth=2
	v_bfe_u32 v3, v11, 18, 5
	s_mov_b32 s41, exec_lo
	s_delay_alu instid0(VALU_DEP_1)
	v_cmpx_eq_u32_e32 0, v3
; %bb.4232:                             ;   in Loop: Header=BB6_130 Depth=2
	v_clz_i32_u32_e32 v3, v5
	s_delay_alu instid0(VALU_DEP_1) | instskip(NEXT) | instid1(VALU_DEP_1)
	v_min_u32_e32 v3, 32, v3
	v_subrev_nc_u32_e32 v5, 29, v3
	s_delay_alu instid0(VALU_DEP_1) | instskip(NEXT) | instid1(VALU_DEP_1)
	v_lshlrev_b64_e32 v[62:63], v5, v[2:3]
	v_dual_sub_nc_u32 v3, 30, v3 :: v_dual_bitop2_b32 v5, 3, v62 bitop3:0x40
; %bb.4233:                             ;   in Loop: Header=BB6_130 Depth=2
	s_or_b32 exec_lo, exec_lo, s41
	v_lshlrev_b32_e32 v2, 24, v2
	s_delay_alu instid0(VALU_DEP_1) | instskip(NEXT) | instid1(VALU_DEP_1)
	v_and_b32_e32 v2, 0x80000000, v2
	v_lshl_add_u32 v2, v3, 23, v2
	s_delay_alu instid0(VALU_DEP_1) | instskip(NEXT) | instid1(VALU_DEP_1)
	v_lshl_or_b32 v2, v5, 21, v2
                                        ; implicit-def: $vgpr5
	v_add_nc_u32_e32 v3, 0x38000000, v2
                                        ; implicit-def: $vgpr2
.LBB6_4234:                             ;   in Loop: Header=BB6_130 Depth=2
	s_and_not1_saveexec_b32 s41, s10
; %bb.4235:                             ;   in Loop: Header=BB6_130 Depth=2
	v_bfe_i32 v2, v2, 0, 8
	v_cmp_eq_u32_e32 vcc_lo, 0, v5
	s_delay_alu instid0(VALU_DEP_2) | instskip(SKIP_1) | instid1(VALU_DEP_1)
	v_cmp_lt_i16_e64 s10, -1, v2
	v_mov_b32_e32 v2, 0x7f800000
	v_cndmask_b32_e64 v2, 0xff800000, v2, s10
	s_delay_alu instid0(VALU_DEP_1)
	v_cndmask_b32_e32 v3, 0x7f800001, v2, vcc_lo
; %bb.4236:                             ;   in Loop: Header=BB6_130 Depth=2
	s_or_b32 exec_lo, exec_lo, s41
.LBB6_4237:                             ;   in Loop: Header=BB6_130 Depth=2
	s_delay_alu instid0(SALU_CYCLE_1)
	s_or_b32 exec_lo, exec_lo, s40
.LBB6_4238:                             ;   in Loop: Header=BB6_130 Depth=2
	s_delay_alu instid0(SALU_CYCLE_1) | instskip(NEXT) | instid1(VALU_DEP_1)
	s_or_b32 exec_lo, exec_lo, s29
	v_dual_add_f32 v4, v4, v3 :: v_dual_mov_b32 v63, v1
	v_mov_b32_e32 v3, v1
                                        ; implicit-def: $vgpr38
	s_mov_b32 s10, exec_lo
	s_delay_alu instid0(VALU_DEP_2) | instskip(SKIP_2) | instid1(VALU_DEP_3)
	v_and_b32_e32 v62, 0x7f800000, v4
	v_and_b32_e32 v2, 0x7fffff, v4
	v_lshrrev_b32_e32 v5, 24, v4
	v_cmpx_ne_u64_e32 0x7f800000, v[62:63]
	s_xor_b32 s29, exec_lo, s10
	s_cbranch_execz .LBB6_4252
; %bb.4239:                             ;   in Loop: Header=BB6_130 Depth=2
	v_and_b32_e32 v62, 0x7fffffff, v4
	v_mov_b32_e32 v63, v1
	v_and_b32_e32 v50, 0x80, v5
                                        ; implicit-def: $vgpr38
	s_mov_b32 s10, exec_lo
	s_delay_alu instid0(VALU_DEP_2)
	v_cmpx_gt_u64_e32 0x47600001, v[62:63]
	s_xor_b32 s40, exec_lo, s10
	s_cbranch_execz .LBB6_4249
; %bb.4240:                             ;   in Loop: Header=BB6_130 Depth=2
	v_mov_b32_e32 v38, 0
	s_mov_b32 s41, exec_lo
	v_cmpx_ne_u32_e32 0, v4
	s_cbranch_execz .LBB6_4248
; %bb.4241:                             ;   in Loop: Header=BB6_130 Depth=2
	v_bfe_u32 v38, v4, 23, 8
	v_or_b32_e32 v5, 0x800000, v2
	s_delay_alu instid0(VALU_DEP_2) | instskip(SKIP_2) | instid1(VALU_DEP_2)
	v_cmp_gt_u32_e64 s10, 0x72, v38
	v_sub_nc_u32_e32 v4, 0x71, v38
	v_cmp_eq_u32_e32 vcc_lo, 0, v38
	v_dual_cndmask_b32 v4, 0, v4, s10 :: v_dual_cndmask_b32 v2, v5, v2, vcc_lo
	s_delay_alu instid0(VALU_DEP_1) | instskip(NEXT) | instid1(VALU_DEP_1)
	v_cndmask_b32_e64 v54, v4, 0x70, vcc_lo
	v_dual_add_nc_u32 v4, 21, v54 :: v_dual_add_nc_u32 v67, 20, v54
	s_delay_alu instid0(VALU_DEP_1) | instskip(NEXT) | instid1(VALU_DEP_2)
	v_lshlrev_b64_e64 v[4:5], v4, -1
	v_lshlrev_b64_e64 v[62:63], v67, 1
	s_delay_alu instid0(VALU_DEP_2) | instskip(SKIP_1) | instid1(VALU_DEP_4)
	v_bfi_b32 v4, v4, 0, v2
	v_lshrrev_b64 v[2:3], v54, v[2:3]
	v_bfi_b32 v5, v5, 0, 0
	s_delay_alu instid0(VALU_DEP_1) | instskip(NEXT) | instid1(VALU_DEP_3)
	v_cmp_eq_u64_e64 s10, v[4:5], v[62:63]
	v_mov_b64_e32 v[4:5], v[2:3]
	s_and_saveexec_b32 s42, s10
; %bb.4242:                             ;   in Loop: Header=BB6_130 Depth=2
	v_bfe_u32 v4, v2, 21, 1
	v_mov_b32_e32 v5, v1
	s_delay_alu instid0(VALU_DEP_1) | instskip(NEXT) | instid1(VALU_DEP_1)
	v_add_nc_u64_e32 v[4:5], v[2:3], v[4:5]
	v_add_nc_u64_e32 v[4:5], -1, v[4:5]
; %bb.4243:                             ;   in Loop: Header=BB6_130 Depth=2
	s_or_b32 exec_lo, exec_lo, s42
	v_add_nc_u32_e32 v3, 0xffffff81, v38
	v_lshrrev_b32_e32 v5, 23, v2
	s_mov_b32 s10, exec_lo
	s_delay_alu instid0(VALU_DEP_2) | instskip(NEXT) | instid1(VALU_DEP_1)
	v_cndmask_b32_e64 v3, v3, 0xffffff82, vcc_lo
	v_add3_u32 v38, v54, v3, v5
	v_and_b32_e32 v3, 0x1fffff, v4
                                        ; implicit-def: $vgpr4
	s_delay_alu instid0(VALU_DEP_2) | instskip(NEXT) | instid1(VALU_DEP_2)
	v_add_nc_u32_e32 v5, 14, v38
	v_dual_mov_b32 v3, v1 :: v_dual_add_nc_u32 v2, v3, v2
	s_delay_alu instid0(VALU_DEP_2)
	v_cmpx_ne_u32_e32 0, v5
	s_xor_b32 s10, exec_lo, s10
; %bb.4244:                             ;   in Loop: Header=BB6_130 Depth=2
	s_delay_alu instid0(VALU_DEP_2) | instskip(SKIP_1) | instid1(VALU_DEP_1)
	v_cmp_lt_u64_e32 vcc_lo, 0xffffff, v[2:3]
	v_add_nc_u32_e32 v4, 15, v38
	v_cndmask_b32_e32 v4, v5, v4, vcc_lo
	v_cndmask_b32_e64 v5, 0, 1, vcc_lo
	s_delay_alu instid0(VALU_DEP_1)
	v_lshrrev_b64 v[2:3], v5, v[2:3]
; %bb.4245:                             ;   in Loop: Header=BB6_130 Depth=2
	s_and_not1_saveexec_b32 s10, s10
; %bb.4246:                             ;   in Loop: Header=BB6_130 Depth=2
	s_delay_alu instid0(VALU_DEP_1)
	v_bfe_u32 v4, v2, 23, 1
; %bb.4247:                             ;   in Loop: Header=BB6_130 Depth=2
	s_or_b32 exec_lo, exec_lo, s10
	s_delay_alu instid0(VALU_DEP_2) | instskip(NEXT) | instid1(VALU_DEP_2)
	v_lshrrev_b64 v[2:3], 21, v[2:3]
	v_cmp_gt_i32_e32 vcc_lo, 32, v4
	v_min_i32_e32 v5, 31, v4
	v_cmp_eq_u32_e64 s10, 0, v4
	s_delay_alu instid0(VALU_DEP_2) | instskip(SKIP_1) | instid1(VALU_DEP_2)
	v_dual_cndmask_b32 v3, 0, v3, vcc_lo :: v_dual_lshlrev_b32 v5, 2, v5
	v_cndmask_b32_e32 v2, 3, v2, vcc_lo
	v_and_b32_e32 v5, 0xfc, v5
	s_delay_alu instid0(VALU_DEP_2) | instskip(NEXT) | instid1(VALU_DEP_2)
	v_cmp_eq_u64_e32 vcc_lo, 0, v[2:3]
	v_and_or_b32 v2, v2, 3, v5
	s_and_b32 s10, s10, vcc_lo
	s_delay_alu instid0(VALU_DEP_1) | instid1(SALU_CYCLE_1)
	v_cndmask_b32_e64 v2, v2, 0, s10
	s_delay_alu instid0(VALU_DEP_1)
	v_or_b32_e32 v38, v2, v50
.LBB6_4248:                             ;   in Loop: Header=BB6_130 Depth=2
	s_or_b32 exec_lo, exec_lo, s41
                                        ; implicit-def: $vgpr50
.LBB6_4249:                             ;   in Loop: Header=BB6_130 Depth=2
	s_and_not1_saveexec_b32 s10, s40
; %bb.4250:                             ;   in Loop: Header=BB6_130 Depth=2
	v_or_b32_e32 v38, 0x7b, v50
; %bb.4251:                             ;   in Loop: Header=BB6_130 Depth=2
	s_or_b32 exec_lo, exec_lo, s10
                                        ; implicit-def: $vgpr4
                                        ; implicit-def: $vgpr2_vgpr3
                                        ; implicit-def: $vgpr5
.LBB6_4252:                             ;   in Loop: Header=BB6_130 Depth=2
	s_and_not1_saveexec_b32 s10, s29
	s_cbranch_execz .LBB6_4258
; %bb.4253:                             ;   in Loop: Header=BB6_130 Depth=2
	s_mov_b32 s29, exec_lo
                                        ; implicit-def: $vgpr38
	v_cmpx_ne_u64_e32 0, v[2:3]
	s_xor_b32 s29, exec_lo, s29
; %bb.4254:                             ;   in Loop: Header=BB6_130 Depth=2
	v_or_b32_e32 v38, 0x7f, v5
                                        ; implicit-def: $vgpr4
; %bb.4255:                             ;   in Loop: Header=BB6_130 Depth=2
	s_and_not1_saveexec_b32 s29, s29
; %bb.4256:                             ;   in Loop: Header=BB6_130 Depth=2
	v_cmp_lt_i32_e32 vcc_lo, -1, v4
	v_mov_b32_e32 v2, 0x7c
	s_delay_alu instid0(VALU_DEP_1)
	v_cndmask_b32_e32 v38, 0xfc, v2, vcc_lo
; %bb.4257:                             ;   in Loop: Header=BB6_130 Depth=2
	s_or_b32 exec_lo, exec_lo, s29
.LBB6_4258:                             ;   in Loop: Header=BB6_130 Depth=2
	s_delay_alu instid0(SALU_CYCLE_1)
	s_or_b32 exec_lo, exec_lo, s10
	v_dual_mov_b32 v3, 0 :: v_dual_mov_b32 v4, 0
	s_mov_b32 s29, exec_lo
	v_cmpx_lt_u32_e32 0xffffff, v0
	s_cbranch_execz .LBB6_4268
; %bb.4259:                             ;   in Loop: Header=BB6_130 Depth=2
	v_lshrrev_b32_e32 v2, 24, v0
	v_bfrev_b32_e32 v4, 1
	s_mov_b32 s40, exec_lo
	s_delay_alu instid0(VALU_DEP_2)
	v_cmpx_ne_u32_e32 0x80, v2
	s_cbranch_execz .LBB6_4267
; %bb.4260:                             ;   in Loop: Header=BB6_130 Depth=2
	v_and_b32_e32 v4, 0x7c000000, v0
	v_bfe_u32 v5, v0, 24, 2
	s_delay_alu instid0(VALU_DEP_2) | instskip(SKIP_1) | instid1(SALU_CYCLE_1)
	v_cmp_ne_u32_e32 vcc_lo, 0x7c000000, v4
                                        ; implicit-def: $vgpr4
	s_and_saveexec_b32 s10, vcc_lo
	s_xor_b32 s10, exec_lo, s10
	s_cbranch_execz .LBB6_4264
; %bb.4261:                             ;   in Loop: Header=BB6_130 Depth=2
	v_bfe_u32 v4, v0, 26, 5
	s_mov_b32 s41, exec_lo
	s_delay_alu instid0(VALU_DEP_1)
	v_cmpx_eq_u32_e32 0, v4
; %bb.4262:                             ;   in Loop: Header=BB6_130 Depth=2
	v_clz_i32_u32_e32 v4, v5
	s_delay_alu instid0(VALU_DEP_1) | instskip(NEXT) | instid1(VALU_DEP_1)
	v_min_u32_e32 v4, 32, v4
	v_subrev_nc_u32_e32 v5, 29, v4
	s_delay_alu instid0(VALU_DEP_1) | instskip(NEXT) | instid1(VALU_DEP_1)
	v_lshlrev_b64_e32 v[62:63], v5, v[2:3]
	v_dual_sub_nc_u32 v4, 30, v4 :: v_dual_bitop2_b32 v5, 3, v62 bitop3:0x40
; %bb.4263:                             ;   in Loop: Header=BB6_130 Depth=2
	s_or_b32 exec_lo, exec_lo, s41
	v_and_b32_e32 v0, 0x80000000, v0
	s_delay_alu instid0(VALU_DEP_1) | instskip(NEXT) | instid1(VALU_DEP_1)
	v_lshl_add_u32 v0, v4, 23, v0
	v_lshl_or_b32 v0, v5, 21, v0
                                        ; implicit-def: $vgpr5
	s_delay_alu instid0(VALU_DEP_1)
	v_add_nc_u32_e32 v4, 0x38000000, v0
.LBB6_4264:                             ;   in Loop: Header=BB6_130 Depth=2
	s_and_not1_saveexec_b32 s41, s10
; %bb.4265:                             ;   in Loop: Header=BB6_130 Depth=2
	v_cmp_lt_i32_e64 s10, -1, v0
	v_mov_b32_e32 v0, 0x7f800000
	v_cmp_eq_u32_e32 vcc_lo, 0, v5
	s_delay_alu instid0(VALU_DEP_2) | instskip(NEXT) | instid1(VALU_DEP_1)
	v_cndmask_b32_e64 v0, 0xff800000, v0, s10
	v_cndmask_b32_e32 v4, 0x7f800001, v0, vcc_lo
; %bb.4266:                             ;   in Loop: Header=BB6_130 Depth=2
	s_or_b32 exec_lo, exec_lo, s41
.LBB6_4267:                             ;   in Loop: Header=BB6_130 Depth=2
	s_delay_alu instid0(SALU_CYCLE_1)
	s_or_b32 exec_lo, exec_lo, s40
.LBB6_4268:                             ;   in Loop: Header=BB6_130 Depth=2
	s_delay_alu instid0(SALU_CYCLE_1) | instskip(NEXT) | instid1(SALU_CYCLE_1)
	s_or_b32 exec_lo, exec_lo, s29
	s_mov_b32 s29, exec_lo
	v_cmpx_lt_u64_e64 s[12:13], v[10:11]
	s_cbranch_execz .LBB6_4278
; %bb.4269:                             ;   in Loop: Header=BB6_130 Depth=2
	v_lshrrev_b32_e32 v0, 24, v11
	v_bfrev_b32_e32 v3, 1
	s_mov_b32 s40, exec_lo
	s_delay_alu instid0(VALU_DEP_2)
	v_cmpx_ne_u32_e32 0x80, v0
	s_cbranch_execz .LBB6_4277
; %bb.4270:                             ;   in Loop: Header=BB6_130 Depth=2
	v_and_b32_e32 v3, 0x7c000000, v11
	v_bfe_u32 v2, v11, 24, 2
	s_delay_alu instid0(VALU_DEP_2) | instskip(SKIP_1) | instid1(SALU_CYCLE_1)
	v_cmp_ne_u32_e32 vcc_lo, 0x7c000000, v3
                                        ; implicit-def: $vgpr3
	s_and_saveexec_b32 s10, vcc_lo
	s_xor_b32 s10, exec_lo, s10
	s_cbranch_execz .LBB6_4274
; %bb.4271:                             ;   in Loop: Header=BB6_130 Depth=2
	v_bfe_u32 v3, v11, 26, 5
	s_mov_b32 s41, exec_lo
	s_delay_alu instid0(VALU_DEP_1)
	v_cmpx_eq_u32_e32 0, v3
; %bb.4272:                             ;   in Loop: Header=BB6_130 Depth=2
	v_clz_i32_u32_e32 v2, v2
	s_delay_alu instid0(VALU_DEP_1) | instskip(NEXT) | instid1(VALU_DEP_1)
	v_min_u32_e32 v5, 32, v2
	v_subrev_nc_u32_e32 v2, 29, v5
	s_delay_alu instid0(VALU_DEP_1) | instskip(NEXT) | instid1(VALU_DEP_1)
	v_lshlrev_b64_e32 v[2:3], v2, v[0:1]
	v_dual_sub_nc_u32 v3, 30, v5 :: v_dual_bitop2_b32 v2, 3, v2 bitop3:0x40
; %bb.4273:                             ;   in Loop: Header=BB6_130 Depth=2
	s_or_b32 exec_lo, exec_lo, s41
	v_and_b32_e32 v0, 0x80000000, v11
	s_delay_alu instid0(VALU_DEP_1) | instskip(NEXT) | instid1(VALU_DEP_1)
	v_lshl_add_u32 v0, v3, 23, v0
	v_lshl_or_b32 v0, v2, 21, v0
                                        ; implicit-def: $vgpr2
	s_delay_alu instid0(VALU_DEP_1)
	v_add_nc_u32_e32 v3, 0x38000000, v0
.LBB6_4274:                             ;   in Loop: Header=BB6_130 Depth=2
	s_and_not1_saveexec_b32 s41, s10
; %bb.4275:                             ;   in Loop: Header=BB6_130 Depth=2
	v_cmp_lt_i64_e64 s10, -1, v[10:11]
	v_mov_b32_e32 v0, 0x7f800000
	v_cmp_eq_u32_e32 vcc_lo, 0, v2
	s_delay_alu instid0(VALU_DEP_2) | instskip(NEXT) | instid1(VALU_DEP_1)
	v_cndmask_b32_e64 v0, 0xff800000, v0, s10
	v_cndmask_b32_e32 v3, 0x7f800001, v0, vcc_lo
; %bb.4276:                             ;   in Loop: Header=BB6_130 Depth=2
	s_or_b32 exec_lo, exec_lo, s41
.LBB6_4277:                             ;   in Loop: Header=BB6_130 Depth=2
	s_delay_alu instid0(SALU_CYCLE_1)
	s_or_b32 exec_lo, exec_lo, s40
.LBB6_4278:                             ;   in Loop: Header=BB6_130 Depth=2
	s_delay_alu instid0(SALU_CYCLE_1) | instskip(NEXT) | instid1(VALU_DEP_1)
	s_or_b32 exec_lo, exec_lo, s29
	v_dual_add_f32 v2, v4, v3 :: v_dual_mov_b32 v5, v1
                                        ; implicit-def: $vgpr10
	s_mov_b32 s10, exec_lo
	s_delay_alu instid0(VALU_DEP_1) | instskip(SKIP_2) | instid1(VALU_DEP_3)
	v_and_b32_e32 v4, 0x7f800000, v2
	v_and_b32_e32 v0, 0x7fffff, v2
	v_lshrrev_b32_e32 v3, 24, v2
	v_cmpx_ne_u64_e32 0x7f800000, v[4:5]
	s_xor_b32 s29, exec_lo, s10
	s_cbranch_execz .LBB6_4292
; %bb.4279:                             ;   in Loop: Header=BB6_130 Depth=2
	v_and_b32_e32 v4, 0x7fffffff, v2
	v_mov_b32_e32 v5, v1
	v_and_b32_e32 v11, 0x80, v3
                                        ; implicit-def: $vgpr10
	s_mov_b32 s10, exec_lo
	s_delay_alu instid0(VALU_DEP_2)
	v_cmpx_gt_u64_e32 0x47600001, v[4:5]
	s_xor_b32 s40, exec_lo, s10
	s_cbranch_execz .LBB6_4289
; %bb.4280:                             ;   in Loop: Header=BB6_130 Depth=2
	v_mov_b32_e32 v10, 0
	s_mov_b32 s41, exec_lo
	v_cmpx_ne_u32_e32 0, v2
	s_cbranch_execz .LBB6_4288
; %bb.4281:                             ;   in Loop: Header=BB6_130 Depth=2
	v_bfe_u32 v10, v2, 23, 8
	v_or_b32_e32 v3, 0x800000, v0
	s_delay_alu instid0(VALU_DEP_2) | instskip(SKIP_2) | instid1(VALU_DEP_2)
	v_cmp_gt_u32_e64 s10, 0x72, v10
	v_sub_nc_u32_e32 v2, 0x71, v10
	v_cmp_eq_u32_e32 vcc_lo, 0, v10
	v_cndmask_b32_e64 v2, 0, v2, s10
	s_delay_alu instid0(VALU_DEP_1) | instskip(SKIP_1) | instid1(VALU_DEP_2)
	v_cndmask_b32_e64 v50, v2, 0x70, vcc_lo
	v_dual_cndmask_b32 v2, v3, v0 :: v_dual_mov_b32 v3, v1
	v_add_nc_u32_e32 v0, 21, v50
	s_delay_alu instid0(VALU_DEP_1) | instskip(SKIP_1) | instid1(VALU_DEP_1)
	v_lshlrev_b64_e64 v[4:5], v0, -1
	v_add_nc_u32_e32 v0, 20, v50
	v_lshlrev_b64_e64 v[62:63], v0, 1
	s_delay_alu instid0(VALU_DEP_3) | instskip(SKIP_2) | instid1(VALU_DEP_1)
	v_bfi_b32 v4, v4, 0, v2
	v_lshrrev_b64 v[2:3], v50, v[2:3]
	v_bfi_b32 v5, v5, 0, 0
	v_cmp_eq_u64_e64 s10, v[4:5], v[62:63]
	s_delay_alu instid0(VALU_DEP_3)
	v_mov_b64_e32 v[4:5], v[2:3]
	s_and_saveexec_b32 s42, s10
; %bb.4282:                             ;   in Loop: Header=BB6_130 Depth=2
	v_bfe_u32 v4, v2, 21, 1
	v_mov_b32_e32 v5, v1
	s_delay_alu instid0(VALU_DEP_1) | instskip(NEXT) | instid1(VALU_DEP_1)
	v_add_nc_u64_e32 v[4:5], v[2:3], v[4:5]
	v_add_nc_u64_e32 v[4:5], -1, v[4:5]
; %bb.4283:                             ;   in Loop: Header=BB6_130 Depth=2
	s_or_b32 exec_lo, exec_lo, s42
	v_add_nc_u32_e32 v0, 0xffffff81, v10
	s_delay_alu instid0(VALU_DEP_2) | instskip(SKIP_2) | instid1(VALU_DEP_3)
	v_and_b32_e32 v4, 0x1fffff, v4
	v_lshrrev_b32_e32 v3, 23, v2
	s_mov_b32 s10, exec_lo
	v_cndmask_b32_e64 v0, v0, 0xffffff82, vcc_lo
	s_delay_alu instid0(VALU_DEP_1) | instskip(SKIP_1) | instid1(VALU_DEP_2)
	v_add3_u32 v10, v50, v0, v3
	v_add_nc_u32_e32 v0, v4, v2
                                        ; implicit-def: $vgpr2_vgpr3
                                        ; implicit-def: $vgpr4
	v_add_nc_u32_e32 v5, 14, v10
	s_delay_alu instid0(VALU_DEP_1)
	v_cmpx_ne_u32_e32 0, v5
	s_xor_b32 s10, exec_lo, s10
; %bb.4284:                             ;   in Loop: Header=BB6_130 Depth=2
	s_delay_alu instid0(VALU_DEP_3) | instskip(SKIP_1) | instid1(VALU_DEP_1)
	v_cmp_lt_u64_e32 vcc_lo, 0xffffff, v[0:1]
	v_add_nc_u32_e32 v2, 15, v10
	v_cndmask_b32_e32 v4, v5, v2, vcc_lo
	v_cndmask_b32_e64 v2, 0, 1, vcc_lo
	s_delay_alu instid0(VALU_DEP_1)
	v_lshrrev_b64 v[2:3], v2, v[0:1]
; %bb.4285:                             ;   in Loop: Header=BB6_130 Depth=2
	s_and_not1_saveexec_b32 s10, s10
; %bb.4286:                             ;   in Loop: Header=BB6_130 Depth=2
	v_mov_b64_e32 v[2:3], v[0:1]
	v_bfe_u32 v4, v0, 23, 1
; %bb.4287:                             ;   in Loop: Header=BB6_130 Depth=2
	s_or_b32 exec_lo, exec_lo, s10
	s_delay_alu instid0(VALU_DEP_2) | instskip(NEXT) | instid1(VALU_DEP_2)
	v_lshrrev_b64 v[2:3], 21, v[2:3]
	v_cmp_gt_i32_e32 vcc_lo, 32, v4
	v_min_i32_e32 v0, 31, v4
	v_cmp_eq_u32_e64 s10, 0, v4
	s_delay_alu instid0(VALU_DEP_2) | instskip(SKIP_1) | instid1(VALU_DEP_2)
	v_dual_cndmask_b32 v3, 0, v3 :: v_dual_lshlrev_b32 v0, 2, v0
	v_cndmask_b32_e32 v2, 3, v2, vcc_lo
	v_and_b32_e32 v0, 0xfc, v0
	s_delay_alu instid0(VALU_DEP_2) | instskip(NEXT) | instid1(VALU_DEP_2)
	v_cmp_eq_u64_e32 vcc_lo, 0, v[2:3]
	v_and_or_b32 v0, v2, 3, v0
	s_and_b32 s10, s10, vcc_lo
	s_delay_alu instid0(VALU_DEP_1) | instid1(SALU_CYCLE_1)
	v_cndmask_b32_e64 v0, v0, 0, s10
	s_delay_alu instid0(VALU_DEP_1)
	v_or_b32_e32 v10, v0, v11
.LBB6_4288:                             ;   in Loop: Header=BB6_130 Depth=2
	s_or_b32 exec_lo, exec_lo, s41
                                        ; implicit-def: $vgpr11
.LBB6_4289:                             ;   in Loop: Header=BB6_130 Depth=2
	s_and_not1_saveexec_b32 s10, s40
; %bb.4290:                             ;   in Loop: Header=BB6_130 Depth=2
	v_or_b32_e32 v10, 0x7b, v11
; %bb.4291:                             ;   in Loop: Header=BB6_130 Depth=2
	s_or_b32 exec_lo, exec_lo, s10
                                        ; implicit-def: $vgpr2
                                        ; implicit-def: $vgpr3
.LBB6_4292:                             ;   in Loop: Header=BB6_130 Depth=2
	s_and_not1_saveexec_b32 s10, s29
	s_cbranch_execz .LBB6_4298
; %bb.4293:                             ;   in Loop: Header=BB6_130 Depth=2
	s_mov_b32 s29, exec_lo
                                        ; implicit-def: $vgpr10
	v_cmpx_ne_u64_e32 0, v[0:1]
	s_xor_b32 s29, exec_lo, s29
; %bb.4294:                             ;   in Loop: Header=BB6_130 Depth=2
	v_or_b32_e32 v10, 0x7f, v3
                                        ; implicit-def: $vgpr2
; %bb.4295:                             ;   in Loop: Header=BB6_130 Depth=2
	s_and_not1_saveexec_b32 s29, s29
; %bb.4296:                             ;   in Loop: Header=BB6_130 Depth=2
	v_cmp_lt_i32_e32 vcc_lo, -1, v2
	v_mov_b32_e32 v0, 0x7c
	s_delay_alu instid0(VALU_DEP_1)
	v_cndmask_b32_e32 v10, 0xfc, v0, vcc_lo
; %bb.4297:                             ;   in Loop: Header=BB6_130 Depth=2
	s_or_b32 exec_lo, exec_lo, s29
.LBB6_4298:                             ;   in Loop: Header=BB6_130 Depth=2
	s_delay_alu instid0(SALU_CYCLE_1) | instskip(SKIP_4) | instid1(VALU_DEP_2)
	s_or_b32 exec_lo, exec_lo, s10
	v_lshl_or_b32 v31, v31, 8, v26
	v_dual_lshlrev_b32 v0, 16, v35 :: v_dual_lshlrev_b32 v2, 24, v37
	s_mov_b32 s29, exec_lo
	v_mov_b32_e32 v3, 0
	v_or3_b32 v0, v0, v2, v31
	v_mov_b32_e32 v2, 0
	v_cmpx_ne_u32_e32 0, v26
	s_cbranch_execz .LBB6_4308
; %bb.4299:                             ;   in Loop: Header=BB6_130 Depth=2
	v_bfrev_b32_e32 v3, 1
	s_mov_b32 s40, exec_lo
	v_cmpx_ne_u32_e32 0x80, v26
	s_cbranch_execz .LBB6_4307
; %bb.4300:                             ;   in Loop: Header=BB6_130 Depth=2
	v_and_b32_e32 v3, 0x7c, v26
	v_and_b32_e32 v4, 3, v26
	s_delay_alu instid0(VALU_DEP_2) | instskip(SKIP_1) | instid1(SALU_CYCLE_1)
	v_cmp_ne_u32_e32 vcc_lo, 0x7c, v3
                                        ; implicit-def: $vgpr3
	s_and_saveexec_b32 s10, vcc_lo
	s_xor_b32 s10, exec_lo, s10
	s_cbranch_execz .LBB6_4304
; %bb.4301:                             ;   in Loop: Header=BB6_130 Depth=2
	v_bfe_u32 v3, v26, 2, 5
	s_mov_b32 s41, exec_lo
	s_delay_alu instid0(VALU_DEP_1)
	v_cmpx_eq_u32_e32 0, v3
; %bb.4302:                             ;   in Loop: Header=BB6_130 Depth=2
	v_clz_i32_u32_e32 v3, v4
	s_delay_alu instid0(VALU_DEP_1) | instskip(NEXT) | instid1(VALU_DEP_1)
	v_min_u32_e32 v3, 32, v3
	v_subrev_nc_u32_e32 v4, 29, v3
	s_delay_alu instid0(VALU_DEP_1) | instskip(NEXT) | instid1(VALU_DEP_1)
	v_lshlrev_b64_e32 v[4:5], v4, v[0:1]
	v_dual_sub_nc_u32 v3, 30, v3 :: v_dual_bitop2_b32 v4, 3, v4 bitop3:0x40
; %bb.4303:                             ;   in Loop: Header=BB6_130 Depth=2
	s_or_b32 exec_lo, exec_lo, s41
	v_lshlrev_b32_e32 v5, 24, v26
                                        ; implicit-def: $vgpr26
	s_delay_alu instid0(VALU_DEP_1) | instskip(NEXT) | instid1(VALU_DEP_1)
	v_and_b32_e32 v5, 0x80000000, v5
	v_lshl_add_u32 v3, v3, 23, v5
	s_delay_alu instid0(VALU_DEP_1) | instskip(NEXT) | instid1(VALU_DEP_1)
	v_lshl_or_b32 v3, v4, 21, v3
                                        ; implicit-def: $vgpr4
	v_add_nc_u32_e32 v3, 0x38000000, v3
.LBB6_4304:                             ;   in Loop: Header=BB6_130 Depth=2
	s_and_not1_saveexec_b32 s41, s10
; %bb.4305:                             ;   in Loop: Header=BB6_130 Depth=2
	v_and_b32_e32 v3, 0x80, v26
	v_cmp_eq_u32_e32 vcc_lo, 0, v4
	s_delay_alu instid0(VALU_DEP_2) | instskip(SKIP_1) | instid1(VALU_DEP_1)
	v_cmp_eq_u32_e64 s10, 0, v3
	v_mov_b32_e32 v3, 0x7f800000
	v_cndmask_b32_e64 v3, 0xff800000, v3, s10
	s_delay_alu instid0(VALU_DEP_1)
	v_cndmask_b32_e32 v3, 0x7f800001, v3, vcc_lo
; %bb.4306:                             ;   in Loop: Header=BB6_130 Depth=2
	s_or_b32 exec_lo, exec_lo, s41
.LBB6_4307:                             ;   in Loop: Header=BB6_130 Depth=2
	s_delay_alu instid0(SALU_CYCLE_1)
	s_or_b32 exec_lo, exec_lo, s40
.LBB6_4308:                             ;   in Loop: Header=BB6_130 Depth=2
	s_delay_alu instid0(SALU_CYCLE_1) | instskip(SKIP_2) | instid1(VALU_DEP_1)
	s_or_b32 exec_lo, exec_lo, s29
	v_and_b32_e32 v4, 0xff, v12
	s_mov_b32 s29, exec_lo
	v_cmpx_ne_u16_e32 0, v4
	s_cbranch_execz .LBB6_4318
; %bb.4309:                             ;   in Loop: Header=BB6_130 Depth=2
	v_bfe_i32 v5, v12, 0, 8
	v_bfrev_b32_e32 v2, 1
	s_mov_b32 s40, exec_lo
	s_delay_alu instid0(VALU_DEP_2)
	v_cmpx_ne_u16_e32 0xff80, v5
	s_cbranch_execz .LBB6_4317
; %bb.4310:                             ;   in Loop: Header=BB6_130 Depth=2
	v_and_b32_e32 v2, 0x7c, v12
	v_and_b32_e32 v4, 3, v12
	s_delay_alu instid0(VALU_DEP_2) | instskip(SKIP_1) | instid1(SALU_CYCLE_1)
	v_cmp_ne_u32_e32 vcc_lo, 0x7c, v2
                                        ; implicit-def: $vgpr2
	s_and_saveexec_b32 s10, vcc_lo
	s_xor_b32 s10, exec_lo, s10
	s_cbranch_execz .LBB6_4314
; %bb.4311:                             ;   in Loop: Header=BB6_130 Depth=2
	v_bfe_u32 v2, v12, 2, 5
	s_mov_b32 s41, exec_lo
	s_delay_alu instid0(VALU_DEP_1)
	v_cmpx_eq_u32_e32 0, v2
; %bb.4312:                             ;   in Loop: Header=BB6_130 Depth=2
	v_clz_i32_u32_e32 v2, v4
	s_delay_alu instid0(VALU_DEP_1) | instskip(NEXT) | instid1(VALU_DEP_1)
	v_min_u32_e32 v2, 32, v2
	v_subrev_nc_u32_e32 v4, 29, v2
	s_delay_alu instid0(VALU_DEP_1) | instskip(NEXT) | instid1(VALU_DEP_1)
	v_lshlrev_b64_e32 v[4:5], v4, v[12:13]
	v_dual_sub_nc_u32 v2, 30, v2 :: v_dual_bitop2_b32 v4, 3, v4 bitop3:0x40
; %bb.4313:                             ;   in Loop: Header=BB6_130 Depth=2
	s_or_b32 exec_lo, exec_lo, s41
	v_lshlrev_b32_e32 v5, 24, v12
	s_delay_alu instid0(VALU_DEP_1) | instskip(NEXT) | instid1(VALU_DEP_1)
	v_and_b32_e32 v5, 0x80000000, v5
	v_lshl_add_u32 v2, v2, 23, v5
                                        ; implicit-def: $vgpr5
	s_delay_alu instid0(VALU_DEP_1) | instskip(NEXT) | instid1(VALU_DEP_1)
	v_lshl_or_b32 v2, v4, 21, v2
                                        ; implicit-def: $vgpr4
	v_add_nc_u32_e32 v2, 0x38000000, v2
.LBB6_4314:                             ;   in Loop: Header=BB6_130 Depth=2
	s_and_not1_saveexec_b32 s41, s10
; %bb.4315:                             ;   in Loop: Header=BB6_130 Depth=2
	v_cmp_lt_i16_e64 s10, -1, v5
	v_mov_b32_e32 v2, 0x7f800000
	v_cmp_eq_u32_e32 vcc_lo, 0, v4
	s_delay_alu instid0(VALU_DEP_2) | instskip(NEXT) | instid1(VALU_DEP_1)
	v_cndmask_b32_e64 v2, 0xff800000, v2, s10
	v_cndmask_b32_e32 v2, 0x7f800001, v2, vcc_lo
; %bb.4316:                             ;   in Loop: Header=BB6_130 Depth=2
	s_or_b32 exec_lo, exec_lo, s41
.LBB6_4317:                             ;   in Loop: Header=BB6_130 Depth=2
	s_delay_alu instid0(SALU_CYCLE_1)
	s_or_b32 exec_lo, exec_lo, s40
.LBB6_4318:                             ;   in Loop: Header=BB6_130 Depth=2
	s_delay_alu instid0(SALU_CYCLE_1) | instskip(NEXT) | instid1(VALU_DEP_1)
	s_or_b32 exec_lo, exec_lo, s29
	v_dual_add_f32 v4, v3, v2 :: v_dual_mov_b32 v63, v1
	v_mov_b32_e32 v3, v1
                                        ; implicit-def: $vgpr11
	s_mov_b32 s10, exec_lo
	s_delay_alu instid0(VALU_DEP_2) | instskip(SKIP_2) | instid1(VALU_DEP_3)
	v_and_b32_e32 v62, 0x7f800000, v4
	v_and_b32_e32 v2, 0x7fffff, v4
	v_lshrrev_b32_e32 v5, 24, v4
	v_cmpx_ne_u64_e32 0x7f800000, v[62:63]
	s_xor_b32 s29, exec_lo, s10
	s_cbranch_execz .LBB6_4332
; %bb.4319:                             ;   in Loop: Header=BB6_130 Depth=2
	v_and_b32_e32 v62, 0x7fffffff, v4
	v_mov_b32_e32 v63, v1
	v_and_b32_e32 v26, 0x80, v5
                                        ; implicit-def: $vgpr11
	s_mov_b32 s10, exec_lo
	s_delay_alu instid0(VALU_DEP_2)
	v_cmpx_gt_u64_e32 0x47600001, v[62:63]
	s_xor_b32 s40, exec_lo, s10
	s_cbranch_execz .LBB6_4329
; %bb.4320:                             ;   in Loop: Header=BB6_130 Depth=2
	v_mov_b32_e32 v11, 0
	s_mov_b32 s41, exec_lo
	v_cmpx_ne_u32_e32 0, v4
	s_cbranch_execz .LBB6_4328
; %bb.4321:                             ;   in Loop: Header=BB6_130 Depth=2
	v_bfe_u32 v11, v4, 23, 8
	v_or_b32_e32 v5, 0x800000, v2
	s_delay_alu instid0(VALU_DEP_2) | instskip(SKIP_2) | instid1(VALU_DEP_2)
	v_cmp_gt_u32_e64 s10, 0x72, v11
	v_sub_nc_u32_e32 v4, 0x71, v11
	v_cmp_eq_u32_e32 vcc_lo, 0, v11
	v_dual_cndmask_b32 v4, 0, v4, s10 :: v_dual_cndmask_b32 v2, v5, v2, vcc_lo
	s_delay_alu instid0(VALU_DEP_1) | instskip(NEXT) | instid1(VALU_DEP_1)
	v_cndmask_b32_e64 v35, v4, 0x70, vcc_lo
	v_dual_add_nc_u32 v4, 21, v35 :: v_dual_add_nc_u32 v37, 20, v35
	s_delay_alu instid0(VALU_DEP_1) | instskip(NEXT) | instid1(VALU_DEP_2)
	v_lshlrev_b64_e64 v[4:5], v4, -1
	v_lshlrev_b64_e64 v[62:63], v37, 1
	s_delay_alu instid0(VALU_DEP_2) | instskip(SKIP_1) | instid1(VALU_DEP_4)
	v_bfi_b32 v4, v4, 0, v2
	v_lshrrev_b64 v[2:3], v35, v[2:3]
	v_bfi_b32 v5, v5, 0, 0
	s_delay_alu instid0(VALU_DEP_1) | instskip(NEXT) | instid1(VALU_DEP_3)
	v_cmp_eq_u64_e64 s10, v[4:5], v[62:63]
	v_mov_b64_e32 v[4:5], v[2:3]
	s_and_saveexec_b32 s42, s10
; %bb.4322:                             ;   in Loop: Header=BB6_130 Depth=2
	v_bfe_u32 v4, v2, 21, 1
	v_mov_b32_e32 v5, v1
	s_delay_alu instid0(VALU_DEP_1) | instskip(NEXT) | instid1(VALU_DEP_1)
	v_add_nc_u64_e32 v[4:5], v[2:3], v[4:5]
	v_add_nc_u64_e32 v[4:5], -1, v[4:5]
; %bb.4323:                             ;   in Loop: Header=BB6_130 Depth=2
	s_or_b32 exec_lo, exec_lo, s42
	v_add_nc_u32_e32 v3, 0xffffff81, v11
	v_lshrrev_b32_e32 v5, 23, v2
	s_mov_b32 s10, exec_lo
	s_delay_alu instid0(VALU_DEP_2) | instskip(NEXT) | instid1(VALU_DEP_1)
	v_cndmask_b32_e64 v3, v3, 0xffffff82, vcc_lo
	v_add3_u32 v11, v35, v3, v5
	v_and_b32_e32 v3, 0x1fffff, v4
                                        ; implicit-def: $vgpr4
	s_delay_alu instid0(VALU_DEP_1) | instskip(SKIP_1) | instid1(VALU_DEP_2)
	v_dual_add_nc_u32 v5, 14, v11 :: v_dual_add_nc_u32 v2, v3, v2
	v_mov_b32_e32 v3, v1
	v_cmpx_ne_u32_e32 0, v5
	s_xor_b32 s10, exec_lo, s10
; %bb.4324:                             ;   in Loop: Header=BB6_130 Depth=2
	s_delay_alu instid0(VALU_DEP_2) | instskip(SKIP_1) | instid1(VALU_DEP_1)
	v_cmp_lt_u64_e32 vcc_lo, 0xffffff, v[2:3]
	v_add_nc_u32_e32 v4, 15, v11
	v_cndmask_b32_e32 v4, v5, v4, vcc_lo
	v_cndmask_b32_e64 v5, 0, 1, vcc_lo
	s_delay_alu instid0(VALU_DEP_1)
	v_lshrrev_b64 v[2:3], v5, v[2:3]
; %bb.4325:                             ;   in Loop: Header=BB6_130 Depth=2
	s_and_not1_saveexec_b32 s10, s10
; %bb.4326:                             ;   in Loop: Header=BB6_130 Depth=2
	s_delay_alu instid0(VALU_DEP_1)
	v_bfe_u32 v4, v2, 23, 1
; %bb.4327:                             ;   in Loop: Header=BB6_130 Depth=2
	s_or_b32 exec_lo, exec_lo, s10
	s_delay_alu instid0(VALU_DEP_2) | instskip(NEXT) | instid1(VALU_DEP_2)
	v_lshrrev_b64 v[2:3], 21, v[2:3]
	v_cmp_gt_i32_e32 vcc_lo, 32, v4
	v_min_i32_e32 v5, 31, v4
	v_cmp_eq_u32_e64 s10, 0, v4
	s_delay_alu instid0(VALU_DEP_2) | instskip(SKIP_1) | instid1(VALU_DEP_2)
	v_dual_cndmask_b32 v3, 0, v3, vcc_lo :: v_dual_lshlrev_b32 v5, 2, v5
	v_cndmask_b32_e32 v2, 3, v2, vcc_lo
	v_and_b32_e32 v5, 0xfc, v5
	s_delay_alu instid0(VALU_DEP_2) | instskip(NEXT) | instid1(VALU_DEP_2)
	v_cmp_eq_u64_e32 vcc_lo, 0, v[2:3]
	v_and_or_b32 v2, v2, 3, v5
	s_and_b32 s10, s10, vcc_lo
	s_delay_alu instid0(VALU_DEP_1) | instid1(SALU_CYCLE_1)
	v_cndmask_b32_e64 v2, v2, 0, s10
	s_delay_alu instid0(VALU_DEP_1)
	v_or_b32_e32 v11, v2, v26
.LBB6_4328:                             ;   in Loop: Header=BB6_130 Depth=2
	s_or_b32 exec_lo, exec_lo, s41
                                        ; implicit-def: $vgpr26
.LBB6_4329:                             ;   in Loop: Header=BB6_130 Depth=2
	s_and_not1_saveexec_b32 s10, s40
; %bb.4330:                             ;   in Loop: Header=BB6_130 Depth=2
	v_or_b32_e32 v11, 0x7b, v26
; %bb.4331:                             ;   in Loop: Header=BB6_130 Depth=2
	s_or_b32 exec_lo, exec_lo, s10
                                        ; implicit-def: $vgpr4
                                        ; implicit-def: $vgpr2_vgpr3
                                        ; implicit-def: $vgpr5
.LBB6_4332:                             ;   in Loop: Header=BB6_130 Depth=2
	s_and_not1_saveexec_b32 s10, s29
	s_cbranch_execz .LBB6_4338
; %bb.4333:                             ;   in Loop: Header=BB6_130 Depth=2
	s_mov_b32 s29, exec_lo
                                        ; implicit-def: $vgpr11
	v_cmpx_ne_u64_e32 0, v[2:3]
	s_xor_b32 s29, exec_lo, s29
; %bb.4334:                             ;   in Loop: Header=BB6_130 Depth=2
	v_or_b32_e32 v11, 0x7f, v5
                                        ; implicit-def: $vgpr4
; %bb.4335:                             ;   in Loop: Header=BB6_130 Depth=2
	s_and_not1_saveexec_b32 s29, s29
; %bb.4336:                             ;   in Loop: Header=BB6_130 Depth=2
	v_cmp_lt_i32_e32 vcc_lo, -1, v4
	v_mov_b32_e32 v2, 0x7c
	s_delay_alu instid0(VALU_DEP_1)
	v_cndmask_b32_e32 v11, 0xfc, v2, vcc_lo
; %bb.4337:                             ;   in Loop: Header=BB6_130 Depth=2
	s_or_b32 exec_lo, exec_lo, s29
.LBB6_4338:                             ;   in Loop: Header=BB6_130 Depth=2
	s_delay_alu instid0(SALU_CYCLE_1) | instskip(SKIP_3) | instid1(VALU_DEP_2)
	s_or_b32 exec_lo, exec_lo, s10
	v_lshrrev_b16 v2, 8, v31
	v_dual_mov_b32 v4, 0 :: v_dual_mov_b32 v5, 0
	s_mov_b32 s29, exec_lo
	v_cmpx_ne_u16_e32 0, v2
	s_cbranch_execz .LBB6_4348
; %bb.4339:                             ;   in Loop: Header=BB6_130 Depth=2
	v_bfrev_b32_e32 v5, 1
	s_mov_b32 s40, exec_lo
	v_cmpx_ne_u16_e32 0x80, v2
	s_cbranch_execz .LBB6_4347
; %bb.4340:                             ;   in Loop: Header=BB6_130 Depth=2
	v_and_b32_e32 v26, 0xffff, v2
	s_delay_alu instid0(VALU_DEP_1) | instskip(SKIP_1) | instid1(VALU_DEP_2)
	v_and_b32_e32 v5, 0x7c, v26
	v_and_b32_e32 v3, 3, v26
	v_cmp_ne_u32_e32 vcc_lo, 0x7c, v5
                                        ; implicit-def: $vgpr5
	s_and_saveexec_b32 s10, vcc_lo
	s_delay_alu instid0(SALU_CYCLE_1)
	s_xor_b32 s10, exec_lo, s10
	s_cbranch_execz .LBB6_4344
; %bb.4341:                             ;   in Loop: Header=BB6_130 Depth=2
	v_bfe_u32 v5, v26, 2, 5
	s_mov_b32 s41, exec_lo
	s_delay_alu instid0(VALU_DEP_1)
	v_cmpx_eq_u32_e32 0, v5
	s_cbranch_execz .LBB6_4343
; %bb.4342:                             ;   in Loop: Header=BB6_130 Depth=2
	v_clz_i32_u32_e32 v3, v3
	s_delay_alu instid0(VALU_DEP_1) | instskip(SKIP_1) | instid1(VALU_DEP_2)
	v_min_u32_e32 v5, 32, v3
	v_mov_b32_e32 v3, v1
	v_subrev_nc_u32_e32 v26, 29, v5
	v_sub_nc_u32_e32 v5, 30, v5
	s_delay_alu instid0(VALU_DEP_2) | instskip(NEXT) | instid1(VALU_DEP_1)
	v_lshlrev_b64_e32 v[2:3], v26, v[2:3]
	v_and_b32_e32 v3, 3, v2
.LBB6_4343:                             ;   in Loop: Header=BB6_130 Depth=2
	s_or_b32 exec_lo, exec_lo, s41
	v_lshlrev_b32_e32 v2, 16, v31
                                        ; implicit-def: $vgpr31
	s_delay_alu instid0(VALU_DEP_1) | instskip(NEXT) | instid1(VALU_DEP_1)
	v_and_b32_e32 v2, 0x80000000, v2
	v_lshl_add_u32 v2, v5, 23, v2
	s_delay_alu instid0(VALU_DEP_1) | instskip(NEXT) | instid1(VALU_DEP_1)
	v_lshl_or_b32 v2, v3, 21, v2
                                        ; implicit-def: $vgpr3
	v_add_nc_u32_e32 v5, 0x38000000, v2
.LBB6_4344:                             ;   in Loop: Header=BB6_130 Depth=2
	s_and_not1_saveexec_b32 s41, s10
; %bb.4345:                             ;   in Loop: Header=BB6_130 Depth=2
	v_cmp_lt_i16_e64 s10, -1, v31
	v_mov_b32_e32 v2, 0x7f800000
	v_cmp_eq_u32_e32 vcc_lo, 0, v3
	s_delay_alu instid0(VALU_DEP_2) | instskip(NEXT) | instid1(VALU_DEP_1)
	v_cndmask_b32_e64 v2, 0xff800000, v2, s10
	v_cndmask_b32_e32 v5, 0x7f800001, v2, vcc_lo
; %bb.4346:                             ;   in Loop: Header=BB6_130 Depth=2
	s_or_b32 exec_lo, exec_lo, s41
.LBB6_4347:                             ;   in Loop: Header=BB6_130 Depth=2
	s_delay_alu instid0(SALU_CYCLE_1)
	s_or_b32 exec_lo, exec_lo, s40
.LBB6_4348:                             ;   in Loop: Header=BB6_130 Depth=2
	s_delay_alu instid0(SALU_CYCLE_1) | instskip(SKIP_2) | instid1(VALU_DEP_1)
	s_or_b32 exec_lo, exec_lo, s29
	v_lshrrev_b16 v2, 8, v12
	s_mov_b32 s29, exec_lo
	v_cmpx_ne_u16_e32 0, v2
	s_cbranch_execz .LBB6_4358
; %bb.4349:                             ;   in Loop: Header=BB6_130 Depth=2
	v_bfrev_b32_e32 v4, 1
	s_mov_b32 s40, exec_lo
	v_cmpx_ne_u16_e32 0x80, v2
	s_cbranch_execz .LBB6_4357
; %bb.4350:                             ;   in Loop: Header=BB6_130 Depth=2
	v_and_b32_e32 v26, 0xffff, v2
	s_delay_alu instid0(VALU_DEP_1) | instskip(SKIP_1) | instid1(VALU_DEP_2)
	v_and_b32_e32 v4, 0x7c, v26
	v_and_b32_e32 v3, 3, v26
	v_cmp_ne_u32_e32 vcc_lo, 0x7c, v4
                                        ; implicit-def: $vgpr4
	s_and_saveexec_b32 s10, vcc_lo
	s_delay_alu instid0(SALU_CYCLE_1)
	s_xor_b32 s10, exec_lo, s10
	s_cbranch_execz .LBB6_4354
; %bb.4351:                             ;   in Loop: Header=BB6_130 Depth=2
	v_bfe_u32 v4, v26, 2, 5
	s_mov_b32 s41, exec_lo
	s_delay_alu instid0(VALU_DEP_1)
	v_cmpx_eq_u32_e32 0, v4
	s_cbranch_execz .LBB6_4353
; %bb.4352:                             ;   in Loop: Header=BB6_130 Depth=2
	v_clz_i32_u32_e32 v3, v3
	s_delay_alu instid0(VALU_DEP_1) | instskip(SKIP_1) | instid1(VALU_DEP_2)
	v_min_u32_e32 v4, 32, v3
	v_mov_b32_e32 v3, v1
	v_subrev_nc_u32_e32 v26, 29, v4
	v_sub_nc_u32_e32 v4, 30, v4
	s_delay_alu instid0(VALU_DEP_2) | instskip(NEXT) | instid1(VALU_DEP_1)
	v_lshlrev_b64_e32 v[2:3], v26, v[2:3]
	v_and_b32_e32 v3, 3, v2
.LBB6_4353:                             ;   in Loop: Header=BB6_130 Depth=2
	s_or_b32 exec_lo, exec_lo, s41
	v_lshlrev_b32_e32 v2, 16, v12
	s_delay_alu instid0(VALU_DEP_1) | instskip(NEXT) | instid1(VALU_DEP_1)
	v_and_b32_e32 v2, 0x80000000, v2
	v_lshl_add_u32 v2, v4, 23, v2
	s_delay_alu instid0(VALU_DEP_1) | instskip(NEXT) | instid1(VALU_DEP_1)
	v_lshl_or_b32 v2, v3, 21, v2
                                        ; implicit-def: $vgpr3
	v_add_nc_u32_e32 v4, 0x38000000, v2
.LBB6_4354:                             ;   in Loop: Header=BB6_130 Depth=2
	s_and_not1_saveexec_b32 s41, s10
; %bb.4355:                             ;   in Loop: Header=BB6_130 Depth=2
	v_cmp_lt_i16_e64 s10, -1, v12
	v_mov_b32_e32 v2, 0x7f800000
	v_cmp_eq_u32_e32 vcc_lo, 0, v3
	s_delay_alu instid0(VALU_DEP_2) | instskip(NEXT) | instid1(VALU_DEP_1)
	v_cndmask_b32_e64 v2, 0xff800000, v2, s10
	v_cndmask_b32_e32 v4, 0x7f800001, v2, vcc_lo
; %bb.4356:                             ;   in Loop: Header=BB6_130 Depth=2
	s_or_b32 exec_lo, exec_lo, s41
.LBB6_4357:                             ;   in Loop: Header=BB6_130 Depth=2
	s_delay_alu instid0(SALU_CYCLE_1)
	s_or_b32 exec_lo, exec_lo, s40
.LBB6_4358:                             ;   in Loop: Header=BB6_130 Depth=2
	s_delay_alu instid0(SALU_CYCLE_1) | instskip(NEXT) | instid1(VALU_DEP_1)
	s_or_b32 exec_lo, exec_lo, s29
	v_add_f32_e32 v4, v5, v4
	v_dual_mov_b32 v63, v1 :: v_dual_mov_b32 v3, v1
                                        ; implicit-def: $vgpr26
	s_mov_b32 s10, exec_lo
	s_delay_alu instid0(VALU_DEP_2) | instskip(SKIP_2) | instid1(VALU_DEP_3)
	v_and_b32_e32 v62, 0x7f800000, v4
	v_and_b32_e32 v2, 0x7fffff, v4
	v_lshrrev_b32_e32 v5, 24, v4
	v_cmpx_ne_u64_e32 0x7f800000, v[62:63]
	s_xor_b32 s29, exec_lo, s10
	s_cbranch_execz .LBB6_4372
; %bb.4359:                             ;   in Loop: Header=BB6_130 Depth=2
	v_and_b32_e32 v62, 0x7fffffff, v4
	v_mov_b32_e32 v63, v1
	v_and_b32_e32 v31, 0x80, v5
                                        ; implicit-def: $vgpr26
	s_mov_b32 s10, exec_lo
	s_delay_alu instid0(VALU_DEP_2)
	v_cmpx_gt_u64_e32 0x47600001, v[62:63]
	s_xor_b32 s40, exec_lo, s10
	s_cbranch_execz .LBB6_4369
; %bb.4360:                             ;   in Loop: Header=BB6_130 Depth=2
	v_mov_b32_e32 v26, 0
	s_mov_b32 s41, exec_lo
	v_cmpx_ne_u32_e32 0, v4
	s_cbranch_execz .LBB6_4368
; %bb.4361:                             ;   in Loop: Header=BB6_130 Depth=2
	v_bfe_u32 v26, v4, 23, 8
	v_or_b32_e32 v5, 0x800000, v2
	s_delay_alu instid0(VALU_DEP_2) | instskip(SKIP_2) | instid1(VALU_DEP_2)
	v_cmp_gt_u32_e64 s10, 0x72, v26
	v_sub_nc_u32_e32 v4, 0x71, v26
	v_cmp_eq_u32_e32 vcc_lo, 0, v26
	v_dual_cndmask_b32 v4, 0, v4, s10 :: v_dual_cndmask_b32 v2, v5, v2, vcc_lo
	s_delay_alu instid0(VALU_DEP_1) | instskip(NEXT) | instid1(VALU_DEP_1)
	v_cndmask_b32_e64 v35, v4, 0x70, vcc_lo
	v_dual_add_nc_u32 v4, 21, v35 :: v_dual_add_nc_u32 v37, 20, v35
	s_delay_alu instid0(VALU_DEP_1) | instskip(NEXT) | instid1(VALU_DEP_2)
	v_lshlrev_b64_e64 v[4:5], v4, -1
	v_lshlrev_b64_e64 v[62:63], v37, 1
	s_delay_alu instid0(VALU_DEP_2) | instskip(SKIP_1) | instid1(VALU_DEP_4)
	v_bfi_b32 v4, v4, 0, v2
	v_lshrrev_b64 v[2:3], v35, v[2:3]
	v_bfi_b32 v5, v5, 0, 0
	s_delay_alu instid0(VALU_DEP_1) | instskip(NEXT) | instid1(VALU_DEP_3)
	v_cmp_eq_u64_e64 s10, v[4:5], v[62:63]
	v_mov_b64_e32 v[4:5], v[2:3]
	s_and_saveexec_b32 s42, s10
; %bb.4362:                             ;   in Loop: Header=BB6_130 Depth=2
	v_bfe_u32 v4, v2, 21, 1
	v_mov_b32_e32 v5, v1
	s_delay_alu instid0(VALU_DEP_1) | instskip(NEXT) | instid1(VALU_DEP_1)
	v_add_nc_u64_e32 v[4:5], v[2:3], v[4:5]
	v_add_nc_u64_e32 v[4:5], -1, v[4:5]
; %bb.4363:                             ;   in Loop: Header=BB6_130 Depth=2
	s_or_b32 exec_lo, exec_lo, s42
	v_add_nc_u32_e32 v3, 0xffffff81, v26
	v_lshrrev_b32_e32 v5, 23, v2
	s_mov_b32 s10, exec_lo
	s_delay_alu instid0(VALU_DEP_2) | instskip(NEXT) | instid1(VALU_DEP_1)
	v_cndmask_b32_e64 v3, v3, 0xffffff82, vcc_lo
	v_add3_u32 v26, v35, v3, v5
	v_and_b32_e32 v3, 0x1fffff, v4
                                        ; implicit-def: $vgpr4
	s_delay_alu instid0(VALU_DEP_2) | instskip(NEXT) | instid1(VALU_DEP_2)
	v_add_nc_u32_e32 v5, 14, v26
	v_dual_mov_b32 v3, v1 :: v_dual_add_nc_u32 v2, v3, v2
	s_delay_alu instid0(VALU_DEP_2)
	v_cmpx_ne_u32_e32 0, v5
	s_xor_b32 s10, exec_lo, s10
; %bb.4364:                             ;   in Loop: Header=BB6_130 Depth=2
	s_delay_alu instid0(VALU_DEP_2) | instskip(SKIP_1) | instid1(VALU_DEP_1)
	v_cmp_lt_u64_e32 vcc_lo, 0xffffff, v[2:3]
	v_add_nc_u32_e32 v4, 15, v26
	v_cndmask_b32_e32 v4, v5, v4, vcc_lo
	v_cndmask_b32_e64 v5, 0, 1, vcc_lo
	s_delay_alu instid0(VALU_DEP_1)
	v_lshrrev_b64 v[2:3], v5, v[2:3]
; %bb.4365:                             ;   in Loop: Header=BB6_130 Depth=2
	s_and_not1_saveexec_b32 s10, s10
; %bb.4366:                             ;   in Loop: Header=BB6_130 Depth=2
	s_delay_alu instid0(VALU_DEP_1)
	v_bfe_u32 v4, v2, 23, 1
; %bb.4367:                             ;   in Loop: Header=BB6_130 Depth=2
	s_or_b32 exec_lo, exec_lo, s10
	s_delay_alu instid0(VALU_DEP_2) | instskip(NEXT) | instid1(VALU_DEP_2)
	v_lshrrev_b64 v[2:3], 21, v[2:3]
	v_cmp_gt_i32_e32 vcc_lo, 32, v4
	v_min_i32_e32 v5, 31, v4
	v_cmp_eq_u32_e64 s10, 0, v4
	s_delay_alu instid0(VALU_DEP_2) | instskip(SKIP_1) | instid1(VALU_DEP_2)
	v_dual_cndmask_b32 v3, 0, v3, vcc_lo :: v_dual_lshlrev_b32 v5, 2, v5
	v_cndmask_b32_e32 v2, 3, v2, vcc_lo
	v_and_b32_e32 v5, 0xfc, v5
	s_delay_alu instid0(VALU_DEP_2) | instskip(NEXT) | instid1(VALU_DEP_2)
	v_cmp_eq_u64_e32 vcc_lo, 0, v[2:3]
	v_and_or_b32 v2, v2, 3, v5
	s_and_b32 s10, s10, vcc_lo
	s_delay_alu instid0(VALU_DEP_1) | instid1(SALU_CYCLE_1)
	v_cndmask_b32_e64 v2, v2, 0, s10
	s_delay_alu instid0(VALU_DEP_1)
	v_or_b32_e32 v26, v2, v31
.LBB6_4368:                             ;   in Loop: Header=BB6_130 Depth=2
	s_or_b32 exec_lo, exec_lo, s41
                                        ; implicit-def: $vgpr31
.LBB6_4369:                             ;   in Loop: Header=BB6_130 Depth=2
	s_and_not1_saveexec_b32 s10, s40
; %bb.4370:                             ;   in Loop: Header=BB6_130 Depth=2
	v_or_b32_e32 v26, 0x7b, v31
; %bb.4371:                             ;   in Loop: Header=BB6_130 Depth=2
	s_or_b32 exec_lo, exec_lo, s10
                                        ; implicit-def: $vgpr4
                                        ; implicit-def: $vgpr2_vgpr3
                                        ; implicit-def: $vgpr5
.LBB6_4372:                             ;   in Loop: Header=BB6_130 Depth=2
	s_and_not1_saveexec_b32 s10, s29
	s_cbranch_execz .LBB6_4378
; %bb.4373:                             ;   in Loop: Header=BB6_130 Depth=2
	s_mov_b32 s29, exec_lo
                                        ; implicit-def: $vgpr26
	v_cmpx_ne_u64_e32 0, v[2:3]
	s_xor_b32 s29, exec_lo, s29
; %bb.4374:                             ;   in Loop: Header=BB6_130 Depth=2
	v_or_b32_e32 v26, 0x7f, v5
                                        ; implicit-def: $vgpr4
; %bb.4375:                             ;   in Loop: Header=BB6_130 Depth=2
	s_and_not1_saveexec_b32 s29, s29
; %bb.4376:                             ;   in Loop: Header=BB6_130 Depth=2
	v_cmp_lt_i32_e32 vcc_lo, -1, v4
	v_mov_b32_e32 v2, 0x7c
	s_delay_alu instid0(VALU_DEP_1)
	v_cndmask_b32_e32 v26, 0xfc, v2, vcc_lo
; %bb.4377:                             ;   in Loop: Header=BB6_130 Depth=2
	s_or_b32 exec_lo, exec_lo, s29
.LBB6_4378:                             ;   in Loop: Header=BB6_130 Depth=2
	s_delay_alu instid0(SALU_CYCLE_1) | instskip(SKIP_3) | instid1(VALU_DEP_2)
	s_or_b32 exec_lo, exec_lo, s10
	v_dual_mov_b32 v3, 0 :: v_dual_lshrrev_b32 v2, 16, v0
	v_mov_b32_e32 v4, 0
	s_mov_b32 s29, exec_lo
	v_and_b32_e32 v5, 0xff, v2
	s_delay_alu instid0(VALU_DEP_1)
	v_cmpx_ne_u16_e32 0, v5
	s_cbranch_execz .LBB6_4388
; %bb.4379:                             ;   in Loop: Header=BB6_130 Depth=2
	v_bfrev_b32_e32 v4, 1
	s_mov_b32 s40, exec_lo
	v_cmpx_ne_u16_e32 0x80, v5
	s_cbranch_execz .LBB6_4387
; %bb.4380:                             ;   in Loop: Header=BB6_130 Depth=2
	v_and_b32_e32 v4, 0x7c0000, v0
	v_bfe_u32 v5, v0, 16, 2
	s_delay_alu instid0(VALU_DEP_2) | instskip(SKIP_1) | instid1(SALU_CYCLE_1)
	v_cmp_ne_u32_e32 vcc_lo, 0x7c0000, v4
                                        ; implicit-def: $vgpr4
	s_and_saveexec_b32 s10, vcc_lo
	s_xor_b32 s10, exec_lo, s10
	s_cbranch_execz .LBB6_4384
; %bb.4381:                             ;   in Loop: Header=BB6_130 Depth=2
	v_bfe_u32 v4, v0, 18, 5
	s_mov_b32 s41, exec_lo
	s_delay_alu instid0(VALU_DEP_1)
	v_cmpx_eq_u32_e32 0, v4
; %bb.4382:                             ;   in Loop: Header=BB6_130 Depth=2
	v_clz_i32_u32_e32 v4, v5
	s_delay_alu instid0(VALU_DEP_1) | instskip(NEXT) | instid1(VALU_DEP_1)
	v_min_u32_e32 v4, 32, v4
	v_subrev_nc_u32_e32 v5, 29, v4
	s_delay_alu instid0(VALU_DEP_1) | instskip(NEXT) | instid1(VALU_DEP_1)
	v_lshlrev_b64_e32 v[62:63], v5, v[2:3]
	v_dual_sub_nc_u32 v4, 30, v4 :: v_dual_bitop2_b32 v5, 3, v62 bitop3:0x40
; %bb.4383:                             ;   in Loop: Header=BB6_130 Depth=2
	s_or_b32 exec_lo, exec_lo, s41
	v_lshlrev_b32_e32 v2, 24, v2
	s_delay_alu instid0(VALU_DEP_1) | instskip(NEXT) | instid1(VALU_DEP_1)
	v_and_b32_e32 v2, 0x80000000, v2
	v_lshl_add_u32 v2, v4, 23, v2
	s_delay_alu instid0(VALU_DEP_1) | instskip(NEXT) | instid1(VALU_DEP_1)
	v_lshl_or_b32 v2, v5, 21, v2
                                        ; implicit-def: $vgpr5
	v_add_nc_u32_e32 v4, 0x38000000, v2
                                        ; implicit-def: $vgpr2
.LBB6_4384:                             ;   in Loop: Header=BB6_130 Depth=2
	s_and_not1_saveexec_b32 s41, s10
; %bb.4385:                             ;   in Loop: Header=BB6_130 Depth=2
	v_bfe_i32 v2, v2, 0, 8
	v_cmp_eq_u32_e32 vcc_lo, 0, v5
	s_delay_alu instid0(VALU_DEP_2) | instskip(SKIP_1) | instid1(VALU_DEP_1)
	v_cmp_lt_i16_e64 s10, -1, v2
	v_mov_b32_e32 v2, 0x7f800000
	v_cndmask_b32_e64 v2, 0xff800000, v2, s10
	s_delay_alu instid0(VALU_DEP_1)
	v_cndmask_b32_e32 v4, 0x7f800001, v2, vcc_lo
; %bb.4386:                             ;   in Loop: Header=BB6_130 Depth=2
	s_or_b32 exec_lo, exec_lo, s41
.LBB6_4387:                             ;   in Loop: Header=BB6_130 Depth=2
	s_delay_alu instid0(SALU_CYCLE_1)
	s_or_b32 exec_lo, exec_lo, s40
.LBB6_4388:                             ;   in Loop: Header=BB6_130 Depth=2
	s_delay_alu instid0(SALU_CYCLE_1) | instskip(SKIP_2) | instid1(VALU_DEP_1)
	s_or_b32 exec_lo, exec_lo, s29
	v_lshrrev_b32_e32 v2, 16, v12
	s_mov_b32 s29, exec_lo
	v_and_b32_e32 v5, 0xff, v2
	s_delay_alu instid0(VALU_DEP_1)
	v_cmpx_ne_u16_e32 0, v5
	s_cbranch_execz .LBB6_4398
; %bb.4389:                             ;   in Loop: Header=BB6_130 Depth=2
	v_bfrev_b32_e32 v3, 1
	s_mov_b32 s40, exec_lo
	v_cmpx_ne_u16_e32 0x80, v5
	s_cbranch_execz .LBB6_4397
; %bb.4390:                             ;   in Loop: Header=BB6_130 Depth=2
	v_and_b32_e32 v3, 0x7c0000, v12
	v_bfe_u32 v5, v12, 16, 2
	s_delay_alu instid0(VALU_DEP_2) | instskip(SKIP_1) | instid1(SALU_CYCLE_1)
	v_cmp_ne_u32_e32 vcc_lo, 0x7c0000, v3
                                        ; implicit-def: $vgpr3
	s_and_saveexec_b32 s10, vcc_lo
	s_xor_b32 s10, exec_lo, s10
	s_cbranch_execz .LBB6_4394
; %bb.4391:                             ;   in Loop: Header=BB6_130 Depth=2
	v_bfe_u32 v3, v12, 18, 5
	s_mov_b32 s41, exec_lo
	s_delay_alu instid0(VALU_DEP_1)
	v_cmpx_eq_u32_e32 0, v3
; %bb.4392:                             ;   in Loop: Header=BB6_130 Depth=2
	v_clz_i32_u32_e32 v3, v5
	s_delay_alu instid0(VALU_DEP_1) | instskip(NEXT) | instid1(VALU_DEP_1)
	v_min_u32_e32 v3, 32, v3
	v_subrev_nc_u32_e32 v5, 29, v3
	s_delay_alu instid0(VALU_DEP_1) | instskip(NEXT) | instid1(VALU_DEP_1)
	v_lshlrev_b64_e32 v[62:63], v5, v[2:3]
	v_dual_sub_nc_u32 v3, 30, v3 :: v_dual_bitop2_b32 v5, 3, v62 bitop3:0x40
; %bb.4393:                             ;   in Loop: Header=BB6_130 Depth=2
	s_or_b32 exec_lo, exec_lo, s41
	v_lshlrev_b32_e32 v2, 24, v2
	s_delay_alu instid0(VALU_DEP_1) | instskip(NEXT) | instid1(VALU_DEP_1)
	v_and_b32_e32 v2, 0x80000000, v2
	v_lshl_add_u32 v2, v3, 23, v2
	s_delay_alu instid0(VALU_DEP_1) | instskip(NEXT) | instid1(VALU_DEP_1)
	v_lshl_or_b32 v2, v5, 21, v2
                                        ; implicit-def: $vgpr5
	v_add_nc_u32_e32 v3, 0x38000000, v2
                                        ; implicit-def: $vgpr2
.LBB6_4394:                             ;   in Loop: Header=BB6_130 Depth=2
	s_and_not1_saveexec_b32 s41, s10
; %bb.4395:                             ;   in Loop: Header=BB6_130 Depth=2
	v_bfe_i32 v2, v2, 0, 8
	v_cmp_eq_u32_e32 vcc_lo, 0, v5
	s_delay_alu instid0(VALU_DEP_2) | instskip(SKIP_1) | instid1(VALU_DEP_1)
	v_cmp_lt_i16_e64 s10, -1, v2
	v_mov_b32_e32 v2, 0x7f800000
	v_cndmask_b32_e64 v2, 0xff800000, v2, s10
	s_delay_alu instid0(VALU_DEP_1)
	v_cndmask_b32_e32 v3, 0x7f800001, v2, vcc_lo
; %bb.4396:                             ;   in Loop: Header=BB6_130 Depth=2
	s_or_b32 exec_lo, exec_lo, s41
.LBB6_4397:                             ;   in Loop: Header=BB6_130 Depth=2
	s_delay_alu instid0(SALU_CYCLE_1)
	s_or_b32 exec_lo, exec_lo, s40
.LBB6_4398:                             ;   in Loop: Header=BB6_130 Depth=2
	s_delay_alu instid0(SALU_CYCLE_1) | instskip(NEXT) | instid1(VALU_DEP_1)
	s_or_b32 exec_lo, exec_lo, s29
	v_dual_add_f32 v4, v4, v3 :: v_dual_mov_b32 v63, v1
	v_mov_b32_e32 v3, v1
                                        ; implicit-def: $vgpr31
	s_mov_b32 s10, exec_lo
	s_delay_alu instid0(VALU_DEP_2) | instskip(SKIP_2) | instid1(VALU_DEP_3)
	v_and_b32_e32 v62, 0x7f800000, v4
	v_and_b32_e32 v2, 0x7fffff, v4
	v_lshrrev_b32_e32 v5, 24, v4
	v_cmpx_ne_u64_e32 0x7f800000, v[62:63]
	s_xor_b32 s29, exec_lo, s10
	s_cbranch_execz .LBB6_4412
; %bb.4399:                             ;   in Loop: Header=BB6_130 Depth=2
	v_and_b32_e32 v62, 0x7fffffff, v4
	v_mov_b32_e32 v63, v1
	v_and_b32_e32 v35, 0x80, v5
                                        ; implicit-def: $vgpr31
	s_mov_b32 s10, exec_lo
	s_delay_alu instid0(VALU_DEP_2)
	v_cmpx_gt_u64_e32 0x47600001, v[62:63]
	s_xor_b32 s40, exec_lo, s10
	s_cbranch_execz .LBB6_4409
; %bb.4400:                             ;   in Loop: Header=BB6_130 Depth=2
	v_mov_b32_e32 v31, 0
	s_mov_b32 s41, exec_lo
	v_cmpx_ne_u32_e32 0, v4
	s_cbranch_execz .LBB6_4408
; %bb.4401:                             ;   in Loop: Header=BB6_130 Depth=2
	v_bfe_u32 v31, v4, 23, 8
	v_or_b32_e32 v5, 0x800000, v2
	s_delay_alu instid0(VALU_DEP_2) | instskip(SKIP_2) | instid1(VALU_DEP_2)
	v_cmp_gt_u32_e64 s10, 0x72, v31
	v_sub_nc_u32_e32 v4, 0x71, v31
	v_cmp_eq_u32_e32 vcc_lo, 0, v31
	v_dual_cndmask_b32 v4, 0, v4, s10 :: v_dual_cndmask_b32 v2, v5, v2, vcc_lo
	s_delay_alu instid0(VALU_DEP_1) | instskip(NEXT) | instid1(VALU_DEP_1)
	v_cndmask_b32_e64 v37, v4, 0x70, vcc_lo
	v_dual_add_nc_u32 v4, 21, v37 :: v_dual_add_nc_u32 v50, 20, v37
	s_delay_alu instid0(VALU_DEP_1) | instskip(NEXT) | instid1(VALU_DEP_2)
	v_lshlrev_b64_e64 v[4:5], v4, -1
	v_lshlrev_b64_e64 v[62:63], v50, 1
	s_delay_alu instid0(VALU_DEP_2) | instskip(SKIP_1) | instid1(VALU_DEP_4)
	v_bfi_b32 v4, v4, 0, v2
	v_lshrrev_b64 v[2:3], v37, v[2:3]
	v_bfi_b32 v5, v5, 0, 0
	s_delay_alu instid0(VALU_DEP_1) | instskip(NEXT) | instid1(VALU_DEP_3)
	v_cmp_eq_u64_e64 s10, v[4:5], v[62:63]
	v_mov_b64_e32 v[4:5], v[2:3]
	s_and_saveexec_b32 s42, s10
; %bb.4402:                             ;   in Loop: Header=BB6_130 Depth=2
	v_bfe_u32 v4, v2, 21, 1
	v_mov_b32_e32 v5, v1
	s_delay_alu instid0(VALU_DEP_1) | instskip(NEXT) | instid1(VALU_DEP_1)
	v_add_nc_u64_e32 v[4:5], v[2:3], v[4:5]
	v_add_nc_u64_e32 v[4:5], -1, v[4:5]
; %bb.4403:                             ;   in Loop: Header=BB6_130 Depth=2
	s_or_b32 exec_lo, exec_lo, s42
	v_add_nc_u32_e32 v3, 0xffffff81, v31
	v_lshrrev_b32_e32 v5, 23, v2
	s_mov_b32 s10, exec_lo
	s_delay_alu instid0(VALU_DEP_2) | instskip(NEXT) | instid1(VALU_DEP_1)
	v_cndmask_b32_e64 v3, v3, 0xffffff82, vcc_lo
	v_add3_u32 v31, v37, v3, v5
	v_and_b32_e32 v3, 0x1fffff, v4
                                        ; implicit-def: $vgpr4
	s_delay_alu instid0(VALU_DEP_1) | instskip(SKIP_1) | instid1(VALU_DEP_2)
	v_dual_add_nc_u32 v5, 14, v31 :: v_dual_add_nc_u32 v2, v3, v2
	v_mov_b32_e32 v3, v1
	v_cmpx_ne_u32_e32 0, v5
	s_xor_b32 s10, exec_lo, s10
; %bb.4404:                             ;   in Loop: Header=BB6_130 Depth=2
	s_delay_alu instid0(VALU_DEP_2) | instskip(SKIP_1) | instid1(VALU_DEP_1)
	v_cmp_lt_u64_e32 vcc_lo, 0xffffff, v[2:3]
	v_add_nc_u32_e32 v4, 15, v31
	v_cndmask_b32_e32 v4, v5, v4, vcc_lo
	v_cndmask_b32_e64 v5, 0, 1, vcc_lo
	s_delay_alu instid0(VALU_DEP_1)
	v_lshrrev_b64 v[2:3], v5, v[2:3]
; %bb.4405:                             ;   in Loop: Header=BB6_130 Depth=2
	s_and_not1_saveexec_b32 s10, s10
; %bb.4406:                             ;   in Loop: Header=BB6_130 Depth=2
	s_delay_alu instid0(VALU_DEP_1)
	v_bfe_u32 v4, v2, 23, 1
; %bb.4407:                             ;   in Loop: Header=BB6_130 Depth=2
	s_or_b32 exec_lo, exec_lo, s10
	s_delay_alu instid0(VALU_DEP_2) | instskip(NEXT) | instid1(VALU_DEP_2)
	v_lshrrev_b64 v[2:3], 21, v[2:3]
	v_cmp_gt_i32_e32 vcc_lo, 32, v4
	v_min_i32_e32 v5, 31, v4
	v_cmp_eq_u32_e64 s10, 0, v4
	s_delay_alu instid0(VALU_DEP_2) | instskip(SKIP_1) | instid1(VALU_DEP_2)
	v_dual_cndmask_b32 v3, 0, v3, vcc_lo :: v_dual_lshlrev_b32 v5, 2, v5
	v_cndmask_b32_e32 v2, 3, v2, vcc_lo
	v_and_b32_e32 v5, 0xfc, v5
	s_delay_alu instid0(VALU_DEP_2) | instskip(NEXT) | instid1(VALU_DEP_2)
	v_cmp_eq_u64_e32 vcc_lo, 0, v[2:3]
	v_and_or_b32 v2, v2, 3, v5
	s_and_b32 s10, s10, vcc_lo
	s_delay_alu instid0(VALU_DEP_1) | instid1(SALU_CYCLE_1)
	v_cndmask_b32_e64 v2, v2, 0, s10
	s_delay_alu instid0(VALU_DEP_1)
	v_or_b32_e32 v31, v2, v35
.LBB6_4408:                             ;   in Loop: Header=BB6_130 Depth=2
	s_or_b32 exec_lo, exec_lo, s41
                                        ; implicit-def: $vgpr35
.LBB6_4409:                             ;   in Loop: Header=BB6_130 Depth=2
	s_and_not1_saveexec_b32 s10, s40
; %bb.4410:                             ;   in Loop: Header=BB6_130 Depth=2
	v_or_b32_e32 v31, 0x7b, v35
; %bb.4411:                             ;   in Loop: Header=BB6_130 Depth=2
	s_or_b32 exec_lo, exec_lo, s10
                                        ; implicit-def: $vgpr4
                                        ; implicit-def: $vgpr2_vgpr3
                                        ; implicit-def: $vgpr5
.LBB6_4412:                             ;   in Loop: Header=BB6_130 Depth=2
	s_and_not1_saveexec_b32 s10, s29
	s_cbranch_execz .LBB6_4418
; %bb.4413:                             ;   in Loop: Header=BB6_130 Depth=2
	s_mov_b32 s29, exec_lo
                                        ; implicit-def: $vgpr31
	v_cmpx_ne_u64_e32 0, v[2:3]
	s_xor_b32 s29, exec_lo, s29
; %bb.4414:                             ;   in Loop: Header=BB6_130 Depth=2
	v_or_b32_e32 v31, 0x7f, v5
                                        ; implicit-def: $vgpr4
; %bb.4415:                             ;   in Loop: Header=BB6_130 Depth=2
	s_and_not1_saveexec_b32 s29, s29
; %bb.4416:                             ;   in Loop: Header=BB6_130 Depth=2
	v_cmp_lt_i32_e32 vcc_lo, -1, v4
	v_mov_b32_e32 v2, 0x7c
	s_delay_alu instid0(VALU_DEP_1)
	v_cndmask_b32_e32 v31, 0xfc, v2, vcc_lo
; %bb.4417:                             ;   in Loop: Header=BB6_130 Depth=2
	s_or_b32 exec_lo, exec_lo, s29
.LBB6_4418:                             ;   in Loop: Header=BB6_130 Depth=2
	s_delay_alu instid0(SALU_CYCLE_1)
	s_or_b32 exec_lo, exec_lo, s10
	v_dual_mov_b32 v3, 0 :: v_dual_mov_b32 v4, 0
	s_mov_b32 s29, exec_lo
	v_cmpx_lt_u32_e32 0xffffff, v0
	s_cbranch_execz .LBB6_4428
; %bb.4419:                             ;   in Loop: Header=BB6_130 Depth=2
	v_lshrrev_b32_e32 v2, 24, v0
	v_bfrev_b32_e32 v4, 1
	s_mov_b32 s40, exec_lo
	s_delay_alu instid0(VALU_DEP_2)
	v_cmpx_ne_u32_e32 0x80, v2
	s_cbranch_execz .LBB6_4427
; %bb.4420:                             ;   in Loop: Header=BB6_130 Depth=2
	v_and_b32_e32 v4, 0x7c000000, v0
	v_bfe_u32 v5, v0, 24, 2
	s_delay_alu instid0(VALU_DEP_2) | instskip(SKIP_1) | instid1(SALU_CYCLE_1)
	v_cmp_ne_u32_e32 vcc_lo, 0x7c000000, v4
                                        ; implicit-def: $vgpr4
	s_and_saveexec_b32 s10, vcc_lo
	s_xor_b32 s10, exec_lo, s10
	s_cbranch_execz .LBB6_4424
; %bb.4421:                             ;   in Loop: Header=BB6_130 Depth=2
	v_bfe_u32 v4, v0, 26, 5
	s_mov_b32 s41, exec_lo
	s_delay_alu instid0(VALU_DEP_1)
	v_cmpx_eq_u32_e32 0, v4
; %bb.4422:                             ;   in Loop: Header=BB6_130 Depth=2
	v_clz_i32_u32_e32 v4, v5
	s_delay_alu instid0(VALU_DEP_1) | instskip(NEXT) | instid1(VALU_DEP_1)
	v_min_u32_e32 v4, 32, v4
	v_subrev_nc_u32_e32 v5, 29, v4
	s_delay_alu instid0(VALU_DEP_1) | instskip(NEXT) | instid1(VALU_DEP_1)
	v_lshlrev_b64_e32 v[62:63], v5, v[2:3]
	v_dual_sub_nc_u32 v4, 30, v4 :: v_dual_bitop2_b32 v5, 3, v62 bitop3:0x40
; %bb.4423:                             ;   in Loop: Header=BB6_130 Depth=2
	s_or_b32 exec_lo, exec_lo, s41
	v_and_b32_e32 v0, 0x80000000, v0
	s_delay_alu instid0(VALU_DEP_1) | instskip(NEXT) | instid1(VALU_DEP_1)
	v_lshl_add_u32 v0, v4, 23, v0
	v_lshl_or_b32 v0, v5, 21, v0
                                        ; implicit-def: $vgpr5
	s_delay_alu instid0(VALU_DEP_1)
	v_add_nc_u32_e32 v4, 0x38000000, v0
.LBB6_4424:                             ;   in Loop: Header=BB6_130 Depth=2
	s_and_not1_saveexec_b32 s41, s10
; %bb.4425:                             ;   in Loop: Header=BB6_130 Depth=2
	v_cmp_lt_i32_e64 s10, -1, v0
	v_mov_b32_e32 v0, 0x7f800000
	v_cmp_eq_u32_e32 vcc_lo, 0, v5
	s_delay_alu instid0(VALU_DEP_2) | instskip(NEXT) | instid1(VALU_DEP_1)
	v_cndmask_b32_e64 v0, 0xff800000, v0, s10
	v_cndmask_b32_e32 v4, 0x7f800001, v0, vcc_lo
; %bb.4426:                             ;   in Loop: Header=BB6_130 Depth=2
	s_or_b32 exec_lo, exec_lo, s41
.LBB6_4427:                             ;   in Loop: Header=BB6_130 Depth=2
	s_delay_alu instid0(SALU_CYCLE_1)
	s_or_b32 exec_lo, exec_lo, s40
.LBB6_4428:                             ;   in Loop: Header=BB6_130 Depth=2
	s_delay_alu instid0(SALU_CYCLE_1) | instskip(NEXT) | instid1(SALU_CYCLE_1)
	s_or_b32 exec_lo, exec_lo, s29
	s_mov_b32 s29, exec_lo
	v_cmpx_lt_u32_e32 0xffffff, v12
	s_cbranch_execz .LBB6_4438
; %bb.4429:                             ;   in Loop: Header=BB6_130 Depth=2
	v_lshrrev_b32_e32 v0, 24, v12
	v_bfrev_b32_e32 v3, 1
	s_mov_b32 s40, exec_lo
	s_delay_alu instid0(VALU_DEP_2)
	v_cmpx_ne_u32_e32 0x80, v0
	s_cbranch_execz .LBB6_4437
; %bb.4430:                             ;   in Loop: Header=BB6_130 Depth=2
	v_and_b32_e32 v3, 0x7c000000, v12
	v_bfe_u32 v2, v12, 24, 2
	s_delay_alu instid0(VALU_DEP_2) | instskip(SKIP_1) | instid1(SALU_CYCLE_1)
	v_cmp_ne_u32_e32 vcc_lo, 0x7c000000, v3
                                        ; implicit-def: $vgpr3
	s_and_saveexec_b32 s10, vcc_lo
	s_xor_b32 s10, exec_lo, s10
	s_cbranch_execz .LBB6_4434
; %bb.4431:                             ;   in Loop: Header=BB6_130 Depth=2
	v_bfe_u32 v3, v12, 26, 5
	s_mov_b32 s41, exec_lo
	s_delay_alu instid0(VALU_DEP_1)
	v_cmpx_eq_u32_e32 0, v3
; %bb.4432:                             ;   in Loop: Header=BB6_130 Depth=2
	v_clz_i32_u32_e32 v2, v2
	s_delay_alu instid0(VALU_DEP_1) | instskip(NEXT) | instid1(VALU_DEP_1)
	v_min_u32_e32 v5, 32, v2
	v_subrev_nc_u32_e32 v2, 29, v5
	s_delay_alu instid0(VALU_DEP_1) | instskip(NEXT) | instid1(VALU_DEP_1)
	v_lshlrev_b64_e32 v[2:3], v2, v[0:1]
	v_dual_sub_nc_u32 v3, 30, v5 :: v_dual_bitop2_b32 v2, 3, v2 bitop3:0x40
; %bb.4433:                             ;   in Loop: Header=BB6_130 Depth=2
	s_or_b32 exec_lo, exec_lo, s41
	v_and_b32_e32 v0, 0x80000000, v12
	s_delay_alu instid0(VALU_DEP_1) | instskip(NEXT) | instid1(VALU_DEP_1)
	v_lshl_add_u32 v0, v3, 23, v0
	v_lshl_or_b32 v0, v2, 21, v0
                                        ; implicit-def: $vgpr2
	s_delay_alu instid0(VALU_DEP_1)
	v_add_nc_u32_e32 v3, 0x38000000, v0
.LBB6_4434:                             ;   in Loop: Header=BB6_130 Depth=2
	s_and_not1_saveexec_b32 s41, s10
; %bb.4435:                             ;   in Loop: Header=BB6_130 Depth=2
	v_cmp_lt_i32_e64 s10, -1, v12
	v_mov_b32_e32 v0, 0x7f800000
	v_cmp_eq_u32_e32 vcc_lo, 0, v2
	s_delay_alu instid0(VALU_DEP_2) | instskip(NEXT) | instid1(VALU_DEP_1)
	v_cndmask_b32_e64 v0, 0xff800000, v0, s10
	v_cndmask_b32_e32 v3, 0x7f800001, v0, vcc_lo
; %bb.4436:                             ;   in Loop: Header=BB6_130 Depth=2
	s_or_b32 exec_lo, exec_lo, s41
.LBB6_4437:                             ;   in Loop: Header=BB6_130 Depth=2
	s_delay_alu instid0(SALU_CYCLE_1)
	s_or_b32 exec_lo, exec_lo, s40
.LBB6_4438:                             ;   in Loop: Header=BB6_130 Depth=2
	s_delay_alu instid0(SALU_CYCLE_1) | instskip(NEXT) | instid1(VALU_DEP_1)
	s_or_b32 exec_lo, exec_lo, s29
	v_dual_add_f32 v2, v4, v3 :: v_dual_mov_b32 v5, v1
                                        ; implicit-def: $vgpr35
	s_mov_b32 s10, exec_lo
	s_delay_alu instid0(VALU_DEP_1) | instskip(SKIP_2) | instid1(VALU_DEP_3)
	v_and_b32_e32 v4, 0x7f800000, v2
	v_and_b32_e32 v0, 0x7fffff, v2
	v_lshrrev_b32_e32 v3, 24, v2
	v_cmpx_ne_u64_e32 0x7f800000, v[4:5]
	s_xor_b32 s29, exec_lo, s10
	s_cbranch_execz .LBB6_4452
; %bb.4439:                             ;   in Loop: Header=BB6_130 Depth=2
	v_and_b32_e32 v4, 0x7fffffff, v2
	v_mov_b32_e32 v5, v1
	v_and_b32_e32 v37, 0x80, v3
                                        ; implicit-def: $vgpr35
	s_mov_b32 s10, exec_lo
	s_delay_alu instid0(VALU_DEP_2)
	v_cmpx_gt_u64_e32 0x47600001, v[4:5]
	s_xor_b32 s40, exec_lo, s10
	s_cbranch_execz .LBB6_4449
; %bb.4440:                             ;   in Loop: Header=BB6_130 Depth=2
	v_mov_b32_e32 v35, 0
	s_mov_b32 s41, exec_lo
	v_cmpx_ne_u32_e32 0, v2
	s_cbranch_execz .LBB6_4448
; %bb.4441:                             ;   in Loop: Header=BB6_130 Depth=2
	v_bfe_u32 v35, v2, 23, 8
	v_or_b32_e32 v3, 0x800000, v0
	s_delay_alu instid0(VALU_DEP_2) | instskip(SKIP_2) | instid1(VALU_DEP_2)
	v_cmp_gt_u32_e64 s10, 0x72, v35
	v_sub_nc_u32_e32 v2, 0x71, v35
	v_cmp_eq_u32_e32 vcc_lo, 0, v35
	v_cndmask_b32_e64 v2, 0, v2, s10
	s_delay_alu instid0(VALU_DEP_1) | instskip(SKIP_1) | instid1(VALU_DEP_2)
	v_cndmask_b32_e64 v50, v2, 0x70, vcc_lo
	v_dual_cndmask_b32 v2, v3, v0 :: v_dual_mov_b32 v3, v1
	v_add_nc_u32_e32 v0, 21, v50
	s_delay_alu instid0(VALU_DEP_1) | instskip(SKIP_1) | instid1(VALU_DEP_1)
	v_lshlrev_b64_e64 v[4:5], v0, -1
	v_add_nc_u32_e32 v0, 20, v50
	v_lshlrev_b64_e64 v[62:63], v0, 1
	s_delay_alu instid0(VALU_DEP_3) | instskip(SKIP_2) | instid1(VALU_DEP_1)
	v_bfi_b32 v4, v4, 0, v2
	v_lshrrev_b64 v[2:3], v50, v[2:3]
	v_bfi_b32 v5, v5, 0, 0
	v_cmp_eq_u64_e64 s10, v[4:5], v[62:63]
	s_delay_alu instid0(VALU_DEP_3)
	v_mov_b64_e32 v[4:5], v[2:3]
	s_and_saveexec_b32 s42, s10
; %bb.4442:                             ;   in Loop: Header=BB6_130 Depth=2
	v_bfe_u32 v4, v2, 21, 1
	v_mov_b32_e32 v5, v1
	s_delay_alu instid0(VALU_DEP_1) | instskip(NEXT) | instid1(VALU_DEP_1)
	v_add_nc_u64_e32 v[4:5], v[2:3], v[4:5]
	v_add_nc_u64_e32 v[4:5], -1, v[4:5]
; %bb.4443:                             ;   in Loop: Header=BB6_130 Depth=2
	s_or_b32 exec_lo, exec_lo, s42
	v_add_nc_u32_e32 v0, 0xffffff81, v35
	s_delay_alu instid0(VALU_DEP_2) | instskip(SKIP_2) | instid1(VALU_DEP_3)
	v_and_b32_e32 v4, 0x1fffff, v4
	v_lshrrev_b32_e32 v3, 23, v2
	s_mov_b32 s10, exec_lo
	v_cndmask_b32_e64 v0, v0, 0xffffff82, vcc_lo
	s_delay_alu instid0(VALU_DEP_1) | instskip(SKIP_1) | instid1(VALU_DEP_2)
	v_add3_u32 v35, v50, v0, v3
	v_add_nc_u32_e32 v0, v4, v2
                                        ; implicit-def: $vgpr2_vgpr3
                                        ; implicit-def: $vgpr4
	v_add_nc_u32_e32 v5, 14, v35
	s_delay_alu instid0(VALU_DEP_1)
	v_cmpx_ne_u32_e32 0, v5
	s_xor_b32 s10, exec_lo, s10
; %bb.4444:                             ;   in Loop: Header=BB6_130 Depth=2
	s_delay_alu instid0(VALU_DEP_3) | instskip(SKIP_1) | instid1(VALU_DEP_1)
	v_cmp_lt_u64_e32 vcc_lo, 0xffffff, v[0:1]
	v_add_nc_u32_e32 v2, 15, v35
	v_cndmask_b32_e32 v4, v5, v2, vcc_lo
	v_cndmask_b32_e64 v2, 0, 1, vcc_lo
	s_delay_alu instid0(VALU_DEP_1)
	v_lshrrev_b64 v[2:3], v2, v[0:1]
; %bb.4445:                             ;   in Loop: Header=BB6_130 Depth=2
	s_and_not1_saveexec_b32 s10, s10
; %bb.4446:                             ;   in Loop: Header=BB6_130 Depth=2
	v_mov_b64_e32 v[2:3], v[0:1]
	v_bfe_u32 v4, v0, 23, 1
; %bb.4447:                             ;   in Loop: Header=BB6_130 Depth=2
	s_or_b32 exec_lo, exec_lo, s10
	s_delay_alu instid0(VALU_DEP_2) | instskip(NEXT) | instid1(VALU_DEP_2)
	v_lshrrev_b64 v[2:3], 21, v[2:3]
	v_cmp_gt_i32_e32 vcc_lo, 32, v4
	v_min_i32_e32 v0, 31, v4
	v_cmp_eq_u32_e64 s10, 0, v4
	s_delay_alu instid0(VALU_DEP_2) | instskip(SKIP_1) | instid1(VALU_DEP_2)
	v_dual_cndmask_b32 v3, 0, v3 :: v_dual_lshlrev_b32 v0, 2, v0
	v_cndmask_b32_e32 v2, 3, v2, vcc_lo
	v_and_b32_e32 v0, 0xfc, v0
	s_delay_alu instid0(VALU_DEP_2) | instskip(NEXT) | instid1(VALU_DEP_2)
	v_cmp_eq_u64_e32 vcc_lo, 0, v[2:3]
	v_and_or_b32 v0, v2, 3, v0
	s_and_b32 s10, s10, vcc_lo
	s_delay_alu instid0(VALU_DEP_1) | instid1(SALU_CYCLE_1)
	v_cndmask_b32_e64 v0, v0, 0, s10
	s_delay_alu instid0(VALU_DEP_1)
	v_or_b32_e32 v35, v0, v37
.LBB6_4448:                             ;   in Loop: Header=BB6_130 Depth=2
	s_or_b32 exec_lo, exec_lo, s41
                                        ; implicit-def: $vgpr37
.LBB6_4449:                             ;   in Loop: Header=BB6_130 Depth=2
	s_and_not1_saveexec_b32 s10, s40
; %bb.4450:                             ;   in Loop: Header=BB6_130 Depth=2
	v_or_b32_e32 v35, 0x7b, v37
; %bb.4451:                             ;   in Loop: Header=BB6_130 Depth=2
	s_or_b32 exec_lo, exec_lo, s10
                                        ; implicit-def: $vgpr2
                                        ; implicit-def: $vgpr3
.LBB6_4452:                             ;   in Loop: Header=BB6_130 Depth=2
	s_and_not1_saveexec_b32 s10, s29
	s_cbranch_execz .LBB6_4458
; %bb.4453:                             ;   in Loop: Header=BB6_130 Depth=2
	s_mov_b32 s29, exec_lo
                                        ; implicit-def: $vgpr35
	v_cmpx_ne_u64_e32 0, v[0:1]
	s_xor_b32 s29, exec_lo, s29
; %bb.4454:                             ;   in Loop: Header=BB6_130 Depth=2
	v_or_b32_e32 v35, 0x7f, v3
                                        ; implicit-def: $vgpr2
; %bb.4455:                             ;   in Loop: Header=BB6_130 Depth=2
	s_and_not1_saveexec_b32 s29, s29
; %bb.4456:                             ;   in Loop: Header=BB6_130 Depth=2
	v_cmp_lt_i32_e32 vcc_lo, -1, v2
	v_mov_b32_e32 v0, 0x7c
	s_delay_alu instid0(VALU_DEP_1)
	v_cndmask_b32_e32 v35, 0xfc, v0, vcc_lo
; %bb.4457:                             ;   in Loop: Header=BB6_130 Depth=2
	s_or_b32 exec_lo, exec_lo, s29
.LBB6_4458:                             ;   in Loop: Header=BB6_130 Depth=2
	s_delay_alu instid0(SALU_CYCLE_1) | instskip(SKIP_4) | instid1(VALU_DEP_1)
	s_or_b32 exec_lo, exec_lo, s10
	v_dual_mov_b32 v3, 0 :: v_dual_lshlrev_b32 v0, 24, v34
	v_lshlrev_b32_e32 v2, 16, v30
	v_lshl_or_b32 v27, v27, 8, v8
	s_mov_b32 s29, exec_lo
	v_or3_b32 v0, v2, v0, v27
	v_mov_b32_e32 v2, 0
	v_cmpx_ne_u32_e32 0, v8
	s_cbranch_execz .LBB6_4468
; %bb.4459:                             ;   in Loop: Header=BB6_130 Depth=2
	v_bfrev_b32_e32 v2, 1
	s_mov_b32 s40, exec_lo
	v_cmpx_ne_u32_e32 0x80, v8
	s_cbranch_execz .LBB6_4467
; %bb.4460:                             ;   in Loop: Header=BB6_130 Depth=2
	v_and_b32_e32 v2, 0x7c, v8
	v_and_b32_e32 v4, 3, v8
	s_delay_alu instid0(VALU_DEP_2) | instskip(SKIP_1) | instid1(SALU_CYCLE_1)
	v_cmp_ne_u32_e32 vcc_lo, 0x7c, v2
                                        ; implicit-def: $vgpr2
	s_and_saveexec_b32 s10, vcc_lo
	s_xor_b32 s10, exec_lo, s10
	s_cbranch_execz .LBB6_4464
; %bb.4461:                             ;   in Loop: Header=BB6_130 Depth=2
	v_bfe_u32 v2, v8, 2, 5
	s_mov_b32 s41, exec_lo
	s_delay_alu instid0(VALU_DEP_1)
	v_cmpx_eq_u32_e32 0, v2
; %bb.4462:                             ;   in Loop: Header=BB6_130 Depth=2
	v_clz_i32_u32_e32 v2, v4
	s_delay_alu instid0(VALU_DEP_1) | instskip(NEXT) | instid1(VALU_DEP_1)
	v_min_u32_e32 v2, 32, v2
	v_subrev_nc_u32_e32 v4, 29, v2
	s_delay_alu instid0(VALU_DEP_1) | instskip(NEXT) | instid1(VALU_DEP_1)
	v_lshlrev_b64_e32 v[4:5], v4, v[0:1]
	v_dual_sub_nc_u32 v2, 30, v2 :: v_dual_bitop2_b32 v4, 3, v4 bitop3:0x40
; %bb.4463:                             ;   in Loop: Header=BB6_130 Depth=2
	s_or_b32 exec_lo, exec_lo, s41
	v_lshlrev_b32_e32 v5, 24, v8
                                        ; implicit-def: $vgpr8
	s_delay_alu instid0(VALU_DEP_1) | instskip(NEXT) | instid1(VALU_DEP_1)
	v_and_b32_e32 v5, 0x80000000, v5
	v_lshl_add_u32 v2, v2, 23, v5
	s_delay_alu instid0(VALU_DEP_1) | instskip(NEXT) | instid1(VALU_DEP_1)
	v_lshl_or_b32 v2, v4, 21, v2
                                        ; implicit-def: $vgpr4
	v_add_nc_u32_e32 v2, 0x38000000, v2
.LBB6_4464:                             ;   in Loop: Header=BB6_130 Depth=2
	s_and_not1_saveexec_b32 s41, s10
; %bb.4465:                             ;   in Loop: Header=BB6_130 Depth=2
	v_and_b32_e32 v2, 0x80, v8
	v_cmp_eq_u32_e32 vcc_lo, 0, v4
	s_delay_alu instid0(VALU_DEP_2) | instskip(SKIP_1) | instid1(VALU_DEP_1)
	v_cmp_eq_u32_e64 s10, 0, v2
	v_mov_b32_e32 v2, 0x7f800000
	v_cndmask_b32_e64 v2, 0xff800000, v2, s10
	s_delay_alu instid0(VALU_DEP_1)
	v_cndmask_b32_e32 v2, 0x7f800001, v2, vcc_lo
; %bb.4466:                             ;   in Loop: Header=BB6_130 Depth=2
	s_or_b32 exec_lo, exec_lo, s41
.LBB6_4467:                             ;   in Loop: Header=BB6_130 Depth=2
	s_delay_alu instid0(SALU_CYCLE_1)
	s_or_b32 exec_lo, exec_lo, s40
.LBB6_4468:                             ;   in Loop: Header=BB6_130 Depth=2
	s_delay_alu instid0(SALU_CYCLE_1) | instskip(SKIP_2) | instid1(VALU_DEP_1)
	s_or_b32 exec_lo, exec_lo, s29
	v_and_b32_e32 v4, 0xff, v13
	s_mov_b32 s29, exec_lo
	v_cmpx_ne_u16_e32 0, v4
	s_cbranch_execz .LBB6_4478
; %bb.4469:                             ;   in Loop: Header=BB6_130 Depth=2
	v_bfrev_b32_e32 v3, 1
	s_mov_b32 s40, exec_lo
	v_cmpx_ne_u16_e32 0x80, v4
	s_cbranch_execz .LBB6_4477
; %bb.4470:                             ;   in Loop: Header=BB6_130 Depth=2
	v_and_b32_e32 v3, 0x7c, v13
	v_and_b32_e32 v4, 3, v13
	s_delay_alu instid0(VALU_DEP_2) | instskip(SKIP_1) | instid1(SALU_CYCLE_1)
	v_cmp_ne_u32_e32 vcc_lo, 0x7c, v3
                                        ; implicit-def: $vgpr3
	s_and_saveexec_b32 s10, vcc_lo
	s_xor_b32 s10, exec_lo, s10
	s_cbranch_execz .LBB6_4474
; %bb.4471:                             ;   in Loop: Header=BB6_130 Depth=2
	v_bfe_u32 v3, v13, 2, 5
	s_mov_b32 s41, exec_lo
	s_delay_alu instid0(VALU_DEP_1)
	v_cmpx_eq_u32_e32 0, v3
; %bb.4472:                             ;   in Loop: Header=BB6_130 Depth=2
	v_clz_i32_u32_e32 v3, v4
	v_dual_mov_b32 v4, v13 :: v_dual_mov_b32 v5, v1
	s_delay_alu instid0(VALU_DEP_2) | instskip(NEXT) | instid1(VALU_DEP_1)
	v_min_u32_e32 v3, 32, v3
	v_subrev_nc_u32_e32 v8, 29, v3
	s_delay_alu instid0(VALU_DEP_1) | instskip(NEXT) | instid1(VALU_DEP_1)
	v_lshlrev_b64_e32 v[4:5], v8, v[4:5]
	v_dual_sub_nc_u32 v3, 30, v3 :: v_dual_bitop2_b32 v4, 3, v4 bitop3:0x40
; %bb.4473:                             ;   in Loop: Header=BB6_130 Depth=2
	s_or_b32 exec_lo, exec_lo, s41
	v_lshlrev_b32_e32 v5, 24, v13
	s_delay_alu instid0(VALU_DEP_1) | instskip(NEXT) | instid1(VALU_DEP_1)
	v_and_b32_e32 v5, 0x80000000, v5
	v_lshl_add_u32 v3, v3, 23, v5
	s_delay_alu instid0(VALU_DEP_1) | instskip(NEXT) | instid1(VALU_DEP_1)
	v_lshl_or_b32 v3, v4, 21, v3
                                        ; implicit-def: $vgpr4
	v_add_nc_u32_e32 v3, 0x38000000, v3
.LBB6_4474:                             ;   in Loop: Header=BB6_130 Depth=2
	s_and_not1_saveexec_b32 s41, s10
; %bb.4475:                             ;   in Loop: Header=BB6_130 Depth=2
	v_bfe_i32 v3, v13, 0, 8
	v_cmp_eq_u32_e32 vcc_lo, 0, v4
	s_delay_alu instid0(VALU_DEP_2) | instskip(SKIP_1) | instid1(VALU_DEP_1)
	v_cmp_lt_i16_e64 s10, -1, v3
	v_mov_b32_e32 v3, 0x7f800000
	v_cndmask_b32_e64 v3, 0xff800000, v3, s10
	s_delay_alu instid0(VALU_DEP_1)
	v_cndmask_b32_e32 v3, 0x7f800001, v3, vcc_lo
; %bb.4476:                             ;   in Loop: Header=BB6_130 Depth=2
	s_or_b32 exec_lo, exec_lo, s41
.LBB6_4477:                             ;   in Loop: Header=BB6_130 Depth=2
	s_delay_alu instid0(SALU_CYCLE_1)
	s_or_b32 exec_lo, exec_lo, s40
.LBB6_4478:                             ;   in Loop: Header=BB6_130 Depth=2
	s_delay_alu instid0(SALU_CYCLE_1) | instskip(NEXT) | instid1(VALU_DEP_1)
	s_or_b32 exec_lo, exec_lo, s29
	v_dual_add_f32 v4, v2, v3 :: v_dual_mov_b32 v63, v1
	v_mov_b32_e32 v3, v1
                                        ; implicit-def: $vgpr8
	s_mov_b32 s10, exec_lo
	s_delay_alu instid0(VALU_DEP_2) | instskip(SKIP_2) | instid1(VALU_DEP_3)
	v_and_b32_e32 v62, 0x7f800000, v4
	v_and_b32_e32 v2, 0x7fffff, v4
	v_lshrrev_b32_e32 v5, 24, v4
	v_cmpx_ne_u64_e32 0x7f800000, v[62:63]
	s_xor_b32 s29, exec_lo, s10
	s_cbranch_execz .LBB6_4492
; %bb.4479:                             ;   in Loop: Header=BB6_130 Depth=2
	v_and_b32_e32 v62, 0x7fffffff, v4
	v_mov_b32_e32 v63, v1
	v_and_b32_e32 v30, 0x80, v5
                                        ; implicit-def: $vgpr8
	s_mov_b32 s10, exec_lo
	s_delay_alu instid0(VALU_DEP_2)
	v_cmpx_gt_u64_e32 0x47600001, v[62:63]
	s_xor_b32 s40, exec_lo, s10
	s_cbranch_execz .LBB6_4489
; %bb.4480:                             ;   in Loop: Header=BB6_130 Depth=2
	v_mov_b32_e32 v8, 0
	s_mov_b32 s41, exec_lo
	v_cmpx_ne_u32_e32 0, v4
	s_cbranch_execz .LBB6_4488
; %bb.4481:                             ;   in Loop: Header=BB6_130 Depth=2
	v_bfe_u32 v8, v4, 23, 8
	v_or_b32_e32 v5, 0x800000, v2
	s_delay_alu instid0(VALU_DEP_2) | instskip(SKIP_2) | instid1(VALU_DEP_2)
	v_cmp_gt_u32_e64 s10, 0x72, v8
	v_sub_nc_u32_e32 v4, 0x71, v8
	v_cmp_eq_u32_e32 vcc_lo, 0, v8
	v_dual_cndmask_b32 v4, 0, v4, s10 :: v_dual_cndmask_b32 v2, v5, v2, vcc_lo
	s_delay_alu instid0(VALU_DEP_1) | instskip(NEXT) | instid1(VALU_DEP_1)
	v_cndmask_b32_e64 v34, v4, 0x70, vcc_lo
	v_dual_add_nc_u32 v4, 21, v34 :: v_dual_add_nc_u32 v37, 20, v34
	s_delay_alu instid0(VALU_DEP_1) | instskip(NEXT) | instid1(VALU_DEP_2)
	v_lshlrev_b64_e64 v[4:5], v4, -1
	v_lshlrev_b64_e64 v[62:63], v37, 1
	s_delay_alu instid0(VALU_DEP_2) | instskip(SKIP_1) | instid1(VALU_DEP_4)
	v_bfi_b32 v4, v4, 0, v2
	v_lshrrev_b64 v[2:3], v34, v[2:3]
	v_bfi_b32 v5, v5, 0, 0
	s_delay_alu instid0(VALU_DEP_1) | instskip(NEXT) | instid1(VALU_DEP_3)
	v_cmp_eq_u64_e64 s10, v[4:5], v[62:63]
	v_mov_b64_e32 v[4:5], v[2:3]
	s_and_saveexec_b32 s42, s10
; %bb.4482:                             ;   in Loop: Header=BB6_130 Depth=2
	v_bfe_u32 v4, v2, 21, 1
	v_mov_b32_e32 v5, v1
	s_delay_alu instid0(VALU_DEP_1) | instskip(NEXT) | instid1(VALU_DEP_1)
	v_add_nc_u64_e32 v[4:5], v[2:3], v[4:5]
	v_add_nc_u64_e32 v[4:5], -1, v[4:5]
; %bb.4483:                             ;   in Loop: Header=BB6_130 Depth=2
	s_or_b32 exec_lo, exec_lo, s42
	v_add_nc_u32_e32 v3, 0xffffff81, v8
	v_lshrrev_b32_e32 v5, 23, v2
	s_mov_b32 s10, exec_lo
	s_delay_alu instid0(VALU_DEP_2) | instskip(NEXT) | instid1(VALU_DEP_1)
	v_cndmask_b32_e64 v3, v3, 0xffffff82, vcc_lo
	v_add3_u32 v8, v34, v3, v5
	v_and_b32_e32 v3, 0x1fffff, v4
                                        ; implicit-def: $vgpr4
	s_delay_alu instid0(VALU_DEP_1) | instskip(SKIP_1) | instid1(VALU_DEP_2)
	v_dual_add_nc_u32 v5, 14, v8 :: v_dual_add_nc_u32 v2, v3, v2
	v_mov_b32_e32 v3, v1
	v_cmpx_ne_u32_e32 0, v5
	s_xor_b32 s10, exec_lo, s10
; %bb.4484:                             ;   in Loop: Header=BB6_130 Depth=2
	s_delay_alu instid0(VALU_DEP_2) | instskip(SKIP_1) | instid1(VALU_DEP_1)
	v_cmp_lt_u64_e32 vcc_lo, 0xffffff, v[2:3]
	v_add_nc_u32_e32 v4, 15, v8
	v_cndmask_b32_e32 v4, v5, v4, vcc_lo
	v_cndmask_b32_e64 v5, 0, 1, vcc_lo
	s_delay_alu instid0(VALU_DEP_1)
	v_lshrrev_b64 v[2:3], v5, v[2:3]
; %bb.4485:                             ;   in Loop: Header=BB6_130 Depth=2
	s_and_not1_saveexec_b32 s10, s10
; %bb.4486:                             ;   in Loop: Header=BB6_130 Depth=2
	s_delay_alu instid0(VALU_DEP_1)
	v_bfe_u32 v4, v2, 23, 1
; %bb.4487:                             ;   in Loop: Header=BB6_130 Depth=2
	s_or_b32 exec_lo, exec_lo, s10
	s_delay_alu instid0(VALU_DEP_2) | instskip(NEXT) | instid1(VALU_DEP_2)
	v_lshrrev_b64 v[2:3], 21, v[2:3]
	v_cmp_gt_i32_e32 vcc_lo, 32, v4
	v_min_i32_e32 v5, 31, v4
	v_cmp_eq_u32_e64 s10, 0, v4
	s_delay_alu instid0(VALU_DEP_2) | instskip(SKIP_1) | instid1(VALU_DEP_2)
	v_dual_cndmask_b32 v3, 0, v3, vcc_lo :: v_dual_lshlrev_b32 v5, 2, v5
	v_cndmask_b32_e32 v2, 3, v2, vcc_lo
	v_and_b32_e32 v5, 0xfc, v5
	s_delay_alu instid0(VALU_DEP_2) | instskip(NEXT) | instid1(VALU_DEP_2)
	v_cmp_eq_u64_e32 vcc_lo, 0, v[2:3]
	v_and_or_b32 v2, v2, 3, v5
	s_and_b32 s10, s10, vcc_lo
	s_delay_alu instid0(VALU_DEP_1) | instid1(SALU_CYCLE_1)
	v_cndmask_b32_e64 v2, v2, 0, s10
	s_delay_alu instid0(VALU_DEP_1)
	v_or_b32_e32 v8, v2, v30
.LBB6_4488:                             ;   in Loop: Header=BB6_130 Depth=2
	s_or_b32 exec_lo, exec_lo, s41
                                        ; implicit-def: $vgpr30
.LBB6_4489:                             ;   in Loop: Header=BB6_130 Depth=2
	s_and_not1_saveexec_b32 s10, s40
; %bb.4490:                             ;   in Loop: Header=BB6_130 Depth=2
	v_or_b32_e32 v8, 0x7b, v30
; %bb.4491:                             ;   in Loop: Header=BB6_130 Depth=2
	s_or_b32 exec_lo, exec_lo, s10
                                        ; implicit-def: $vgpr4
                                        ; implicit-def: $vgpr2_vgpr3
                                        ; implicit-def: $vgpr5
.LBB6_4492:                             ;   in Loop: Header=BB6_130 Depth=2
	s_and_not1_saveexec_b32 s10, s29
	s_cbranch_execz .LBB6_4498
; %bb.4493:                             ;   in Loop: Header=BB6_130 Depth=2
	s_mov_b32 s29, exec_lo
                                        ; implicit-def: $vgpr8
	v_cmpx_ne_u64_e32 0, v[2:3]
	s_xor_b32 s29, exec_lo, s29
; %bb.4494:                             ;   in Loop: Header=BB6_130 Depth=2
	v_or_b32_e32 v8, 0x7f, v5
                                        ; implicit-def: $vgpr4
; %bb.4495:                             ;   in Loop: Header=BB6_130 Depth=2
	s_and_not1_saveexec_b32 s29, s29
; %bb.4496:                             ;   in Loop: Header=BB6_130 Depth=2
	v_cmp_lt_i32_e32 vcc_lo, -1, v4
	v_mov_b32_e32 v2, 0x7c
	s_delay_alu instid0(VALU_DEP_1)
	v_cndmask_b32_e32 v8, 0xfc, v2, vcc_lo
; %bb.4497:                             ;   in Loop: Header=BB6_130 Depth=2
	s_or_b32 exec_lo, exec_lo, s29
.LBB6_4498:                             ;   in Loop: Header=BB6_130 Depth=2
	s_delay_alu instid0(SALU_CYCLE_1) | instskip(SKIP_3) | instid1(VALU_DEP_2)
	s_or_b32 exec_lo, exec_lo, s10
	v_lshrrev_b16 v2, 8, v27
	v_dual_mov_b32 v4, 0 :: v_dual_mov_b32 v5, 0
	s_mov_b32 s29, exec_lo
	v_cmpx_ne_u16_e32 0, v2
	s_cbranch_execz .LBB6_4508
; %bb.4499:                             ;   in Loop: Header=BB6_130 Depth=2
	v_bfrev_b32_e32 v5, 1
	s_mov_b32 s40, exec_lo
	v_cmpx_ne_u16_e32 0x80, v2
	s_cbranch_execz .LBB6_4507
; %bb.4500:                             ;   in Loop: Header=BB6_130 Depth=2
	v_and_b32_e32 v30, 0xffff, v2
	s_delay_alu instid0(VALU_DEP_1) | instskip(SKIP_1) | instid1(VALU_DEP_2)
	v_and_b32_e32 v5, 0x7c, v30
	v_and_b32_e32 v3, 3, v30
	v_cmp_ne_u32_e32 vcc_lo, 0x7c, v5
                                        ; implicit-def: $vgpr5
	s_and_saveexec_b32 s10, vcc_lo
	s_delay_alu instid0(SALU_CYCLE_1)
	s_xor_b32 s10, exec_lo, s10
	s_cbranch_execz .LBB6_4504
; %bb.4501:                             ;   in Loop: Header=BB6_130 Depth=2
	v_bfe_u32 v5, v30, 2, 5
	s_mov_b32 s41, exec_lo
	s_delay_alu instid0(VALU_DEP_1)
	v_cmpx_eq_u32_e32 0, v5
	s_cbranch_execz .LBB6_4503
; %bb.4502:                             ;   in Loop: Header=BB6_130 Depth=2
	v_clz_i32_u32_e32 v3, v3
	s_delay_alu instid0(VALU_DEP_1) | instskip(SKIP_1) | instid1(VALU_DEP_2)
	v_min_u32_e32 v5, 32, v3
	v_mov_b32_e32 v3, v1
	v_subrev_nc_u32_e32 v30, 29, v5
	v_sub_nc_u32_e32 v5, 30, v5
	s_delay_alu instid0(VALU_DEP_2) | instskip(NEXT) | instid1(VALU_DEP_1)
	v_lshlrev_b64_e32 v[2:3], v30, v[2:3]
	v_and_b32_e32 v3, 3, v2
.LBB6_4503:                             ;   in Loop: Header=BB6_130 Depth=2
	s_or_b32 exec_lo, exec_lo, s41
	v_lshlrev_b32_e32 v2, 16, v27
                                        ; implicit-def: $vgpr27
	s_delay_alu instid0(VALU_DEP_1) | instskip(NEXT) | instid1(VALU_DEP_1)
	v_and_b32_e32 v2, 0x80000000, v2
	v_lshl_add_u32 v2, v5, 23, v2
	s_delay_alu instid0(VALU_DEP_1) | instskip(NEXT) | instid1(VALU_DEP_1)
	v_lshl_or_b32 v2, v3, 21, v2
                                        ; implicit-def: $vgpr3
	v_add_nc_u32_e32 v5, 0x38000000, v2
.LBB6_4504:                             ;   in Loop: Header=BB6_130 Depth=2
	s_and_not1_saveexec_b32 s41, s10
; %bb.4505:                             ;   in Loop: Header=BB6_130 Depth=2
	v_cmp_lt_i16_e64 s10, -1, v27
	v_mov_b32_e32 v2, 0x7f800000
	v_cmp_eq_u32_e32 vcc_lo, 0, v3
	s_delay_alu instid0(VALU_DEP_2) | instskip(NEXT) | instid1(VALU_DEP_1)
	v_cndmask_b32_e64 v2, 0xff800000, v2, s10
	v_cndmask_b32_e32 v5, 0x7f800001, v2, vcc_lo
; %bb.4506:                             ;   in Loop: Header=BB6_130 Depth=2
	s_or_b32 exec_lo, exec_lo, s41
.LBB6_4507:                             ;   in Loop: Header=BB6_130 Depth=2
	s_delay_alu instid0(SALU_CYCLE_1)
	s_or_b32 exec_lo, exec_lo, s40
.LBB6_4508:                             ;   in Loop: Header=BB6_130 Depth=2
	s_delay_alu instid0(SALU_CYCLE_1) | instskip(SKIP_2) | instid1(VALU_DEP_1)
	s_or_b32 exec_lo, exec_lo, s29
	v_lshrrev_b16 v2, 8, v13
	s_mov_b32 s29, exec_lo
	v_cmpx_ne_u16_e32 0, v2
	s_cbranch_execz .LBB6_4518
; %bb.4509:                             ;   in Loop: Header=BB6_130 Depth=2
	v_bfrev_b32_e32 v4, 1
	s_mov_b32 s40, exec_lo
	v_cmpx_ne_u16_e32 0x80, v2
	s_cbranch_execz .LBB6_4517
; %bb.4510:                             ;   in Loop: Header=BB6_130 Depth=2
	v_and_b32_e32 v27, 0xffff, v2
	s_delay_alu instid0(VALU_DEP_1) | instskip(SKIP_1) | instid1(VALU_DEP_2)
	v_and_b32_e32 v4, 0x7c, v27
	v_and_b32_e32 v3, 3, v27
	v_cmp_ne_u32_e32 vcc_lo, 0x7c, v4
                                        ; implicit-def: $vgpr4
	s_and_saveexec_b32 s10, vcc_lo
	s_delay_alu instid0(SALU_CYCLE_1)
	s_xor_b32 s10, exec_lo, s10
	s_cbranch_execz .LBB6_4514
; %bb.4511:                             ;   in Loop: Header=BB6_130 Depth=2
	v_bfe_u32 v4, v27, 2, 5
	s_mov_b32 s41, exec_lo
	s_delay_alu instid0(VALU_DEP_1)
	v_cmpx_eq_u32_e32 0, v4
	s_cbranch_execz .LBB6_4513
; %bb.4512:                             ;   in Loop: Header=BB6_130 Depth=2
	v_clz_i32_u32_e32 v3, v3
	s_delay_alu instid0(VALU_DEP_1) | instskip(SKIP_1) | instid1(VALU_DEP_2)
	v_min_u32_e32 v4, 32, v3
	v_mov_b32_e32 v3, v1
	v_subrev_nc_u32_e32 v27, 29, v4
	v_sub_nc_u32_e32 v4, 30, v4
	s_delay_alu instid0(VALU_DEP_2) | instskip(NEXT) | instid1(VALU_DEP_1)
	v_lshlrev_b64_e32 v[2:3], v27, v[2:3]
	v_and_b32_e32 v3, 3, v2
.LBB6_4513:                             ;   in Loop: Header=BB6_130 Depth=2
	s_or_b32 exec_lo, exec_lo, s41
	v_lshlrev_b32_e32 v2, 16, v13
	s_delay_alu instid0(VALU_DEP_1) | instskip(NEXT) | instid1(VALU_DEP_1)
	v_and_b32_e32 v2, 0x80000000, v2
	v_lshl_add_u32 v2, v4, 23, v2
	s_delay_alu instid0(VALU_DEP_1) | instskip(NEXT) | instid1(VALU_DEP_1)
	v_lshl_or_b32 v2, v3, 21, v2
                                        ; implicit-def: $vgpr3
	v_add_nc_u32_e32 v4, 0x38000000, v2
.LBB6_4514:                             ;   in Loop: Header=BB6_130 Depth=2
	s_and_not1_saveexec_b32 s41, s10
; %bb.4515:                             ;   in Loop: Header=BB6_130 Depth=2
	v_cmp_lt_i16_e64 s10, -1, v13
	v_mov_b32_e32 v2, 0x7f800000
	v_cmp_eq_u32_e32 vcc_lo, 0, v3
	s_delay_alu instid0(VALU_DEP_2) | instskip(NEXT) | instid1(VALU_DEP_1)
	v_cndmask_b32_e64 v2, 0xff800000, v2, s10
	v_cndmask_b32_e32 v4, 0x7f800001, v2, vcc_lo
; %bb.4516:                             ;   in Loop: Header=BB6_130 Depth=2
	s_or_b32 exec_lo, exec_lo, s41
.LBB6_4517:                             ;   in Loop: Header=BB6_130 Depth=2
	s_delay_alu instid0(SALU_CYCLE_1)
	s_or_b32 exec_lo, exec_lo, s40
.LBB6_4518:                             ;   in Loop: Header=BB6_130 Depth=2
	s_delay_alu instid0(SALU_CYCLE_1) | instskip(NEXT) | instid1(VALU_DEP_1)
	s_or_b32 exec_lo, exec_lo, s29
	v_add_f32_e32 v4, v5, v4
	v_dual_mov_b32 v63, v1 :: v_dual_mov_b32 v3, v1
                                        ; implicit-def: $vgpr27
	s_mov_b32 s10, exec_lo
	s_delay_alu instid0(VALU_DEP_2) | instskip(SKIP_2) | instid1(VALU_DEP_3)
	v_and_b32_e32 v62, 0x7f800000, v4
	v_and_b32_e32 v2, 0x7fffff, v4
	v_lshrrev_b32_e32 v5, 24, v4
	v_cmpx_ne_u64_e32 0x7f800000, v[62:63]
	s_xor_b32 s29, exec_lo, s10
	s_cbranch_execz .LBB6_4532
; %bb.4519:                             ;   in Loop: Header=BB6_130 Depth=2
	v_and_b32_e32 v62, 0x7fffffff, v4
	v_mov_b32_e32 v63, v1
	v_and_b32_e32 v30, 0x80, v5
                                        ; implicit-def: $vgpr27
	s_mov_b32 s10, exec_lo
	s_delay_alu instid0(VALU_DEP_2)
	v_cmpx_gt_u64_e32 0x47600001, v[62:63]
	s_xor_b32 s40, exec_lo, s10
	s_cbranch_execz .LBB6_4529
; %bb.4520:                             ;   in Loop: Header=BB6_130 Depth=2
	v_mov_b32_e32 v27, 0
	s_mov_b32 s41, exec_lo
	v_cmpx_ne_u32_e32 0, v4
	s_cbranch_execz .LBB6_4528
; %bb.4521:                             ;   in Loop: Header=BB6_130 Depth=2
	v_bfe_u32 v27, v4, 23, 8
	v_or_b32_e32 v5, 0x800000, v2
	s_delay_alu instid0(VALU_DEP_2) | instskip(SKIP_2) | instid1(VALU_DEP_2)
	v_cmp_gt_u32_e64 s10, 0x72, v27
	v_sub_nc_u32_e32 v4, 0x71, v27
	v_cmp_eq_u32_e32 vcc_lo, 0, v27
	v_dual_cndmask_b32 v4, 0, v4, s10 :: v_dual_cndmask_b32 v2, v5, v2, vcc_lo
	s_delay_alu instid0(VALU_DEP_1) | instskip(NEXT) | instid1(VALU_DEP_1)
	v_cndmask_b32_e64 v34, v4, 0x70, vcc_lo
	v_dual_add_nc_u32 v4, 21, v34 :: v_dual_add_nc_u32 v37, 20, v34
	s_delay_alu instid0(VALU_DEP_1) | instskip(NEXT) | instid1(VALU_DEP_2)
	v_lshlrev_b64_e64 v[4:5], v4, -1
	v_lshlrev_b64_e64 v[62:63], v37, 1
	s_delay_alu instid0(VALU_DEP_2) | instskip(SKIP_1) | instid1(VALU_DEP_4)
	v_bfi_b32 v4, v4, 0, v2
	v_lshrrev_b64 v[2:3], v34, v[2:3]
	v_bfi_b32 v5, v5, 0, 0
	s_delay_alu instid0(VALU_DEP_1) | instskip(NEXT) | instid1(VALU_DEP_3)
	v_cmp_eq_u64_e64 s10, v[4:5], v[62:63]
	v_mov_b64_e32 v[4:5], v[2:3]
	s_and_saveexec_b32 s42, s10
; %bb.4522:                             ;   in Loop: Header=BB6_130 Depth=2
	v_bfe_u32 v4, v2, 21, 1
	v_mov_b32_e32 v5, v1
	s_delay_alu instid0(VALU_DEP_1) | instskip(NEXT) | instid1(VALU_DEP_1)
	v_add_nc_u64_e32 v[4:5], v[2:3], v[4:5]
	v_add_nc_u64_e32 v[4:5], -1, v[4:5]
; %bb.4523:                             ;   in Loop: Header=BB6_130 Depth=2
	s_or_b32 exec_lo, exec_lo, s42
	v_add_nc_u32_e32 v3, 0xffffff81, v27
	v_lshrrev_b32_e32 v5, 23, v2
	s_mov_b32 s10, exec_lo
	s_delay_alu instid0(VALU_DEP_2) | instskip(NEXT) | instid1(VALU_DEP_1)
	v_cndmask_b32_e64 v3, v3, 0xffffff82, vcc_lo
	v_add3_u32 v27, v34, v3, v5
	v_and_b32_e32 v3, 0x1fffff, v4
                                        ; implicit-def: $vgpr4
	s_delay_alu instid0(VALU_DEP_1) | instskip(SKIP_1) | instid1(VALU_DEP_2)
	v_dual_add_nc_u32 v5, 14, v27 :: v_dual_add_nc_u32 v2, v3, v2
	v_mov_b32_e32 v3, v1
	v_cmpx_ne_u32_e32 0, v5
	s_xor_b32 s10, exec_lo, s10
; %bb.4524:                             ;   in Loop: Header=BB6_130 Depth=2
	s_delay_alu instid0(VALU_DEP_2) | instskip(SKIP_1) | instid1(VALU_DEP_1)
	v_cmp_lt_u64_e32 vcc_lo, 0xffffff, v[2:3]
	v_add_nc_u32_e32 v4, 15, v27
	v_cndmask_b32_e32 v4, v5, v4, vcc_lo
	v_cndmask_b32_e64 v5, 0, 1, vcc_lo
	s_delay_alu instid0(VALU_DEP_1)
	v_lshrrev_b64 v[2:3], v5, v[2:3]
; %bb.4525:                             ;   in Loop: Header=BB6_130 Depth=2
	s_and_not1_saveexec_b32 s10, s10
; %bb.4526:                             ;   in Loop: Header=BB6_130 Depth=2
	s_delay_alu instid0(VALU_DEP_1)
	v_bfe_u32 v4, v2, 23, 1
; %bb.4527:                             ;   in Loop: Header=BB6_130 Depth=2
	s_or_b32 exec_lo, exec_lo, s10
	s_delay_alu instid0(VALU_DEP_2) | instskip(NEXT) | instid1(VALU_DEP_2)
	v_lshrrev_b64 v[2:3], 21, v[2:3]
	v_cmp_gt_i32_e32 vcc_lo, 32, v4
	v_min_i32_e32 v5, 31, v4
	v_cmp_eq_u32_e64 s10, 0, v4
	s_delay_alu instid0(VALU_DEP_2) | instskip(SKIP_1) | instid1(VALU_DEP_2)
	v_dual_cndmask_b32 v3, 0, v3, vcc_lo :: v_dual_lshlrev_b32 v5, 2, v5
	v_cndmask_b32_e32 v2, 3, v2, vcc_lo
	v_and_b32_e32 v5, 0xfc, v5
	s_delay_alu instid0(VALU_DEP_2) | instskip(NEXT) | instid1(VALU_DEP_2)
	v_cmp_eq_u64_e32 vcc_lo, 0, v[2:3]
	v_and_or_b32 v2, v2, 3, v5
	s_and_b32 s10, s10, vcc_lo
	s_delay_alu instid0(VALU_DEP_1) | instid1(SALU_CYCLE_1)
	v_cndmask_b32_e64 v2, v2, 0, s10
	s_delay_alu instid0(VALU_DEP_1)
	v_or_b32_e32 v27, v2, v30
.LBB6_4528:                             ;   in Loop: Header=BB6_130 Depth=2
	s_or_b32 exec_lo, exec_lo, s41
                                        ; implicit-def: $vgpr30
.LBB6_4529:                             ;   in Loop: Header=BB6_130 Depth=2
	s_and_not1_saveexec_b32 s10, s40
; %bb.4530:                             ;   in Loop: Header=BB6_130 Depth=2
	v_or_b32_e32 v27, 0x7b, v30
; %bb.4531:                             ;   in Loop: Header=BB6_130 Depth=2
	s_or_b32 exec_lo, exec_lo, s10
                                        ; implicit-def: $vgpr4
                                        ; implicit-def: $vgpr2_vgpr3
                                        ; implicit-def: $vgpr5
.LBB6_4532:                             ;   in Loop: Header=BB6_130 Depth=2
	s_and_not1_saveexec_b32 s10, s29
	s_cbranch_execz .LBB6_4538
; %bb.4533:                             ;   in Loop: Header=BB6_130 Depth=2
	s_mov_b32 s29, exec_lo
                                        ; implicit-def: $vgpr27
	v_cmpx_ne_u64_e32 0, v[2:3]
	s_xor_b32 s29, exec_lo, s29
; %bb.4534:                             ;   in Loop: Header=BB6_130 Depth=2
	v_or_b32_e32 v27, 0x7f, v5
                                        ; implicit-def: $vgpr4
; %bb.4535:                             ;   in Loop: Header=BB6_130 Depth=2
	s_and_not1_saveexec_b32 s29, s29
; %bb.4536:                             ;   in Loop: Header=BB6_130 Depth=2
	v_cmp_lt_i32_e32 vcc_lo, -1, v4
	v_mov_b32_e32 v2, 0x7c
	s_delay_alu instid0(VALU_DEP_1)
	v_cndmask_b32_e32 v27, 0xfc, v2, vcc_lo
; %bb.4537:                             ;   in Loop: Header=BB6_130 Depth=2
	s_or_b32 exec_lo, exec_lo, s29
.LBB6_4538:                             ;   in Loop: Header=BB6_130 Depth=2
	s_delay_alu instid0(SALU_CYCLE_1) | instskip(SKIP_3) | instid1(VALU_DEP_2)
	s_or_b32 exec_lo, exec_lo, s10
	v_dual_mov_b32 v3, 0 :: v_dual_lshrrev_b32 v2, 16, v0
	v_mov_b32_e32 v4, 0
	s_mov_b32 s29, exec_lo
	v_and_b32_e32 v5, 0xff, v2
	s_delay_alu instid0(VALU_DEP_1)
	v_cmpx_ne_u16_e32 0, v5
	s_cbranch_execz .LBB6_4548
; %bb.4539:                             ;   in Loop: Header=BB6_130 Depth=2
	v_bfrev_b32_e32 v4, 1
	s_mov_b32 s40, exec_lo
	v_cmpx_ne_u16_e32 0x80, v5
	s_cbranch_execz .LBB6_4547
; %bb.4540:                             ;   in Loop: Header=BB6_130 Depth=2
	v_and_b32_e32 v4, 0x7c0000, v0
	v_bfe_u32 v5, v0, 16, 2
	s_delay_alu instid0(VALU_DEP_2) | instskip(SKIP_1) | instid1(SALU_CYCLE_1)
	v_cmp_ne_u32_e32 vcc_lo, 0x7c0000, v4
                                        ; implicit-def: $vgpr4
	s_and_saveexec_b32 s10, vcc_lo
	s_xor_b32 s10, exec_lo, s10
	s_cbranch_execz .LBB6_4544
; %bb.4541:                             ;   in Loop: Header=BB6_130 Depth=2
	v_bfe_u32 v4, v0, 18, 5
	s_mov_b32 s41, exec_lo
	s_delay_alu instid0(VALU_DEP_1)
	v_cmpx_eq_u32_e32 0, v4
; %bb.4542:                             ;   in Loop: Header=BB6_130 Depth=2
	v_clz_i32_u32_e32 v4, v5
	s_delay_alu instid0(VALU_DEP_1) | instskip(NEXT) | instid1(VALU_DEP_1)
	v_min_u32_e32 v4, 32, v4
	v_subrev_nc_u32_e32 v5, 29, v4
	s_delay_alu instid0(VALU_DEP_1) | instskip(NEXT) | instid1(VALU_DEP_1)
	v_lshlrev_b64_e32 v[62:63], v5, v[2:3]
	v_dual_sub_nc_u32 v4, 30, v4 :: v_dual_bitop2_b32 v5, 3, v62 bitop3:0x40
; %bb.4543:                             ;   in Loop: Header=BB6_130 Depth=2
	s_or_b32 exec_lo, exec_lo, s41
	v_lshlrev_b32_e32 v2, 24, v2
	s_delay_alu instid0(VALU_DEP_1) | instskip(NEXT) | instid1(VALU_DEP_1)
	v_and_b32_e32 v2, 0x80000000, v2
	v_lshl_add_u32 v2, v4, 23, v2
	s_delay_alu instid0(VALU_DEP_1) | instskip(NEXT) | instid1(VALU_DEP_1)
	v_lshl_or_b32 v2, v5, 21, v2
                                        ; implicit-def: $vgpr5
	v_add_nc_u32_e32 v4, 0x38000000, v2
                                        ; implicit-def: $vgpr2
.LBB6_4544:                             ;   in Loop: Header=BB6_130 Depth=2
	s_and_not1_saveexec_b32 s41, s10
; %bb.4545:                             ;   in Loop: Header=BB6_130 Depth=2
	v_bfe_i32 v2, v2, 0, 8
	v_cmp_eq_u32_e32 vcc_lo, 0, v5
	s_delay_alu instid0(VALU_DEP_2) | instskip(SKIP_1) | instid1(VALU_DEP_1)
	v_cmp_lt_i16_e64 s10, -1, v2
	v_mov_b32_e32 v2, 0x7f800000
	v_cndmask_b32_e64 v2, 0xff800000, v2, s10
	s_delay_alu instid0(VALU_DEP_1)
	v_cndmask_b32_e32 v4, 0x7f800001, v2, vcc_lo
; %bb.4546:                             ;   in Loop: Header=BB6_130 Depth=2
	s_or_b32 exec_lo, exec_lo, s41
.LBB6_4547:                             ;   in Loop: Header=BB6_130 Depth=2
	s_delay_alu instid0(SALU_CYCLE_1)
	s_or_b32 exec_lo, exec_lo, s40
.LBB6_4548:                             ;   in Loop: Header=BB6_130 Depth=2
	s_delay_alu instid0(SALU_CYCLE_1) | instskip(SKIP_2) | instid1(VALU_DEP_1)
	s_or_b32 exec_lo, exec_lo, s29
	v_lshrrev_b32_e32 v2, 16, v13
	s_mov_b32 s29, exec_lo
	v_and_b32_e32 v5, 0xff, v2
	s_delay_alu instid0(VALU_DEP_1)
	v_cmpx_ne_u16_e32 0, v5
	s_cbranch_execz .LBB6_4558
; %bb.4549:                             ;   in Loop: Header=BB6_130 Depth=2
	v_bfrev_b32_e32 v3, 1
	s_mov_b32 s40, exec_lo
	v_cmpx_ne_u16_e32 0x80, v5
	s_cbranch_execz .LBB6_4557
; %bb.4550:                             ;   in Loop: Header=BB6_130 Depth=2
	v_and_b32_e32 v3, 0x7c0000, v13
	v_bfe_u32 v5, v13, 16, 2
	s_delay_alu instid0(VALU_DEP_2) | instskip(SKIP_1) | instid1(SALU_CYCLE_1)
	v_cmp_ne_u32_e32 vcc_lo, 0x7c0000, v3
                                        ; implicit-def: $vgpr3
	s_and_saveexec_b32 s10, vcc_lo
	s_xor_b32 s10, exec_lo, s10
	s_cbranch_execz .LBB6_4554
; %bb.4551:                             ;   in Loop: Header=BB6_130 Depth=2
	v_bfe_u32 v3, v13, 18, 5
	s_mov_b32 s41, exec_lo
	s_delay_alu instid0(VALU_DEP_1)
	v_cmpx_eq_u32_e32 0, v3
; %bb.4552:                             ;   in Loop: Header=BB6_130 Depth=2
	v_clz_i32_u32_e32 v3, v5
	s_delay_alu instid0(VALU_DEP_1) | instskip(NEXT) | instid1(VALU_DEP_1)
	v_min_u32_e32 v3, 32, v3
	v_subrev_nc_u32_e32 v5, 29, v3
	s_delay_alu instid0(VALU_DEP_1) | instskip(NEXT) | instid1(VALU_DEP_1)
	v_lshlrev_b64_e32 v[62:63], v5, v[2:3]
	v_dual_sub_nc_u32 v3, 30, v3 :: v_dual_bitop2_b32 v5, 3, v62 bitop3:0x40
; %bb.4553:                             ;   in Loop: Header=BB6_130 Depth=2
	s_or_b32 exec_lo, exec_lo, s41
	v_lshlrev_b32_e32 v2, 24, v2
	s_delay_alu instid0(VALU_DEP_1) | instskip(NEXT) | instid1(VALU_DEP_1)
	v_and_b32_e32 v2, 0x80000000, v2
	v_lshl_add_u32 v2, v3, 23, v2
	s_delay_alu instid0(VALU_DEP_1) | instskip(NEXT) | instid1(VALU_DEP_1)
	v_lshl_or_b32 v2, v5, 21, v2
                                        ; implicit-def: $vgpr5
	v_add_nc_u32_e32 v3, 0x38000000, v2
                                        ; implicit-def: $vgpr2
.LBB6_4554:                             ;   in Loop: Header=BB6_130 Depth=2
	s_and_not1_saveexec_b32 s41, s10
; %bb.4555:                             ;   in Loop: Header=BB6_130 Depth=2
	v_bfe_i32 v2, v2, 0, 8
	v_cmp_eq_u32_e32 vcc_lo, 0, v5
	s_delay_alu instid0(VALU_DEP_2) | instskip(SKIP_1) | instid1(VALU_DEP_1)
	v_cmp_lt_i16_e64 s10, -1, v2
	v_mov_b32_e32 v2, 0x7f800000
	v_cndmask_b32_e64 v2, 0xff800000, v2, s10
	s_delay_alu instid0(VALU_DEP_1)
	v_cndmask_b32_e32 v3, 0x7f800001, v2, vcc_lo
; %bb.4556:                             ;   in Loop: Header=BB6_130 Depth=2
	s_or_b32 exec_lo, exec_lo, s41
.LBB6_4557:                             ;   in Loop: Header=BB6_130 Depth=2
	s_delay_alu instid0(SALU_CYCLE_1)
	s_or_b32 exec_lo, exec_lo, s40
.LBB6_4558:                             ;   in Loop: Header=BB6_130 Depth=2
	s_delay_alu instid0(SALU_CYCLE_1) | instskip(NEXT) | instid1(VALU_DEP_1)
	s_or_b32 exec_lo, exec_lo, s29
	v_dual_add_f32 v4, v4, v3 :: v_dual_mov_b32 v63, v1
	v_mov_b32_e32 v3, v1
                                        ; implicit-def: $vgpr30
	s_mov_b32 s10, exec_lo
	s_delay_alu instid0(VALU_DEP_2) | instskip(SKIP_2) | instid1(VALU_DEP_3)
	v_and_b32_e32 v62, 0x7f800000, v4
	v_and_b32_e32 v2, 0x7fffff, v4
	v_lshrrev_b32_e32 v5, 24, v4
	v_cmpx_ne_u64_e32 0x7f800000, v[62:63]
	s_xor_b32 s29, exec_lo, s10
	s_cbranch_execz .LBB6_4572
; %bb.4559:                             ;   in Loop: Header=BB6_130 Depth=2
	v_and_b32_e32 v62, 0x7fffffff, v4
	v_mov_b32_e32 v63, v1
	v_and_b32_e32 v34, 0x80, v5
                                        ; implicit-def: $vgpr30
	s_mov_b32 s10, exec_lo
	s_delay_alu instid0(VALU_DEP_2)
	v_cmpx_gt_u64_e32 0x47600001, v[62:63]
	s_xor_b32 s40, exec_lo, s10
	s_cbranch_execz .LBB6_4569
; %bb.4560:                             ;   in Loop: Header=BB6_130 Depth=2
	v_mov_b32_e32 v30, 0
	s_mov_b32 s41, exec_lo
	v_cmpx_ne_u32_e32 0, v4
	s_cbranch_execz .LBB6_4568
; %bb.4561:                             ;   in Loop: Header=BB6_130 Depth=2
	v_bfe_u32 v30, v4, 23, 8
	v_or_b32_e32 v5, 0x800000, v2
	s_delay_alu instid0(VALU_DEP_2) | instskip(SKIP_2) | instid1(VALU_DEP_2)
	v_cmp_gt_u32_e64 s10, 0x72, v30
	v_sub_nc_u32_e32 v4, 0x71, v30
	v_cmp_eq_u32_e32 vcc_lo, 0, v30
	v_dual_cndmask_b32 v4, 0, v4, s10 :: v_dual_cndmask_b32 v2, v5, v2, vcc_lo
	s_delay_alu instid0(VALU_DEP_1) | instskip(NEXT) | instid1(VALU_DEP_1)
	v_cndmask_b32_e64 v37, v4, 0x70, vcc_lo
	v_dual_add_nc_u32 v4, 21, v37 :: v_dual_add_nc_u32 v50, 20, v37
	s_delay_alu instid0(VALU_DEP_1) | instskip(NEXT) | instid1(VALU_DEP_2)
	v_lshlrev_b64_e64 v[4:5], v4, -1
	v_lshlrev_b64_e64 v[62:63], v50, 1
	s_delay_alu instid0(VALU_DEP_2) | instskip(SKIP_1) | instid1(VALU_DEP_4)
	v_bfi_b32 v4, v4, 0, v2
	v_lshrrev_b64 v[2:3], v37, v[2:3]
	v_bfi_b32 v5, v5, 0, 0
	s_delay_alu instid0(VALU_DEP_1) | instskip(NEXT) | instid1(VALU_DEP_3)
	v_cmp_eq_u64_e64 s10, v[4:5], v[62:63]
	v_mov_b64_e32 v[4:5], v[2:3]
	s_and_saveexec_b32 s42, s10
; %bb.4562:                             ;   in Loop: Header=BB6_130 Depth=2
	v_bfe_u32 v4, v2, 21, 1
	v_mov_b32_e32 v5, v1
	s_delay_alu instid0(VALU_DEP_1) | instskip(NEXT) | instid1(VALU_DEP_1)
	v_add_nc_u64_e32 v[4:5], v[2:3], v[4:5]
	v_add_nc_u64_e32 v[4:5], -1, v[4:5]
; %bb.4563:                             ;   in Loop: Header=BB6_130 Depth=2
	s_or_b32 exec_lo, exec_lo, s42
	v_add_nc_u32_e32 v3, 0xffffff81, v30
	v_lshrrev_b32_e32 v5, 23, v2
	s_mov_b32 s10, exec_lo
	s_delay_alu instid0(VALU_DEP_2) | instskip(NEXT) | instid1(VALU_DEP_1)
	v_cndmask_b32_e64 v3, v3, 0xffffff82, vcc_lo
	v_add3_u32 v30, v37, v3, v5
	v_and_b32_e32 v3, 0x1fffff, v4
                                        ; implicit-def: $vgpr4
	s_delay_alu instid0(VALU_DEP_2) | instskip(NEXT) | instid1(VALU_DEP_2)
	v_add_nc_u32_e32 v5, 14, v30
	v_dual_mov_b32 v3, v1 :: v_dual_add_nc_u32 v2, v3, v2
	s_delay_alu instid0(VALU_DEP_2)
	v_cmpx_ne_u32_e32 0, v5
	s_xor_b32 s10, exec_lo, s10
; %bb.4564:                             ;   in Loop: Header=BB6_130 Depth=2
	s_delay_alu instid0(VALU_DEP_2) | instskip(SKIP_1) | instid1(VALU_DEP_1)
	v_cmp_lt_u64_e32 vcc_lo, 0xffffff, v[2:3]
	v_add_nc_u32_e32 v4, 15, v30
	v_cndmask_b32_e32 v4, v5, v4, vcc_lo
	v_cndmask_b32_e64 v5, 0, 1, vcc_lo
	s_delay_alu instid0(VALU_DEP_1)
	v_lshrrev_b64 v[2:3], v5, v[2:3]
; %bb.4565:                             ;   in Loop: Header=BB6_130 Depth=2
	s_and_not1_saveexec_b32 s10, s10
; %bb.4566:                             ;   in Loop: Header=BB6_130 Depth=2
	s_delay_alu instid0(VALU_DEP_1)
	v_bfe_u32 v4, v2, 23, 1
; %bb.4567:                             ;   in Loop: Header=BB6_130 Depth=2
	s_or_b32 exec_lo, exec_lo, s10
	s_delay_alu instid0(VALU_DEP_2) | instskip(NEXT) | instid1(VALU_DEP_2)
	v_lshrrev_b64 v[2:3], 21, v[2:3]
	v_cmp_gt_i32_e32 vcc_lo, 32, v4
	v_min_i32_e32 v5, 31, v4
	v_cmp_eq_u32_e64 s10, 0, v4
	s_delay_alu instid0(VALU_DEP_2) | instskip(SKIP_1) | instid1(VALU_DEP_2)
	v_dual_cndmask_b32 v3, 0, v3, vcc_lo :: v_dual_lshlrev_b32 v5, 2, v5
	v_cndmask_b32_e32 v2, 3, v2, vcc_lo
	v_and_b32_e32 v5, 0xfc, v5
	s_delay_alu instid0(VALU_DEP_2) | instskip(NEXT) | instid1(VALU_DEP_2)
	v_cmp_eq_u64_e32 vcc_lo, 0, v[2:3]
	v_and_or_b32 v2, v2, 3, v5
	s_and_b32 s10, s10, vcc_lo
	s_delay_alu instid0(VALU_DEP_1) | instid1(SALU_CYCLE_1)
	v_cndmask_b32_e64 v2, v2, 0, s10
	s_delay_alu instid0(VALU_DEP_1)
	v_or_b32_e32 v30, v2, v34
.LBB6_4568:                             ;   in Loop: Header=BB6_130 Depth=2
	s_or_b32 exec_lo, exec_lo, s41
                                        ; implicit-def: $vgpr34
.LBB6_4569:                             ;   in Loop: Header=BB6_130 Depth=2
	s_and_not1_saveexec_b32 s10, s40
; %bb.4570:                             ;   in Loop: Header=BB6_130 Depth=2
	v_or_b32_e32 v30, 0x7b, v34
; %bb.4571:                             ;   in Loop: Header=BB6_130 Depth=2
	s_or_b32 exec_lo, exec_lo, s10
                                        ; implicit-def: $vgpr4
                                        ; implicit-def: $vgpr2_vgpr3
                                        ; implicit-def: $vgpr5
.LBB6_4572:                             ;   in Loop: Header=BB6_130 Depth=2
	s_and_not1_saveexec_b32 s10, s29
	s_cbranch_execz .LBB6_4578
; %bb.4573:                             ;   in Loop: Header=BB6_130 Depth=2
	s_mov_b32 s29, exec_lo
                                        ; implicit-def: $vgpr30
	v_cmpx_ne_u64_e32 0, v[2:3]
	s_xor_b32 s29, exec_lo, s29
; %bb.4574:                             ;   in Loop: Header=BB6_130 Depth=2
	v_or_b32_e32 v30, 0x7f, v5
                                        ; implicit-def: $vgpr4
; %bb.4575:                             ;   in Loop: Header=BB6_130 Depth=2
	s_and_not1_saveexec_b32 s29, s29
; %bb.4576:                             ;   in Loop: Header=BB6_130 Depth=2
	v_cmp_lt_i32_e32 vcc_lo, -1, v4
	v_mov_b32_e32 v2, 0x7c
	s_delay_alu instid0(VALU_DEP_1)
	v_cndmask_b32_e32 v30, 0xfc, v2, vcc_lo
; %bb.4577:                             ;   in Loop: Header=BB6_130 Depth=2
	s_or_b32 exec_lo, exec_lo, s29
.LBB6_4578:                             ;   in Loop: Header=BB6_130 Depth=2
	s_delay_alu instid0(SALU_CYCLE_1)
	s_or_b32 exec_lo, exec_lo, s10
	v_dual_mov_b32 v3, 0 :: v_dual_mov_b32 v4, 0
	s_mov_b32 s29, exec_lo
	v_cmpx_lt_u32_e32 0xffffff, v0
	s_cbranch_execz .LBB6_4588
; %bb.4579:                             ;   in Loop: Header=BB6_130 Depth=2
	v_lshrrev_b32_e32 v2, 24, v0
	v_bfrev_b32_e32 v4, 1
	s_mov_b32 s40, exec_lo
	s_delay_alu instid0(VALU_DEP_2)
	v_cmpx_ne_u32_e32 0x80, v2
	s_cbranch_execz .LBB6_4587
; %bb.4580:                             ;   in Loop: Header=BB6_130 Depth=2
	v_and_b32_e32 v4, 0x7c000000, v0
	v_bfe_u32 v5, v0, 24, 2
	s_delay_alu instid0(VALU_DEP_2) | instskip(SKIP_1) | instid1(SALU_CYCLE_1)
	v_cmp_ne_u32_e32 vcc_lo, 0x7c000000, v4
                                        ; implicit-def: $vgpr4
	s_and_saveexec_b32 s10, vcc_lo
	s_xor_b32 s10, exec_lo, s10
	s_cbranch_execz .LBB6_4584
; %bb.4581:                             ;   in Loop: Header=BB6_130 Depth=2
	v_bfe_u32 v4, v0, 26, 5
	s_mov_b32 s41, exec_lo
	s_delay_alu instid0(VALU_DEP_1)
	v_cmpx_eq_u32_e32 0, v4
; %bb.4582:                             ;   in Loop: Header=BB6_130 Depth=2
	v_clz_i32_u32_e32 v4, v5
	s_delay_alu instid0(VALU_DEP_1) | instskip(NEXT) | instid1(VALU_DEP_1)
	v_min_u32_e32 v4, 32, v4
	v_subrev_nc_u32_e32 v5, 29, v4
	s_delay_alu instid0(VALU_DEP_1) | instskip(NEXT) | instid1(VALU_DEP_1)
	v_lshlrev_b64_e32 v[62:63], v5, v[2:3]
	v_dual_sub_nc_u32 v4, 30, v4 :: v_dual_bitop2_b32 v5, 3, v62 bitop3:0x40
; %bb.4583:                             ;   in Loop: Header=BB6_130 Depth=2
	s_or_b32 exec_lo, exec_lo, s41
	v_and_b32_e32 v0, 0x80000000, v0
	s_delay_alu instid0(VALU_DEP_1) | instskip(NEXT) | instid1(VALU_DEP_1)
	v_lshl_add_u32 v0, v4, 23, v0
	v_lshl_or_b32 v0, v5, 21, v0
                                        ; implicit-def: $vgpr5
	s_delay_alu instid0(VALU_DEP_1)
	v_add_nc_u32_e32 v4, 0x38000000, v0
.LBB6_4584:                             ;   in Loop: Header=BB6_130 Depth=2
	s_and_not1_saveexec_b32 s41, s10
; %bb.4585:                             ;   in Loop: Header=BB6_130 Depth=2
	v_cmp_lt_i32_e64 s10, -1, v0
	v_mov_b32_e32 v0, 0x7f800000
	v_cmp_eq_u32_e32 vcc_lo, 0, v5
	s_delay_alu instid0(VALU_DEP_2) | instskip(NEXT) | instid1(VALU_DEP_1)
	v_cndmask_b32_e64 v0, 0xff800000, v0, s10
	v_cndmask_b32_e32 v4, 0x7f800001, v0, vcc_lo
; %bb.4586:                             ;   in Loop: Header=BB6_130 Depth=2
	s_or_b32 exec_lo, exec_lo, s41
.LBB6_4587:                             ;   in Loop: Header=BB6_130 Depth=2
	s_delay_alu instid0(SALU_CYCLE_1)
	s_or_b32 exec_lo, exec_lo, s40
.LBB6_4588:                             ;   in Loop: Header=BB6_130 Depth=2
	s_delay_alu instid0(SALU_CYCLE_1) | instskip(NEXT) | instid1(SALU_CYCLE_1)
	s_or_b32 exec_lo, exec_lo, s29
	s_mov_b32 s29, exec_lo
	v_cmpx_lt_u64_e64 s[12:13], v[12:13]
	s_cbranch_execz .LBB6_4598
; %bb.4589:                             ;   in Loop: Header=BB6_130 Depth=2
	v_lshrrev_b32_e32 v0, 24, v13
	v_bfrev_b32_e32 v3, 1
	s_mov_b32 s40, exec_lo
	s_delay_alu instid0(VALU_DEP_2)
	v_cmpx_ne_u32_e32 0x80, v0
	s_cbranch_execz .LBB6_4597
; %bb.4590:                             ;   in Loop: Header=BB6_130 Depth=2
	v_and_b32_e32 v3, 0x7c000000, v13
	v_bfe_u32 v2, v13, 24, 2
	s_delay_alu instid0(VALU_DEP_2) | instskip(SKIP_1) | instid1(SALU_CYCLE_1)
	v_cmp_ne_u32_e32 vcc_lo, 0x7c000000, v3
                                        ; implicit-def: $vgpr3
	s_and_saveexec_b32 s10, vcc_lo
	s_xor_b32 s10, exec_lo, s10
	s_cbranch_execz .LBB6_4594
; %bb.4591:                             ;   in Loop: Header=BB6_130 Depth=2
	v_bfe_u32 v3, v13, 26, 5
	s_mov_b32 s41, exec_lo
	s_delay_alu instid0(VALU_DEP_1)
	v_cmpx_eq_u32_e32 0, v3
; %bb.4592:                             ;   in Loop: Header=BB6_130 Depth=2
	v_clz_i32_u32_e32 v2, v2
	s_delay_alu instid0(VALU_DEP_1) | instskip(NEXT) | instid1(VALU_DEP_1)
	v_min_u32_e32 v5, 32, v2
	v_subrev_nc_u32_e32 v2, 29, v5
	s_delay_alu instid0(VALU_DEP_1) | instskip(NEXT) | instid1(VALU_DEP_1)
	v_lshlrev_b64_e32 v[2:3], v2, v[0:1]
	v_dual_sub_nc_u32 v3, 30, v5 :: v_dual_bitop2_b32 v2, 3, v2 bitop3:0x40
; %bb.4593:                             ;   in Loop: Header=BB6_130 Depth=2
	s_or_b32 exec_lo, exec_lo, s41
	v_and_b32_e32 v0, 0x80000000, v13
                                        ; implicit-def: $vgpr12_vgpr13
	s_delay_alu instid0(VALU_DEP_1) | instskip(NEXT) | instid1(VALU_DEP_1)
	v_lshl_add_u32 v0, v3, 23, v0
	v_lshl_or_b32 v0, v2, 21, v0
                                        ; implicit-def: $vgpr2
	s_delay_alu instid0(VALU_DEP_1)
	v_add_nc_u32_e32 v3, 0x38000000, v0
.LBB6_4594:                             ;   in Loop: Header=BB6_130 Depth=2
	s_and_not1_saveexec_b32 s41, s10
; %bb.4595:                             ;   in Loop: Header=BB6_130 Depth=2
	v_cmp_lt_i64_e64 s10, -1, v[12:13]
	v_mov_b32_e32 v0, 0x7f800000
	v_cmp_eq_u32_e32 vcc_lo, 0, v2
	s_delay_alu instid0(VALU_DEP_2) | instskip(NEXT) | instid1(VALU_DEP_1)
	v_cndmask_b32_e64 v0, 0xff800000, v0, s10
	v_cndmask_b32_e32 v3, 0x7f800001, v0, vcc_lo
; %bb.4596:                             ;   in Loop: Header=BB6_130 Depth=2
	s_or_b32 exec_lo, exec_lo, s41
.LBB6_4597:                             ;   in Loop: Header=BB6_130 Depth=2
	s_delay_alu instid0(SALU_CYCLE_1)
	s_or_b32 exec_lo, exec_lo, s40
.LBB6_4598:                             ;   in Loop: Header=BB6_130 Depth=2
	s_delay_alu instid0(SALU_CYCLE_1) | instskip(NEXT) | instid1(VALU_DEP_1)
	s_or_b32 exec_lo, exec_lo, s29
	v_dual_add_f32 v3, v4, v3 :: v_dual_mov_b32 v5, v1
                                        ; implicit-def: $vgpr2
	s_delay_alu instid0(VALU_DEP_1) | instskip(SKIP_1) | instid1(VALU_DEP_2)
	v_and_b32_e32 v4, 0x7f800000, v3
	v_and_b32_e32 v0, 0x7fffff, v3
	v_cmp_ne_u64_e32 vcc_lo, 0x7f800000, v[4:5]
	v_lshrrev_b32_e32 v4, 24, v3
	s_and_saveexec_b32 s10, vcc_lo
	s_delay_alu instid0(SALU_CYCLE_1)
	s_xor_b32 s29, exec_lo, s10
	s_cbranch_execz .LBB6_4612
; %bb.4599:                             ;   in Loop: Header=BB6_130 Depth=2
	v_and_b32_e32 v12, 0x7fffffff, v3
	v_mov_b32_e32 v13, v1
                                        ; implicit-def: $vgpr2
	s_delay_alu instid0(VALU_DEP_1) | instskip(SKIP_2) | instid1(SALU_CYCLE_1)
	v_cmp_gt_u64_e32 vcc_lo, 0x47600001, v[12:13]
	v_and_b32_e32 v12, 0x80, v4
	s_and_saveexec_b32 s10, vcc_lo
	s_xor_b32 s40, exec_lo, s10
	s_cbranch_execz .LBB6_4609
; %bb.4600:                             ;   in Loop: Header=BB6_130 Depth=2
	v_mov_b32_e32 v2, 0
	s_mov_b32 s41, exec_lo
	v_cmpx_ne_u32_e32 0, v3
	s_cbranch_execz .LBB6_4608
; %bb.4601:                             ;   in Loop: Header=BB6_130 Depth=2
	v_bfe_u32 v13, v3, 23, 8
	v_or_b32_e32 v3, 0x800000, v0
	s_delay_alu instid0(VALU_DEP_2) | instskip(SKIP_2) | instid1(VALU_DEP_2)
	v_cmp_gt_u32_e64 s10, 0x72, v13
	v_sub_nc_u32_e32 v2, 0x71, v13
	v_cmp_eq_u32_e32 vcc_lo, 0, v13
	v_cndmask_b32_e64 v2, 0, v2, s10
	s_delay_alu instid0(VALU_DEP_1) | instskip(SKIP_1) | instid1(VALU_DEP_2)
	v_cndmask_b32_e64 v34, v2, 0x70, vcc_lo
	v_dual_cndmask_b32 v2, v3, v0 :: v_dual_mov_b32 v3, v1
	v_add_nc_u32_e32 v0, 21, v34
	s_delay_alu instid0(VALU_DEP_1) | instskip(SKIP_1) | instid1(VALU_DEP_1)
	v_lshlrev_b64_e64 v[4:5], v0, -1
	v_add_nc_u32_e32 v0, 20, v34
	v_lshlrev_b64_e64 v[62:63], v0, 1
	s_delay_alu instid0(VALU_DEP_3) | instskip(SKIP_2) | instid1(VALU_DEP_1)
	v_bfi_b32 v4, v4, 0, v2
	v_lshrrev_b64 v[2:3], v34, v[2:3]
	v_bfi_b32 v5, v5, 0, 0
	v_cmp_eq_u64_e64 s10, v[4:5], v[62:63]
	s_delay_alu instid0(VALU_DEP_3)
	v_mov_b64_e32 v[4:5], v[2:3]
	s_and_saveexec_b32 s42, s10
; %bb.4602:                             ;   in Loop: Header=BB6_130 Depth=2
	v_bfe_u32 v4, v2, 21, 1
	v_mov_b32_e32 v5, v1
	s_delay_alu instid0(VALU_DEP_1) | instskip(NEXT) | instid1(VALU_DEP_1)
	v_add_nc_u64_e32 v[4:5], v[2:3], v[4:5]
	v_add_nc_u64_e32 v[4:5], -1, v[4:5]
; %bb.4603:                             ;   in Loop: Header=BB6_130 Depth=2
	s_or_b32 exec_lo, exec_lo, s42
	v_add_nc_u32_e32 v0, 0xffffff81, v13
	s_delay_alu instid0(VALU_DEP_2) | instskip(SKIP_2) | instid1(VALU_DEP_3)
	v_and_b32_e32 v4, 0x1fffff, v4
	v_lshrrev_b32_e32 v3, 23, v2
	s_mov_b32 s10, exec_lo
	v_cndmask_b32_e64 v0, v0, 0xffffff82, vcc_lo
	s_delay_alu instid0(VALU_DEP_1) | instskip(SKIP_1) | instid1(VALU_DEP_2)
	v_add3_u32 v13, v34, v0, v3
	v_add_nc_u32_e32 v0, v4, v2
                                        ; implicit-def: $vgpr2_vgpr3
                                        ; implicit-def: $vgpr4
	v_add_nc_u32_e32 v5, 14, v13
	s_delay_alu instid0(VALU_DEP_1)
	v_cmpx_ne_u32_e32 0, v5
	s_xor_b32 s10, exec_lo, s10
; %bb.4604:                             ;   in Loop: Header=BB6_130 Depth=2
	s_delay_alu instid0(VALU_DEP_3) | instskip(SKIP_1) | instid1(VALU_DEP_1)
	v_cmp_lt_u64_e32 vcc_lo, 0xffffff, v[0:1]
	v_add_nc_u32_e32 v2, 15, v13
	v_cndmask_b32_e32 v4, v5, v2, vcc_lo
	v_cndmask_b32_e64 v2, 0, 1, vcc_lo
	s_delay_alu instid0(VALU_DEP_1)
	v_lshrrev_b64 v[2:3], v2, v[0:1]
; %bb.4605:                             ;   in Loop: Header=BB6_130 Depth=2
	s_and_not1_saveexec_b32 s10, s10
; %bb.4606:                             ;   in Loop: Header=BB6_130 Depth=2
	v_mov_b64_e32 v[2:3], v[0:1]
	v_bfe_u32 v4, v0, 23, 1
; %bb.4607:                             ;   in Loop: Header=BB6_130 Depth=2
	s_or_b32 exec_lo, exec_lo, s10
	s_delay_alu instid0(VALU_DEP_2) | instskip(NEXT) | instid1(VALU_DEP_2)
	v_lshrrev_b64 v[2:3], 21, v[2:3]
	v_cmp_gt_i32_e32 vcc_lo, 32, v4
	v_min_i32_e32 v0, 31, v4
	v_cmp_eq_u32_e64 s10, 0, v4
	s_delay_alu instid0(VALU_DEP_2) | instskip(SKIP_1) | instid1(VALU_DEP_2)
	v_dual_cndmask_b32 v3, 0, v3 :: v_dual_lshlrev_b32 v0, 2, v0
	v_cndmask_b32_e32 v2, 3, v2, vcc_lo
	v_and_b32_e32 v0, 0xfc, v0
	s_delay_alu instid0(VALU_DEP_2) | instskip(NEXT) | instid1(VALU_DEP_2)
	v_cmp_eq_u64_e32 vcc_lo, 0, v[2:3]
	v_and_or_b32 v0, v2, 3, v0
	s_and_b32 s10, s10, vcc_lo
	s_delay_alu instid0(VALU_DEP_1) | instid1(SALU_CYCLE_1)
	v_cndmask_b32_e64 v0, v0, 0, s10
	s_delay_alu instid0(VALU_DEP_1)
	v_or_b32_e32 v2, v0, v12
.LBB6_4608:                             ;   in Loop: Header=BB6_130 Depth=2
	s_or_b32 exec_lo, exec_lo, s41
                                        ; implicit-def: $vgpr12
.LBB6_4609:                             ;   in Loop: Header=BB6_130 Depth=2
	s_and_not1_saveexec_b32 s10, s40
; %bb.4610:                             ;   in Loop: Header=BB6_130 Depth=2
	v_or_b32_e32 v2, 0x7b, v12
; %bb.4611:                             ;   in Loop: Header=BB6_130 Depth=2
	s_or_b32 exec_lo, exec_lo, s10
                                        ; implicit-def: $vgpr3
                                        ; implicit-def: $vgpr4
.LBB6_4612:                             ;   in Loop: Header=BB6_130 Depth=2
	s_and_not1_saveexec_b32 s10, s29
	s_cbranch_execz .LBB6_129
; %bb.4613:                             ;   in Loop: Header=BB6_130 Depth=2
	s_mov_b32 s29, exec_lo
                                        ; implicit-def: $vgpr2
	v_cmpx_ne_u64_e32 0, v[0:1]
	s_xor_b32 s29, exec_lo, s29
; %bb.4614:                             ;   in Loop: Header=BB6_130 Depth=2
	v_or_b32_e32 v2, 0x7f, v4
                                        ; implicit-def: $vgpr3
; %bb.4615:                             ;   in Loop: Header=BB6_130 Depth=2
	s_and_not1_saveexec_b32 s29, s29
	s_cbranch_execz .LBB6_128
; %bb.4616:                             ;   in Loop: Header=BB6_130 Depth=2
	v_cmp_lt_i32_e32 vcc_lo, -1, v3
	v_mov_b32_e32 v0, 0x7c
	s_delay_alu instid0(VALU_DEP_1)
	v_cndmask_b32_e32 v2, 0xfc, v0, vcc_lo
	s_branch .LBB6_128
.LBB6_4617:                             ;   in Loop: Header=BB6_49 Depth=1
	s_or_b32 exec_lo, exec_lo, s26
	v_dual_mov_b32 v103, 1 :: v_dual_mov_b32 v115, v78
	v_mov_b32_e32 v113, 0x90
.LBB6_4618:                             ;   in Loop: Header=BB6_49 Depth=1
	s_or_b32 exec_lo, exec_lo, s11
	s_delay_alu instid0(VALU_DEP_2) | instskip(SKIP_3) | instid1(VALU_DEP_2)
	v_and_b32_e32 v0, 0x3ffff800, v115
	v_mov_b32_e32 v10, 0
	s_mov_b32 s10, 0
	s_mov_b32 s25, exec_lo
                                        ; implicit-def: $vgpr4
                                        ; implicit-def: $vgpr5
	v_cmpx_ne_u32_e64 v115, v0
	s_cbranch_execz .LBB6_5688
; %bb.4619:                             ;   in Loop: Header=BB6_49 Depth=1
	scratch_load_b32 v3, off, s33 offset:360 ; 4-byte Folded Reload
	v_lshlrev_b32_e32 v2, 5, v6
	v_and_b32_e32 v9, 0x1ff, v115
	v_bfe_u32 v5, v115, 9, 2
	s_mov_b32 s26, exec_lo
	s_delay_alu instid0(VALU_DEP_2) | instskip(NEXT) | instid1(VALU_DEP_1)
	v_cmp_lt_u32_e64 s10, 15, v9
	v_add_co_ci_u32_e64 v5, null, 0, v5, s10
	s_wait_loadcnt 0x0
	v_sub_nc_u32_e32 v2, v3, v2
	s_delay_alu instid0(VALU_DEP_1) | instskip(NEXT) | instid1(VALU_DEP_1)
	v_ashrrev_i32_e32 v3, 31, v2
	v_lshrrev_b32_e32 v3, 27, v3
	s_delay_alu instid0(VALU_DEP_1) | instskip(NEXT) | instid1(VALU_DEP_1)
	v_add_nc_u32_e32 v3, v2, v3
	v_and_b32_e32 v4, 0xffffffe0, v3
	s_delay_alu instid0(VALU_DEP_1) | instskip(SKIP_1) | instid1(VALU_DEP_2)
	v_dual_ashrrev_i32 v3, 5, v3 :: v_dual_sub_nc_u32 v8, v2, v4
	v_and_b32_e32 v4, 0x7ff, v115
	v_dual_sub_nc_u32 v20, v5, v3 :: v_dual_lshlrev_b32 v2, 4, v8
	s_delay_alu instid0(VALU_DEP_1) | instskip(NEXT) | instid1(VALU_DEP_1)
	v_lshl_add_u32 v2, v3, 9, v2
	v_sub_nc_u32_e32 v21, v4, v2
	s_wait_xcnt 0x0
	s_delay_alu instid0(VALU_DEP_1)
	v_cmpx_lt_i32_e32 15, v21
	s_cbranch_execz .LBB6_5687
; %bb.4620:                             ;   in Loop: Header=BB6_49 Depth=1
	s_trap 2
	ds_load_b64 v[4:5], v0
	v_add_nc_u32_e32 v2, v2, v0
	s_delay_alu instid0(VALU_DEP_1) | instskip(NEXT) | instid1(VALU_DEP_1)
	v_ashrrev_i32_e32 v3, 31, v2
	v_add_nc_u64_e32 v[14:15], v[2:3], v[98:99]
	v_add_nc_u64_e32 v[16:17], v[2:3], v[100:101]
	s_wait_dscnt 0x0
	v_readfirstlane_b32 s28, v4
	v_readfirstlane_b32 s29, v5
	v_add_nc_u64_e32 v[18:19], v[4:5], v[2:3]
	s_and_b32 s27, s28, 3
	s_bfe_i32 s11, s28, 0x80000
	s_clz_i32_u32 s42, s27
	s_bfe_u32 s40, s28, 0x50002
	s_min_u32 s42, s42, 32
	s_and_b32 s41, s28, 0x7c
	s_sub_co_i32 s45, s42, 29
	s_lshl_b32 s43, s28, 24
	s_sext_i32_i8 s44, s28
	s_lshl_b64 s[28:29], s[28:29], s45
	s_and_b32 s43, s43, 0x80000000
	s_sub_co_i32 s29, 30, s42
	s_and_b32 s28, s28, 3
	s_cmp_gt_i32 s44, -1
	s_cselect_b32 s42, s22, 0xff800000
	s_cmp_eq_u32 s27, 0
	s_cselect_b32 s42, s42, 0x7f800001
	s_cmp_eq_u32 s40, 0
	s_cselect_b32 s29, s29, s40
	s_cselect_b32 s27, s28, s27
	s_lshl_b32 s28, s29, 23
	s_lshl_b32 s27, s27, 21
	s_add_co_i32 s28, s28, s43
	s_delay_alu instid0(SALU_CYCLE_1) | instskip(NEXT) | instid1(SALU_CYCLE_1)
	s_or_b32 s27, s28, s27
	s_add_co_i32 s28, s27, 0x38000000
	s_cmp_eq_u32 s41, 0x7c
	s_mov_b32 s27, 0
	s_cselect_b32 s28, s42, s28
	s_and_b32 s29, s11, 0xff
	s_branch .LBB6_4623
.LBB6_4621:                             ;   in Loop: Header=BB6_4623 Depth=2
	s_or_b32 exec_lo, exec_lo, s40
.LBB6_4622:                             ;   in Loop: Header=BB6_4623 Depth=2
	s_delay_alu instid0(SALU_CYCLE_1)
	s_or_b32 exec_lo, exec_lo, s11
	v_dual_lshlrev_b32 v3, 16, v36 :: v_dual_lshlrev_b32 v4, 24, v10
	v_lshl_or_b32 v5, v24, 8, v22
	v_dual_lshlrev_b32 v10, 16, v27 :: v_dual_lshlrev_b32 v12, 24, v30
	v_dual_lshlrev_b32 v24, 24, v2 :: v_dual_lshlrev_b32 v23, 16, v23
	v_lshl_or_b32 v6, v7, 8, v6
	v_lshl_or_b32 v0, v35, 8, v33
	;; [unrolled: 1-line block ×3, first 2 shown]
	v_dual_lshlrev_b32 v13, 16, v29 :: v_dual_lshlrev_b32 v22, 24, v32
	v_or3_b32 v2, v5, v10, v12
	v_or3_b32 v5, v6, v23, v24
	scratch_load_b64 v[6:7], off, s33 offset:324 ; 8-byte Folded Reload
	v_or3_b32 v3, v0, v3, v4
	v_or3_b32 v4, v11, v13, v22
	global_store_b128 v[16:17], v[2:5], off th:TH_STORE_NT
	scratch_load_b64 v[2:3], off, s33 offset:276 ; 8-byte Folded Reload
	s_wait_loadcnt 0x1
	v_sub_nc_u32_e32 v21, v21, v6
	v_add_nc_u64_e32 v[14:15], v[14:15], v[6:7]
	v_add_nc_u64_e32 v[18:19], v[18:19], v[6:7]
	;; [unrolled: 1-line block ×3, first 2 shown]
	s_delay_alu instid0(VALU_DEP_4)
	v_cmp_gt_i32_e32 vcc_lo, 16, v21
	s_wait_loadcnt 0x0
	v_sub_nc_u32_e32 v20, v20, v2
	s_or_b32 s27, vcc_lo, s27
	s_wait_xcnt 0x0
	s_and_not1_b32 exec_lo, exec_lo, s27
	s_cbranch_execz .LBB6_5686
.LBB6_4623:                             ;   Parent Loop BB6_49 Depth=1
                                        ; =>  This Inner Loop Header: Depth=2
	s_cmp_lt_i32 s29, 0x80
	s_cbranch_scc1 .LBB6_4627
; %bb.4624:                             ;   in Loop: Header=BB6_4623 Depth=2
	s_and_b32 s11, 0xffff, s29
	s_delay_alu instid0(SALU_CYCLE_1)
	s_cmp_eq_u32 s11, 0x80
	s_mov_b32 s11, -1
	s_cbranch_scc0 .LBB6_4626
; %bb.4625:                             ;   in Loop: Header=BB6_4623 Depth=2
	s_mov_b32 s11, 0
.LBB6_4626:                             ;   in Loop: Header=BB6_4623 Depth=2
	s_brev_b32 s40, 1
	s_branch .LBB6_4629
.LBB6_4627:                             ;   in Loop: Header=BB6_4623 Depth=2
	s_mov_b32 s11, 0
	s_brev_b32 s40, 1
	s_cbranch_execz .LBB6_4629
; %bb.4628:                             ;   in Loop: Header=BB6_4623 Depth=2
	s_and_b32 s11, 0xffff, s29
	s_mov_b32 s40, 0
	s_cmp_lg_u32 s11, 0
	s_cselect_b32 s11, -1, 0
.LBB6_4629:                             ;   in Loop: Header=BB6_4623 Depth=2
	s_delay_alu instid0(SALU_CYCLE_1)
	s_and_not1_b32 vcc_lo, exec_lo, s11
	s_cbranch_vccnz .LBB6_4631
; %bb.4630:                             ;   in Loop: Header=BB6_4623 Depth=2
	s_mov_b32 s40, s28
.LBB6_4631:                             ;   in Loop: Header=BB6_4623 Depth=2
	global_load_b128 v[10:13], v[14:15], off th:TH_LOAD_NT
	s_wait_loadcnt 0x0
	v_and_b32_e32 v0, 0xff, v10
	s_delay_alu instid0(VALU_DEP_1)
	v_cmp_ne_u16_e32 vcc_lo, 0, v0
	v_mov_b32_e32 v0, 0
	s_wait_xcnt 0x0
	s_and_saveexec_b32 s11, vcc_lo
	s_cbranch_execz .LBB6_4641
; %bb.4632:                             ;   in Loop: Header=BB6_4623 Depth=2
	v_bfe_i32 v3, v10, 0, 8
	v_bfrev_b32_e32 v0, 1
	s_mov_b32 s41, exec_lo
	s_delay_alu instid0(VALU_DEP_2)
	v_cmpx_ne_u16_e32 0xff80, v3
	s_cbranch_execz .LBB6_4640
; %bb.4633:                             ;   in Loop: Header=BB6_4623 Depth=2
	v_and_b32_e32 v0, 0x7c, v10
	v_and_b32_e32 v2, 3, v10
	s_delay_alu instid0(VALU_DEP_2) | instskip(SKIP_1) | instid1(SALU_CYCLE_1)
	v_cmp_ne_u32_e32 vcc_lo, 0x7c, v0
                                        ; implicit-def: $vgpr0
	s_and_saveexec_b32 s42, vcc_lo
	s_xor_b32 s42, exec_lo, s42
	s_cbranch_execz .LBB6_4637
; %bb.4634:                             ;   in Loop: Header=BB6_4623 Depth=2
	v_bfe_u32 v0, v10, 2, 5
	s_mov_b32 s43, exec_lo
	s_delay_alu instid0(VALU_DEP_1)
	v_cmpx_eq_u32_e32 0, v0
; %bb.4635:                             ;   in Loop: Header=BB6_4623 Depth=2
	v_clz_i32_u32_e32 v0, v2
	s_delay_alu instid0(VALU_DEP_1) | instskip(NEXT) | instid1(VALU_DEP_1)
	v_min_u32_e32 v0, 32, v0
	v_subrev_nc_u32_e32 v2, 29, v0
	s_delay_alu instid0(VALU_DEP_1) | instskip(NEXT) | instid1(VALU_DEP_1)
	v_lshlrev_b64_e32 v[2:3], v2, v[10:11]
	v_dual_sub_nc_u32 v0, 30, v0 :: v_dual_bitop2_b32 v2, 3, v2 bitop3:0x40
; %bb.4636:                             ;   in Loop: Header=BB6_4623 Depth=2
	s_or_b32 exec_lo, exec_lo, s43
	v_lshlrev_b32_e32 v3, 24, v10
	s_delay_alu instid0(VALU_DEP_1) | instskip(NEXT) | instid1(VALU_DEP_1)
	v_and_b32_e32 v3, 0x80000000, v3
	v_lshl_add_u32 v0, v0, 23, v3
                                        ; implicit-def: $vgpr3
	s_delay_alu instid0(VALU_DEP_1) | instskip(NEXT) | instid1(VALU_DEP_1)
	v_lshl_or_b32 v0, v2, 21, v0
                                        ; implicit-def: $vgpr2
	v_add_nc_u32_e32 v0, 0x38000000, v0
.LBB6_4637:                             ;   in Loop: Header=BB6_4623 Depth=2
	s_and_not1_saveexec_b32 s42, s42
; %bb.4638:                             ;   in Loop: Header=BB6_4623 Depth=2
	v_cmp_lt_i16_e32 vcc_lo, -1, v3
	v_mov_b32_e32 v0, 0x7f800000
	s_delay_alu instid0(VALU_DEP_1) | instskip(SKIP_1) | instid1(VALU_DEP_2)
	v_cndmask_b32_e32 v0, 0xff800000, v0, vcc_lo
	v_cmp_eq_u32_e32 vcc_lo, 0, v2
	v_cndmask_b32_e32 v0, 0x7f800001, v0, vcc_lo
; %bb.4639:                             ;   in Loop: Header=BB6_4623 Depth=2
	s_or_b32 exec_lo, exec_lo, s42
.LBB6_4640:                             ;   in Loop: Header=BB6_4623 Depth=2
	s_delay_alu instid0(SALU_CYCLE_1)
	s_or_b32 exec_lo, exec_lo, s41
.LBB6_4641:                             ;   in Loop: Header=BB6_4623 Depth=2
	s_delay_alu instid0(SALU_CYCLE_1) | instskip(NEXT) | instid1(VALU_DEP_1)
	s_or_b32 exec_lo, exec_lo, s11
	v_dual_mul_f32 v2, s40, v0 :: v_dual_mov_b32 v5, v1
                                        ; implicit-def: $vgpr7
	s_mov_b32 s11, exec_lo
	s_delay_alu instid0(VALU_DEP_1) | instskip(SKIP_2) | instid1(VALU_DEP_3)
	v_and_b32_e32 v4, 0x7f800000, v2
	v_and_b32_e32 v0, 0x7fffff, v2
	v_lshrrev_b32_e32 v3, 24, v2
	v_cmpx_ne_u64_e32 0x7f800000, v[4:5]
	s_xor_b32 s41, exec_lo, s11
	s_cbranch_execz .LBB6_4655
; %bb.4642:                             ;   in Loop: Header=BB6_4623 Depth=2
	v_and_b32_e32 v4, 0x7fffffff, v2
	v_mov_b32_e32 v5, v1
	v_and_b32_e32 v6, 0x80, v3
                                        ; implicit-def: $vgpr7
	s_mov_b32 s11, exec_lo
	s_delay_alu instid0(VALU_DEP_2)
	v_cmpx_gt_u64_e32 0x47600001, v[4:5]
	s_xor_b32 s42, exec_lo, s11
	s_cbranch_execz .LBB6_4652
; %bb.4643:                             ;   in Loop: Header=BB6_4623 Depth=2
	v_mov_b32_e32 v7, 0
	s_mov_b32 s43, exec_lo
	v_cmpx_ne_u32_e32 0, v2
	s_cbranch_execz .LBB6_4651
; %bb.4644:                             ;   in Loop: Header=BB6_4623 Depth=2
	v_bfe_u32 v7, v2, 23, 8
	v_or_b32_e32 v4, 0x800000, v0
	s_mov_b32 s44, exec_lo
	s_delay_alu instid0(VALU_DEP_2) | instskip(SKIP_1) | instid1(VALU_DEP_2)
	v_dual_mov_b32 v5, v1 :: v_dual_sub_nc_u32 v2, 0x71, v7
	v_cmp_gt_u32_e32 vcc_lo, 0x72, v7
	v_cndmask_b32_e32 v2, 0, v2, vcc_lo
	v_cmp_eq_u32_e32 vcc_lo, 0, v7
	v_cndmask_b32_e32 v4, v4, v0, vcc_lo
	s_delay_alu instid0(VALU_DEP_3) | instskip(NEXT) | instid1(VALU_DEP_1)
	v_cndmask_b32_e64 v22, v2, 0x70, vcc_lo
	v_dual_add_nc_u32 v2, 21, v22 :: v_dual_add_nc_u32 v23, 20, v22
	s_delay_alu instid0(VALU_DEP_1) | instskip(NEXT) | instid1(VALU_DEP_2)
	v_lshlrev_b64_e64 v[2:3], v2, -1
	v_lshlrev_b64_e64 v[24:25], v23, 1
	s_delay_alu instid0(VALU_DEP_2) | instskip(NEXT) | instid1(VALU_DEP_3)
	v_bfi_b32 v27, v3, 0, 0
	v_bfi_b32 v26, v2, 0, v4
	v_lshrrev_b64 v[2:3], v22, v[4:5]
	s_delay_alu instid0(VALU_DEP_1) | instskip(NEXT) | instid1(VALU_DEP_3)
	v_mov_b64_e32 v[4:5], v[2:3]
	v_cmpx_eq_u64_e64 v[26:27], v[24:25]
; %bb.4645:                             ;   in Loop: Header=BB6_4623 Depth=2
	v_bfe_u32 v4, v2, 21, 1
	v_mov_b32_e32 v5, v1
	s_delay_alu instid0(VALU_DEP_1) | instskip(NEXT) | instid1(VALU_DEP_1)
	v_add_nc_u64_e32 v[4:5], v[2:3], v[4:5]
	v_add_nc_u64_e32 v[4:5], -1, v[4:5]
; %bb.4646:                             ;   in Loop: Header=BB6_4623 Depth=2
	s_or_b32 exec_lo, exec_lo, s44
	v_add_nc_u32_e32 v0, 0xffffff81, v7
	s_delay_alu instid0(VALU_DEP_2) | instskip(SKIP_2) | instid1(VALU_DEP_3)
	v_and_b32_e32 v4, 0x1fffff, v4
	v_lshrrev_b32_e32 v3, 23, v2
	s_mov_b32 s11, exec_lo
	v_cndmask_b32_e64 v0, v0, 0xffffff82, vcc_lo
	s_delay_alu instid0(VALU_DEP_1) | instskip(SKIP_1) | instid1(VALU_DEP_2)
	v_add3_u32 v5, v22, v0, v3
	v_add_nc_u32_e32 v0, v4, v2
                                        ; implicit-def: $vgpr2_vgpr3
                                        ; implicit-def: $vgpr4
	v_add_nc_u32_e32 v7, 14, v5
	s_delay_alu instid0(VALU_DEP_1)
	v_cmpx_ne_u32_e32 0, v7
	s_xor_b32 s11, exec_lo, s11
; %bb.4647:                             ;   in Loop: Header=BB6_4623 Depth=2
	s_delay_alu instid0(VALU_DEP_3) | instskip(SKIP_1) | instid1(VALU_DEP_1)
	v_cmp_lt_u64_e32 vcc_lo, 0xffffff, v[0:1]
	v_add_nc_u32_e32 v2, 15, v5
	v_cndmask_b32_e32 v4, v7, v2, vcc_lo
	v_cndmask_b32_e64 v2, 0, 1, vcc_lo
	s_delay_alu instid0(VALU_DEP_1)
	v_lshrrev_b64 v[2:3], v2, v[0:1]
; %bb.4648:                             ;   in Loop: Header=BB6_4623 Depth=2
	s_and_not1_saveexec_b32 s11, s11
; %bb.4649:                             ;   in Loop: Header=BB6_4623 Depth=2
	v_mov_b64_e32 v[2:3], v[0:1]
	v_bfe_u32 v4, v0, 23, 1
; %bb.4650:                             ;   in Loop: Header=BB6_4623 Depth=2
	s_or_b32 exec_lo, exec_lo, s11
	s_delay_alu instid0(VALU_DEP_2) | instskip(NEXT) | instid1(VALU_DEP_2)
	v_lshrrev_b64 v[2:3], 21, v[2:3]
	v_cmp_gt_i32_e32 vcc_lo, 32, v4
	v_min_i32_e32 v0, 31, v4
	v_cmp_eq_u32_e64 s11, 0, v4
	s_delay_alu instid0(VALU_DEP_2) | instskip(SKIP_1) | instid1(VALU_DEP_2)
	v_dual_cndmask_b32 v3, 0, v3 :: v_dual_lshlrev_b32 v0, 2, v0
	v_cndmask_b32_e32 v2, 3, v2, vcc_lo
	v_and_b32_e32 v0, 0xfc, v0
	s_delay_alu instid0(VALU_DEP_2) | instskip(NEXT) | instid1(VALU_DEP_2)
	v_cmp_eq_u64_e32 vcc_lo, 0, v[2:3]
	v_and_or_b32 v0, v2, 3, v0
	s_and_b32 s11, s11, vcc_lo
	s_delay_alu instid0(VALU_DEP_1) | instid1(SALU_CYCLE_1)
	v_cndmask_b32_e64 v0, v0, 0, s11
	s_delay_alu instid0(VALU_DEP_1)
	v_or_b32_e32 v7, v0, v6
.LBB6_4651:                             ;   in Loop: Header=BB6_4623 Depth=2
	s_or_b32 exec_lo, exec_lo, s43
                                        ; implicit-def: $vgpr6
.LBB6_4652:                             ;   in Loop: Header=BB6_4623 Depth=2
	s_and_not1_saveexec_b32 s11, s42
; %bb.4653:                             ;   in Loop: Header=BB6_4623 Depth=2
	v_or_b32_e32 v7, 0x7b, v6
; %bb.4654:                             ;   in Loop: Header=BB6_4623 Depth=2
	s_or_b32 exec_lo, exec_lo, s11
                                        ; implicit-def: $vgpr2
                                        ; implicit-def: $vgpr3
.LBB6_4655:                             ;   in Loop: Header=BB6_4623 Depth=2
	s_and_not1_saveexec_b32 s11, s41
	s_cbranch_execz .LBB6_4661
; %bb.4656:                             ;   in Loop: Header=BB6_4623 Depth=2
	s_mov_b32 s41, exec_lo
                                        ; implicit-def: $vgpr7
	v_cmpx_ne_u64_e32 0, v[0:1]
	s_xor_b32 s41, exec_lo, s41
; %bb.4657:                             ;   in Loop: Header=BB6_4623 Depth=2
	v_or_b32_e32 v7, 0x7f, v3
                                        ; implicit-def: $vgpr2
; %bb.4658:                             ;   in Loop: Header=BB6_4623 Depth=2
	s_and_not1_saveexec_b32 s41, s41
; %bb.4659:                             ;   in Loop: Header=BB6_4623 Depth=2
	v_cmp_lt_i32_e32 vcc_lo, -1, v2
	v_mov_b32_e32 v0, 0x7c
	s_delay_alu instid0(VALU_DEP_1)
	v_cndmask_b32_e32 v7, 0xfc, v0, vcc_lo
; %bb.4660:                             ;   in Loop: Header=BB6_4623 Depth=2
	s_or_b32 exec_lo, exec_lo, s41
.LBB6_4661:                             ;   in Loop: Header=BB6_4623 Depth=2
	s_delay_alu instid0(SALU_CYCLE_1) | instskip(SKIP_3) | instid1(VALU_DEP_2)
	s_or_b32 exec_lo, exec_lo, s11
	v_lshrrev_b16 v2, 8, v10
	v_mov_b32_e32 v3, 0
	s_mov_b32 s11, exec_lo
	v_cmpx_ne_u16_e32 0, v2
	s_cbranch_execz .LBB6_4671
; %bb.4662:                             ;   in Loop: Header=BB6_4623 Depth=2
	v_bfrev_b32_e32 v3, 1
	s_mov_b32 s41, exec_lo
	v_cmpx_ne_u16_e32 0x80, v2
	s_cbranch_execz .LBB6_4670
; %bb.4663:                             ;   in Loop: Header=BB6_4623 Depth=2
	v_and_b32_e32 v4, 0xffff, v2
	s_delay_alu instid0(VALU_DEP_1) | instskip(SKIP_1) | instid1(VALU_DEP_2)
	v_and_b32_e32 v3, 0x7c, v4
	v_and_b32_e32 v0, 3, v4
	v_cmp_ne_u32_e32 vcc_lo, 0x7c, v3
                                        ; implicit-def: $vgpr3
	s_and_saveexec_b32 s42, vcc_lo
	s_delay_alu instid0(SALU_CYCLE_1)
	s_xor_b32 s42, exec_lo, s42
	s_cbranch_execz .LBB6_4667
; %bb.4664:                             ;   in Loop: Header=BB6_4623 Depth=2
	v_bfe_u32 v3, v4, 2, 5
	s_mov_b32 s43, exec_lo
	s_delay_alu instid0(VALU_DEP_1)
	v_cmpx_eq_u32_e32 0, v3
; %bb.4665:                             ;   in Loop: Header=BB6_4623 Depth=2
	v_clz_i32_u32_e32 v0, v0
	v_mov_b32_e32 v3, v1
	s_delay_alu instid0(VALU_DEP_2) | instskip(NEXT) | instid1(VALU_DEP_1)
	v_min_u32_e32 v0, 32, v0
	v_subrev_nc_u32_e32 v4, 29, v0
	s_delay_alu instid0(VALU_DEP_1) | instskip(NEXT) | instid1(VALU_DEP_1)
	v_lshlrev_b64_e32 v[2:3], v4, v[2:3]
	v_dual_sub_nc_u32 v3, 30, v0 :: v_dual_bitop2_b32 v0, 3, v2 bitop3:0x40
; %bb.4666:                             ;   in Loop: Header=BB6_4623 Depth=2
	s_or_b32 exec_lo, exec_lo, s43
	v_lshlrev_b32_e32 v2, 16, v10
	s_delay_alu instid0(VALU_DEP_1) | instskip(NEXT) | instid1(VALU_DEP_1)
	v_and_b32_e32 v2, 0x80000000, v2
	v_lshl_add_u32 v2, v3, 23, v2
	s_delay_alu instid0(VALU_DEP_1) | instskip(NEXT) | instid1(VALU_DEP_1)
	v_lshl_or_b32 v0, v0, 21, v2
	v_add_nc_u32_e32 v3, 0x38000000, v0
                                        ; implicit-def: $vgpr0
.LBB6_4667:                             ;   in Loop: Header=BB6_4623 Depth=2
	s_and_not1_saveexec_b32 s42, s42
; %bb.4668:                             ;   in Loop: Header=BB6_4623 Depth=2
	v_cmp_lt_i16_e32 vcc_lo, -1, v10
	v_mov_b32_e32 v2, 0x7f800000
	s_delay_alu instid0(VALU_DEP_1) | instskip(SKIP_1) | instid1(VALU_DEP_2)
	v_cndmask_b32_e32 v2, 0xff800000, v2, vcc_lo
	v_cmp_eq_u32_e32 vcc_lo, 0, v0
	v_cndmask_b32_e32 v3, 0x7f800001, v2, vcc_lo
; %bb.4669:                             ;   in Loop: Header=BB6_4623 Depth=2
	s_or_b32 exec_lo, exec_lo, s42
.LBB6_4670:                             ;   in Loop: Header=BB6_4623 Depth=2
	s_delay_alu instid0(SALU_CYCLE_1)
	s_or_b32 exec_lo, exec_lo, s41
.LBB6_4671:                             ;   in Loop: Header=BB6_4623 Depth=2
	s_delay_alu instid0(SALU_CYCLE_1) | instskip(NEXT) | instid1(VALU_DEP_1)
	s_or_b32 exec_lo, exec_lo, s11
	v_dual_mul_f32 v2, s40, v3 :: v_dual_mov_b32 v5, v1
                                        ; implicit-def: $vgpr22
	s_mov_b32 s11, exec_lo
	s_delay_alu instid0(VALU_DEP_1) | instskip(SKIP_2) | instid1(VALU_DEP_3)
	v_and_b32_e32 v4, 0x7f800000, v2
	v_and_b32_e32 v0, 0x7fffff, v2
	v_lshrrev_b32_e32 v3, 24, v2
	v_cmpx_ne_u64_e32 0x7f800000, v[4:5]
	s_xor_b32 s41, exec_lo, s11
	s_cbranch_execz .LBB6_4685
; %bb.4672:                             ;   in Loop: Header=BB6_4623 Depth=2
	v_and_b32_e32 v4, 0x7fffffff, v2
	v_mov_b32_e32 v5, v1
	v_and_b32_e32 v6, 0x80, v3
                                        ; implicit-def: $vgpr22
	s_mov_b32 s11, exec_lo
	s_delay_alu instid0(VALU_DEP_2)
	v_cmpx_gt_u64_e32 0x47600001, v[4:5]
	s_xor_b32 s42, exec_lo, s11
	s_cbranch_execz .LBB6_4682
; %bb.4673:                             ;   in Loop: Header=BB6_4623 Depth=2
	v_mov_b32_e32 v22, 0
	s_mov_b32 s43, exec_lo
	v_cmpx_ne_u32_e32 0, v2
	s_cbranch_execz .LBB6_4681
; %bb.4674:                             ;   in Loop: Header=BB6_4623 Depth=2
	v_bfe_u32 v22, v2, 23, 8
	v_or_b32_e32 v4, 0x800000, v0
	s_mov_b32 s44, exec_lo
	s_delay_alu instid0(VALU_DEP_2) | instskip(SKIP_1) | instid1(VALU_DEP_2)
	v_dual_mov_b32 v5, v1 :: v_dual_sub_nc_u32 v2, 0x71, v22
	v_cmp_gt_u32_e32 vcc_lo, 0x72, v22
	v_cndmask_b32_e32 v2, 0, v2, vcc_lo
	v_cmp_eq_u32_e32 vcc_lo, 0, v22
	s_delay_alu instid0(VALU_DEP_2) | instskip(NEXT) | instid1(VALU_DEP_1)
	v_cndmask_b32_e64 v23, v2, 0x70, vcc_lo
	v_dual_cndmask_b32 v4, v4, v0, vcc_lo :: v_dual_add_nc_u32 v2, 21, v23
	v_add_nc_u32_e32 v24, 20, v23
	s_delay_alu instid0(VALU_DEP_2) | instskip(NEXT) | instid1(VALU_DEP_2)
	v_lshlrev_b64_e64 v[2:3], v2, -1
	v_lshlrev_b64_e64 v[24:25], v24, 1
	s_delay_alu instid0(VALU_DEP_2) | instskip(NEXT) | instid1(VALU_DEP_3)
	v_bfi_b32 v27, v3, 0, 0
	v_bfi_b32 v26, v2, 0, v4
	v_lshrrev_b64 v[2:3], v23, v[4:5]
	s_delay_alu instid0(VALU_DEP_1) | instskip(NEXT) | instid1(VALU_DEP_3)
	v_mov_b64_e32 v[4:5], v[2:3]
	v_cmpx_eq_u64_e64 v[26:27], v[24:25]
; %bb.4675:                             ;   in Loop: Header=BB6_4623 Depth=2
	v_bfe_u32 v4, v2, 21, 1
	v_mov_b32_e32 v5, v1
	s_delay_alu instid0(VALU_DEP_1) | instskip(NEXT) | instid1(VALU_DEP_1)
	v_add_nc_u64_e32 v[4:5], v[2:3], v[4:5]
	v_add_nc_u64_e32 v[4:5], -1, v[4:5]
; %bb.4676:                             ;   in Loop: Header=BB6_4623 Depth=2
	s_or_b32 exec_lo, exec_lo, s44
	v_add_nc_u32_e32 v0, 0xffffff81, v22
	s_delay_alu instid0(VALU_DEP_2) | instskip(SKIP_2) | instid1(VALU_DEP_3)
	v_and_b32_e32 v4, 0x1fffff, v4
	v_lshrrev_b32_e32 v3, 23, v2
	s_mov_b32 s11, exec_lo
	v_cndmask_b32_e64 v0, v0, 0xffffff82, vcc_lo
	s_delay_alu instid0(VALU_DEP_1) | instskip(SKIP_1) | instid1(VALU_DEP_2)
	v_add3_u32 v5, v23, v0, v3
	v_add_nc_u32_e32 v0, v4, v2
                                        ; implicit-def: $vgpr2_vgpr3
                                        ; implicit-def: $vgpr4
	v_add_nc_u32_e32 v22, 14, v5
	s_delay_alu instid0(VALU_DEP_1)
	v_cmpx_ne_u32_e32 0, v22
	s_xor_b32 s11, exec_lo, s11
; %bb.4677:                             ;   in Loop: Header=BB6_4623 Depth=2
	s_delay_alu instid0(VALU_DEP_3) | instskip(SKIP_1) | instid1(VALU_DEP_1)
	v_cmp_lt_u64_e32 vcc_lo, 0xffffff, v[0:1]
	v_add_nc_u32_e32 v2, 15, v5
	v_cndmask_b32_e32 v4, v22, v2, vcc_lo
	v_cndmask_b32_e64 v2, 0, 1, vcc_lo
	s_delay_alu instid0(VALU_DEP_1)
	v_lshrrev_b64 v[2:3], v2, v[0:1]
; %bb.4678:                             ;   in Loop: Header=BB6_4623 Depth=2
	s_and_not1_saveexec_b32 s11, s11
; %bb.4679:                             ;   in Loop: Header=BB6_4623 Depth=2
	v_mov_b64_e32 v[2:3], v[0:1]
	v_bfe_u32 v4, v0, 23, 1
; %bb.4680:                             ;   in Loop: Header=BB6_4623 Depth=2
	s_or_b32 exec_lo, exec_lo, s11
	s_delay_alu instid0(VALU_DEP_2) | instskip(NEXT) | instid1(VALU_DEP_2)
	v_lshrrev_b64 v[2:3], 21, v[2:3]
	v_cmp_gt_i32_e32 vcc_lo, 32, v4
	v_min_i32_e32 v0, 31, v4
	v_cmp_eq_u32_e64 s11, 0, v4
	s_delay_alu instid0(VALU_DEP_2) | instskip(SKIP_1) | instid1(VALU_DEP_2)
	v_dual_cndmask_b32 v3, 0, v3 :: v_dual_lshlrev_b32 v0, 2, v0
	v_cndmask_b32_e32 v2, 3, v2, vcc_lo
	v_and_b32_e32 v0, 0xfc, v0
	s_delay_alu instid0(VALU_DEP_2) | instskip(NEXT) | instid1(VALU_DEP_2)
	v_cmp_eq_u64_e32 vcc_lo, 0, v[2:3]
	v_and_or_b32 v0, v2, 3, v0
	s_and_b32 s11, s11, vcc_lo
	s_delay_alu instid0(VALU_DEP_1) | instid1(SALU_CYCLE_1)
	v_cndmask_b32_e64 v0, v0, 0, s11
	s_delay_alu instid0(VALU_DEP_1)
	v_or_b32_e32 v22, v0, v6
.LBB6_4681:                             ;   in Loop: Header=BB6_4623 Depth=2
	s_or_b32 exec_lo, exec_lo, s43
                                        ; implicit-def: $vgpr6
.LBB6_4682:                             ;   in Loop: Header=BB6_4623 Depth=2
	s_and_not1_saveexec_b32 s11, s42
; %bb.4683:                             ;   in Loop: Header=BB6_4623 Depth=2
	v_or_b32_e32 v22, 0x7b, v6
; %bb.4684:                             ;   in Loop: Header=BB6_4623 Depth=2
	s_or_b32 exec_lo, exec_lo, s11
                                        ; implicit-def: $vgpr2
                                        ; implicit-def: $vgpr3
.LBB6_4685:                             ;   in Loop: Header=BB6_4623 Depth=2
	s_and_not1_saveexec_b32 s11, s41
	s_cbranch_execz .LBB6_4691
; %bb.4686:                             ;   in Loop: Header=BB6_4623 Depth=2
	s_mov_b32 s41, exec_lo
                                        ; implicit-def: $vgpr22
	v_cmpx_ne_u64_e32 0, v[0:1]
	s_xor_b32 s41, exec_lo, s41
; %bb.4687:                             ;   in Loop: Header=BB6_4623 Depth=2
	v_or_b32_e32 v22, 0x7f, v3
                                        ; implicit-def: $vgpr2
; %bb.4688:                             ;   in Loop: Header=BB6_4623 Depth=2
	s_and_not1_saveexec_b32 s41, s41
; %bb.4689:                             ;   in Loop: Header=BB6_4623 Depth=2
	v_cmp_lt_i32_e32 vcc_lo, -1, v2
	v_mov_b32_e32 v0, 0x7c
	s_delay_alu instid0(VALU_DEP_1)
	v_cndmask_b32_e32 v22, 0xfc, v0, vcc_lo
; %bb.4690:                             ;   in Loop: Header=BB6_4623 Depth=2
	s_or_b32 exec_lo, exec_lo, s41
.LBB6_4691:                             ;   in Loop: Header=BB6_4623 Depth=2
	s_delay_alu instid0(SALU_CYCLE_1) | instskip(SKIP_2) | instid1(VALU_DEP_1)
	s_or_b32 exec_lo, exec_lo, s11
	v_dual_lshrrev_b32 v0, 16, v10 :: v_dual_mov_b32 v2, 0
	s_mov_b32 s11, exec_lo
	v_and_b32_e32 v3, 0xff, v0
	s_delay_alu instid0(VALU_DEP_1)
	v_cmpx_ne_u16_e32 0, v3
	s_cbranch_execz .LBB6_4701
; %bb.4692:                             ;   in Loop: Header=BB6_4623 Depth=2
	v_bfrev_b32_e32 v2, 1
	s_mov_b32 s41, exec_lo
	v_cmpx_ne_u16_e32 0x80, v3
	s_cbranch_execz .LBB6_4700
; %bb.4693:                             ;   in Loop: Header=BB6_4623 Depth=2
	v_and_b32_e32 v2, 0x7c0000, v10
	v_bfe_u32 v3, v10, 16, 2
	s_delay_alu instid0(VALU_DEP_2) | instskip(SKIP_1) | instid1(SALU_CYCLE_1)
	v_cmp_ne_u32_e32 vcc_lo, 0x7c0000, v2
                                        ; implicit-def: $vgpr2
	s_and_saveexec_b32 s42, vcc_lo
	s_xor_b32 s42, exec_lo, s42
	s_cbranch_execz .LBB6_4697
; %bb.4694:                             ;   in Loop: Header=BB6_4623 Depth=2
	v_bfe_u32 v2, v10, 18, 5
	s_mov_b32 s43, exec_lo
	s_delay_alu instid0(VALU_DEP_1)
	v_cmpx_eq_u32_e32 0, v2
; %bb.4695:                             ;   in Loop: Header=BB6_4623 Depth=2
	v_clz_i32_u32_e32 v2, v3
	s_delay_alu instid0(VALU_DEP_1) | instskip(NEXT) | instid1(VALU_DEP_1)
	v_min_u32_e32 v2, 32, v2
	v_subrev_nc_u32_e32 v3, 29, v2
	s_delay_alu instid0(VALU_DEP_1) | instskip(NEXT) | instid1(VALU_DEP_1)
	v_lshlrev_b64_e32 v[4:5], v3, v[0:1]
	v_dual_sub_nc_u32 v2, 30, v2 :: v_dual_bitop2_b32 v3, 3, v4 bitop3:0x40
; %bb.4696:                             ;   in Loop: Header=BB6_4623 Depth=2
	s_or_b32 exec_lo, exec_lo, s43
	v_lshlrev_b32_e32 v0, 24, v0
	s_delay_alu instid0(VALU_DEP_1) | instskip(NEXT) | instid1(VALU_DEP_1)
	v_and_b32_e32 v0, 0x80000000, v0
	v_lshl_add_u32 v0, v2, 23, v0
	s_delay_alu instid0(VALU_DEP_1) | instskip(NEXT) | instid1(VALU_DEP_1)
	v_lshl_or_b32 v0, v3, 21, v0
                                        ; implicit-def: $vgpr3
	v_add_nc_u32_e32 v2, 0x38000000, v0
                                        ; implicit-def: $vgpr0
.LBB6_4697:                             ;   in Loop: Header=BB6_4623 Depth=2
	s_and_not1_saveexec_b32 s42, s42
; %bb.4698:                             ;   in Loop: Header=BB6_4623 Depth=2
	v_bfe_i32 v0, v0, 0, 8
	s_delay_alu instid0(VALU_DEP_1) | instskip(SKIP_1) | instid1(VALU_DEP_1)
	v_cmp_lt_i16_e32 vcc_lo, -1, v0
	v_mov_b32_e32 v0, 0x7f800000
	v_cndmask_b32_e32 v0, 0xff800000, v0, vcc_lo
	v_cmp_eq_u32_e32 vcc_lo, 0, v3
	s_delay_alu instid0(VALU_DEP_2)
	v_cndmask_b32_e32 v2, 0x7f800001, v0, vcc_lo
; %bb.4699:                             ;   in Loop: Header=BB6_4623 Depth=2
	s_or_b32 exec_lo, exec_lo, s42
.LBB6_4700:                             ;   in Loop: Header=BB6_4623 Depth=2
	s_delay_alu instid0(SALU_CYCLE_1)
	s_or_b32 exec_lo, exec_lo, s41
.LBB6_4701:                             ;   in Loop: Header=BB6_4623 Depth=2
	s_delay_alu instid0(SALU_CYCLE_1) | instskip(NEXT) | instid1(VALU_DEP_1)
	s_or_b32 exec_lo, exec_lo, s11
	v_dual_mul_f32 v2, s40, v2 :: v_dual_mov_b32 v5, v1
                                        ; implicit-def: $vgpr24
	s_mov_b32 s11, exec_lo
	s_delay_alu instid0(VALU_DEP_1) | instskip(SKIP_2) | instid1(VALU_DEP_3)
	v_and_b32_e32 v4, 0x7f800000, v2
	v_and_b32_e32 v0, 0x7fffff, v2
	v_lshrrev_b32_e32 v3, 24, v2
	v_cmpx_ne_u64_e32 0x7f800000, v[4:5]
	s_xor_b32 s41, exec_lo, s11
	s_cbranch_execz .LBB6_4715
; %bb.4702:                             ;   in Loop: Header=BB6_4623 Depth=2
	v_and_b32_e32 v4, 0x7fffffff, v2
	v_mov_b32_e32 v5, v1
	v_and_b32_e32 v6, 0x80, v3
                                        ; implicit-def: $vgpr24
	s_mov_b32 s11, exec_lo
	s_delay_alu instid0(VALU_DEP_2)
	v_cmpx_gt_u64_e32 0x47600001, v[4:5]
	s_xor_b32 s42, exec_lo, s11
	s_cbranch_execz .LBB6_4712
; %bb.4703:                             ;   in Loop: Header=BB6_4623 Depth=2
	v_mov_b32_e32 v24, 0
	s_mov_b32 s43, exec_lo
	v_cmpx_ne_u32_e32 0, v2
	s_cbranch_execz .LBB6_4711
; %bb.4704:                             ;   in Loop: Header=BB6_4623 Depth=2
	v_bfe_u32 v23, v2, 23, 8
	v_or_b32_e32 v4, 0x800000, v0
	s_mov_b32 s44, exec_lo
	s_delay_alu instid0(VALU_DEP_2) | instskip(SKIP_1) | instid1(VALU_DEP_2)
	v_dual_mov_b32 v5, v1 :: v_dual_sub_nc_u32 v2, 0x71, v23
	v_cmp_gt_u32_e32 vcc_lo, 0x72, v23
	v_cndmask_b32_e32 v2, 0, v2, vcc_lo
	v_cmp_eq_u32_e32 vcc_lo, 0, v23
	s_delay_alu instid0(VALU_DEP_2) | instskip(SKIP_1) | instid1(VALU_DEP_2)
	v_cndmask_b32_e64 v24, v2, 0x70, vcc_lo
	v_cndmask_b32_e32 v4, v4, v0, vcc_lo
	v_dual_add_nc_u32 v2, 21, v24 :: v_dual_add_nc_u32 v25, 20, v24
	s_delay_alu instid0(VALU_DEP_1) | instskip(NEXT) | instid1(VALU_DEP_2)
	v_lshlrev_b64_e64 v[2:3], v2, -1
	v_lshlrev_b64_e64 v[26:27], v25, 1
	s_delay_alu instid0(VALU_DEP_2) | instskip(NEXT) | instid1(VALU_DEP_3)
	v_bfi_b32 v29, v3, 0, 0
	v_bfi_b32 v28, v2, 0, v4
	v_lshrrev_b64 v[2:3], v24, v[4:5]
	s_delay_alu instid0(VALU_DEP_1) | instskip(NEXT) | instid1(VALU_DEP_3)
	v_mov_b64_e32 v[4:5], v[2:3]
	v_cmpx_eq_u64_e64 v[28:29], v[26:27]
; %bb.4705:                             ;   in Loop: Header=BB6_4623 Depth=2
	v_bfe_u32 v4, v2, 21, 1
	v_mov_b32_e32 v5, v1
	s_delay_alu instid0(VALU_DEP_1) | instskip(NEXT) | instid1(VALU_DEP_1)
	v_add_nc_u64_e32 v[4:5], v[2:3], v[4:5]
	v_add_nc_u64_e32 v[4:5], -1, v[4:5]
; %bb.4706:                             ;   in Loop: Header=BB6_4623 Depth=2
	s_or_b32 exec_lo, exec_lo, s44
	v_add_nc_u32_e32 v0, 0xffffff81, v23
	s_delay_alu instid0(VALU_DEP_2) | instskip(SKIP_2) | instid1(VALU_DEP_3)
	v_and_b32_e32 v4, 0x1fffff, v4
	v_lshrrev_b32_e32 v3, 23, v2
	s_mov_b32 s11, exec_lo
	v_cndmask_b32_e64 v0, v0, 0xffffff82, vcc_lo
	s_delay_alu instid0(VALU_DEP_1) | instskip(SKIP_1) | instid1(VALU_DEP_2)
	v_add3_u32 v5, v24, v0, v3
	v_add_nc_u32_e32 v0, v4, v2
                                        ; implicit-def: $vgpr2_vgpr3
                                        ; implicit-def: $vgpr4
	v_add_nc_u32_e32 v23, 14, v5
	s_delay_alu instid0(VALU_DEP_1)
	v_cmpx_ne_u32_e32 0, v23
	s_xor_b32 s11, exec_lo, s11
; %bb.4707:                             ;   in Loop: Header=BB6_4623 Depth=2
	s_delay_alu instid0(VALU_DEP_3) | instskip(SKIP_1) | instid1(VALU_DEP_1)
	v_cmp_lt_u64_e32 vcc_lo, 0xffffff, v[0:1]
	v_add_nc_u32_e32 v2, 15, v5
	v_cndmask_b32_e32 v4, v23, v2, vcc_lo
	v_cndmask_b32_e64 v2, 0, 1, vcc_lo
	s_delay_alu instid0(VALU_DEP_1)
	v_lshrrev_b64 v[2:3], v2, v[0:1]
; %bb.4708:                             ;   in Loop: Header=BB6_4623 Depth=2
	s_and_not1_saveexec_b32 s11, s11
; %bb.4709:                             ;   in Loop: Header=BB6_4623 Depth=2
	v_mov_b64_e32 v[2:3], v[0:1]
	v_bfe_u32 v4, v0, 23, 1
; %bb.4710:                             ;   in Loop: Header=BB6_4623 Depth=2
	s_or_b32 exec_lo, exec_lo, s11
	s_delay_alu instid0(VALU_DEP_2) | instskip(NEXT) | instid1(VALU_DEP_2)
	v_lshrrev_b64 v[2:3], 21, v[2:3]
	v_cmp_gt_i32_e32 vcc_lo, 32, v4
	v_min_i32_e32 v0, 31, v4
	v_cmp_eq_u32_e64 s11, 0, v4
	s_delay_alu instid0(VALU_DEP_2) | instskip(SKIP_1) | instid1(VALU_DEP_2)
	v_dual_cndmask_b32 v3, 0, v3 :: v_dual_lshlrev_b32 v0, 2, v0
	v_cndmask_b32_e32 v2, 3, v2, vcc_lo
	v_and_b32_e32 v0, 0xfc, v0
	s_delay_alu instid0(VALU_DEP_2) | instskip(NEXT) | instid1(VALU_DEP_2)
	v_cmp_eq_u64_e32 vcc_lo, 0, v[2:3]
	v_and_or_b32 v0, v2, 3, v0
	s_and_b32 s11, s11, vcc_lo
	s_delay_alu instid0(VALU_DEP_1) | instid1(SALU_CYCLE_1)
	v_cndmask_b32_e64 v0, v0, 0, s11
	s_delay_alu instid0(VALU_DEP_1)
	v_or_b32_e32 v24, v0, v6
.LBB6_4711:                             ;   in Loop: Header=BB6_4623 Depth=2
	s_or_b32 exec_lo, exec_lo, s43
                                        ; implicit-def: $vgpr6
.LBB6_4712:                             ;   in Loop: Header=BB6_4623 Depth=2
	s_and_not1_saveexec_b32 s11, s42
; %bb.4713:                             ;   in Loop: Header=BB6_4623 Depth=2
	v_or_b32_e32 v24, 0x7b, v6
; %bb.4714:                             ;   in Loop: Header=BB6_4623 Depth=2
	s_or_b32 exec_lo, exec_lo, s11
                                        ; implicit-def: $vgpr2
                                        ; implicit-def: $vgpr3
.LBB6_4715:                             ;   in Loop: Header=BB6_4623 Depth=2
	s_and_not1_saveexec_b32 s11, s41
	s_cbranch_execz .LBB6_4721
; %bb.4716:                             ;   in Loop: Header=BB6_4623 Depth=2
	s_mov_b32 s41, exec_lo
                                        ; implicit-def: $vgpr24
	v_cmpx_ne_u64_e32 0, v[0:1]
	s_xor_b32 s41, exec_lo, s41
; %bb.4717:                             ;   in Loop: Header=BB6_4623 Depth=2
	v_or_b32_e32 v24, 0x7f, v3
                                        ; implicit-def: $vgpr2
; %bb.4718:                             ;   in Loop: Header=BB6_4623 Depth=2
	s_and_not1_saveexec_b32 s41, s41
; %bb.4719:                             ;   in Loop: Header=BB6_4623 Depth=2
	v_cmp_lt_i32_e32 vcc_lo, -1, v2
	v_mov_b32_e32 v0, 0x7c
	s_delay_alu instid0(VALU_DEP_1)
	v_cndmask_b32_e32 v24, 0xfc, v0, vcc_lo
; %bb.4720:                             ;   in Loop: Header=BB6_4623 Depth=2
	s_or_b32 exec_lo, exec_lo, s41
.LBB6_4721:                             ;   in Loop: Header=BB6_4623 Depth=2
	s_delay_alu instid0(SALU_CYCLE_1)
	s_or_b32 exec_lo, exec_lo, s11
	v_mov_b32_e32 v2, 0
	s_mov_b32 s11, exec_lo
	v_cmpx_lt_u32_e32 0xffffff, v10
	s_cbranch_execz .LBB6_4731
; %bb.4722:                             ;   in Loop: Header=BB6_4623 Depth=2
	v_lshrrev_b32_e32 v0, 24, v10
	v_bfrev_b32_e32 v2, 1
	s_mov_b32 s41, exec_lo
	s_delay_alu instid0(VALU_DEP_2)
	v_cmpx_ne_u32_e32 0x80, v0
	s_cbranch_execz .LBB6_4730
; %bb.4723:                             ;   in Loop: Header=BB6_4623 Depth=2
	v_and_b32_e32 v2, 0x7c000000, v10
	v_bfe_u32 v3, v10, 24, 2
	s_delay_alu instid0(VALU_DEP_2) | instskip(SKIP_1) | instid1(SALU_CYCLE_1)
	v_cmp_ne_u32_e32 vcc_lo, 0x7c000000, v2
                                        ; implicit-def: $vgpr2
	s_and_saveexec_b32 s42, vcc_lo
	s_xor_b32 s42, exec_lo, s42
	s_cbranch_execz .LBB6_4727
; %bb.4724:                             ;   in Loop: Header=BB6_4623 Depth=2
	v_bfe_u32 v2, v10, 26, 5
	s_mov_b32 s43, exec_lo
	s_delay_alu instid0(VALU_DEP_1)
	v_cmpx_eq_u32_e32 0, v2
; %bb.4725:                             ;   in Loop: Header=BB6_4623 Depth=2
	v_clz_i32_u32_e32 v2, v3
	s_delay_alu instid0(VALU_DEP_1) | instskip(NEXT) | instid1(VALU_DEP_1)
	v_min_u32_e32 v2, 32, v2
	v_subrev_nc_u32_e32 v3, 29, v2
	s_delay_alu instid0(VALU_DEP_1) | instskip(NEXT) | instid1(VALU_DEP_1)
	v_lshlrev_b64_e32 v[4:5], v3, v[0:1]
	v_dual_sub_nc_u32 v2, 30, v2 :: v_dual_bitop2_b32 v3, 3, v4 bitop3:0x40
; %bb.4726:                             ;   in Loop: Header=BB6_4623 Depth=2
	s_or_b32 exec_lo, exec_lo, s43
	v_and_b32_e32 v0, 0x80000000, v10
	s_delay_alu instid0(VALU_DEP_1) | instskip(NEXT) | instid1(VALU_DEP_1)
	v_lshl_add_u32 v0, v2, 23, v0
	v_lshl_or_b32 v0, v3, 21, v0
                                        ; implicit-def: $vgpr3
	s_delay_alu instid0(VALU_DEP_1)
	v_add_nc_u32_e32 v2, 0x38000000, v0
.LBB6_4727:                             ;   in Loop: Header=BB6_4623 Depth=2
	s_and_not1_saveexec_b32 s42, s42
; %bb.4728:                             ;   in Loop: Header=BB6_4623 Depth=2
	v_cmp_lt_i32_e32 vcc_lo, -1, v10
	v_mov_b32_e32 v0, 0x7f800000
	s_delay_alu instid0(VALU_DEP_1) | instskip(SKIP_1) | instid1(VALU_DEP_2)
	v_cndmask_b32_e32 v0, 0xff800000, v0, vcc_lo
	v_cmp_eq_u32_e32 vcc_lo, 0, v3
	v_cndmask_b32_e32 v2, 0x7f800001, v0, vcc_lo
; %bb.4729:                             ;   in Loop: Header=BB6_4623 Depth=2
	s_or_b32 exec_lo, exec_lo, s42
.LBB6_4730:                             ;   in Loop: Header=BB6_4623 Depth=2
	s_delay_alu instid0(SALU_CYCLE_1)
	s_or_b32 exec_lo, exec_lo, s41
.LBB6_4731:                             ;   in Loop: Header=BB6_4623 Depth=2
	s_delay_alu instid0(SALU_CYCLE_1) | instskip(NEXT) | instid1(VALU_DEP_1)
	s_or_b32 exec_lo, exec_lo, s11
	v_dual_mul_f32 v2, s40, v2 :: v_dual_mov_b32 v5, v1
                                        ; implicit-def: $vgpr27
	s_mov_b32 s11, exec_lo
	s_delay_alu instid0(VALU_DEP_1) | instskip(SKIP_2) | instid1(VALU_DEP_3)
	v_and_b32_e32 v4, 0x7f800000, v2
	v_and_b32_e32 v0, 0x7fffff, v2
	v_lshrrev_b32_e32 v3, 24, v2
	v_cmpx_ne_u64_e32 0x7f800000, v[4:5]
	s_xor_b32 s41, exec_lo, s11
	s_cbranch_execz .LBB6_4745
; %bb.4732:                             ;   in Loop: Header=BB6_4623 Depth=2
	v_and_b32_e32 v4, 0x7fffffff, v2
	v_mov_b32_e32 v5, v1
	v_and_b32_e32 v6, 0x80, v3
                                        ; implicit-def: $vgpr27
	s_mov_b32 s11, exec_lo
	s_delay_alu instid0(VALU_DEP_2)
	v_cmpx_gt_u64_e32 0x47600001, v[4:5]
	s_xor_b32 s42, exec_lo, s11
	s_cbranch_execz .LBB6_4742
; %bb.4733:                             ;   in Loop: Header=BB6_4623 Depth=2
	v_mov_b32_e32 v27, 0
	s_mov_b32 s43, exec_lo
	v_cmpx_ne_u32_e32 0, v2
	s_cbranch_execz .LBB6_4741
; %bb.4734:                             ;   in Loop: Header=BB6_4623 Depth=2
	v_bfe_u32 v23, v2, 23, 8
	v_or_b32_e32 v4, 0x800000, v0
	s_mov_b32 s44, exec_lo
	s_delay_alu instid0(VALU_DEP_2) | instskip(SKIP_1) | instid1(VALU_DEP_2)
	v_dual_mov_b32 v5, v1 :: v_dual_sub_nc_u32 v2, 0x71, v23
	v_cmp_gt_u32_e32 vcc_lo, 0x72, v23
	v_cndmask_b32_e32 v2, 0, v2, vcc_lo
	v_cmp_eq_u32_e32 vcc_lo, 0, v23
	s_delay_alu instid0(VALU_DEP_2) | instskip(NEXT) | instid1(VALU_DEP_1)
	v_cndmask_b32_e64 v25, v2, 0x70, vcc_lo
	v_dual_cndmask_b32 v4, v4, v0, vcc_lo :: v_dual_add_nc_u32 v2, 21, v25
	v_add_nc_u32_e32 v26, 20, v25
	s_delay_alu instid0(VALU_DEP_2) | instskip(NEXT) | instid1(VALU_DEP_2)
	v_lshlrev_b64_e64 v[2:3], v2, -1
	v_lshlrev_b64_e64 v[26:27], v26, 1
	s_delay_alu instid0(VALU_DEP_2) | instskip(NEXT) | instid1(VALU_DEP_3)
	v_bfi_b32 v29, v3, 0, 0
	v_bfi_b32 v28, v2, 0, v4
	v_lshrrev_b64 v[2:3], v25, v[4:5]
	s_delay_alu instid0(VALU_DEP_1) | instskip(NEXT) | instid1(VALU_DEP_3)
	v_mov_b64_e32 v[4:5], v[2:3]
	v_cmpx_eq_u64_e64 v[28:29], v[26:27]
; %bb.4735:                             ;   in Loop: Header=BB6_4623 Depth=2
	v_bfe_u32 v4, v2, 21, 1
	v_mov_b32_e32 v5, v1
	s_delay_alu instid0(VALU_DEP_1) | instskip(NEXT) | instid1(VALU_DEP_1)
	v_add_nc_u64_e32 v[4:5], v[2:3], v[4:5]
	v_add_nc_u64_e32 v[4:5], -1, v[4:5]
; %bb.4736:                             ;   in Loop: Header=BB6_4623 Depth=2
	s_or_b32 exec_lo, exec_lo, s44
	v_add_nc_u32_e32 v0, 0xffffff81, v23
	s_delay_alu instid0(VALU_DEP_2) | instskip(SKIP_2) | instid1(VALU_DEP_3)
	v_and_b32_e32 v4, 0x1fffff, v4
	v_lshrrev_b32_e32 v3, 23, v2
	s_mov_b32 s11, exec_lo
	v_cndmask_b32_e64 v0, v0, 0xffffff82, vcc_lo
	s_delay_alu instid0(VALU_DEP_1) | instskip(SKIP_1) | instid1(VALU_DEP_2)
	v_add3_u32 v5, v25, v0, v3
	v_add_nc_u32_e32 v0, v4, v2
                                        ; implicit-def: $vgpr2_vgpr3
                                        ; implicit-def: $vgpr4
	v_add_nc_u32_e32 v23, 14, v5
	s_delay_alu instid0(VALU_DEP_1)
	v_cmpx_ne_u32_e32 0, v23
	s_xor_b32 s11, exec_lo, s11
; %bb.4737:                             ;   in Loop: Header=BB6_4623 Depth=2
	s_delay_alu instid0(VALU_DEP_3) | instskip(SKIP_1) | instid1(VALU_DEP_1)
	v_cmp_lt_u64_e32 vcc_lo, 0xffffff, v[0:1]
	v_add_nc_u32_e32 v2, 15, v5
	v_cndmask_b32_e32 v4, v23, v2, vcc_lo
	v_cndmask_b32_e64 v2, 0, 1, vcc_lo
	s_delay_alu instid0(VALU_DEP_1)
	v_lshrrev_b64 v[2:3], v2, v[0:1]
; %bb.4738:                             ;   in Loop: Header=BB6_4623 Depth=2
	s_and_not1_saveexec_b32 s11, s11
; %bb.4739:                             ;   in Loop: Header=BB6_4623 Depth=2
	v_mov_b64_e32 v[2:3], v[0:1]
	v_bfe_u32 v4, v0, 23, 1
; %bb.4740:                             ;   in Loop: Header=BB6_4623 Depth=2
	s_or_b32 exec_lo, exec_lo, s11
	s_delay_alu instid0(VALU_DEP_2) | instskip(NEXT) | instid1(VALU_DEP_2)
	v_lshrrev_b64 v[2:3], 21, v[2:3]
	v_cmp_gt_i32_e32 vcc_lo, 32, v4
	v_min_i32_e32 v0, 31, v4
	v_cmp_eq_u32_e64 s11, 0, v4
	s_delay_alu instid0(VALU_DEP_2) | instskip(SKIP_1) | instid1(VALU_DEP_2)
	v_dual_cndmask_b32 v3, 0, v3 :: v_dual_lshlrev_b32 v0, 2, v0
	v_cndmask_b32_e32 v2, 3, v2, vcc_lo
	v_and_b32_e32 v0, 0xfc, v0
	s_delay_alu instid0(VALU_DEP_2) | instskip(NEXT) | instid1(VALU_DEP_2)
	v_cmp_eq_u64_e32 vcc_lo, 0, v[2:3]
	v_and_or_b32 v0, v2, 3, v0
	s_and_b32 s11, s11, vcc_lo
	s_delay_alu instid0(VALU_DEP_1) | instid1(SALU_CYCLE_1)
	v_cndmask_b32_e64 v0, v0, 0, s11
	s_delay_alu instid0(VALU_DEP_1)
	v_or_b32_e32 v27, v0, v6
.LBB6_4741:                             ;   in Loop: Header=BB6_4623 Depth=2
	s_or_b32 exec_lo, exec_lo, s43
                                        ; implicit-def: $vgpr6
.LBB6_4742:                             ;   in Loop: Header=BB6_4623 Depth=2
	s_and_not1_saveexec_b32 s11, s42
; %bb.4743:                             ;   in Loop: Header=BB6_4623 Depth=2
	v_or_b32_e32 v27, 0x7b, v6
; %bb.4744:                             ;   in Loop: Header=BB6_4623 Depth=2
	s_or_b32 exec_lo, exec_lo, s11
                                        ; implicit-def: $vgpr2
                                        ; implicit-def: $vgpr3
.LBB6_4745:                             ;   in Loop: Header=BB6_4623 Depth=2
	s_and_not1_saveexec_b32 s11, s41
	s_cbranch_execz .LBB6_4751
; %bb.4746:                             ;   in Loop: Header=BB6_4623 Depth=2
	s_mov_b32 s41, exec_lo
                                        ; implicit-def: $vgpr27
	v_cmpx_ne_u64_e32 0, v[0:1]
	s_xor_b32 s41, exec_lo, s41
; %bb.4747:                             ;   in Loop: Header=BB6_4623 Depth=2
	v_or_b32_e32 v27, 0x7f, v3
                                        ; implicit-def: $vgpr2
; %bb.4748:                             ;   in Loop: Header=BB6_4623 Depth=2
	s_and_not1_saveexec_b32 s41, s41
; %bb.4749:                             ;   in Loop: Header=BB6_4623 Depth=2
	v_cmp_lt_i32_e32 vcc_lo, -1, v2
	v_mov_b32_e32 v0, 0x7c
	s_delay_alu instid0(VALU_DEP_1)
	v_cndmask_b32_e32 v27, 0xfc, v0, vcc_lo
; %bb.4750:                             ;   in Loop: Header=BB6_4623 Depth=2
	s_or_b32 exec_lo, exec_lo, s41
.LBB6_4751:                             ;   in Loop: Header=BB6_4623 Depth=2
	s_delay_alu instid0(SALU_CYCLE_1) | instskip(SKIP_3) | instid1(VALU_DEP_2)
	s_or_b32 exec_lo, exec_lo, s11
	v_and_b32_e32 v3, 0xff, v11
	v_dual_mov_b32 v0, v11 :: v_dual_mov_b32 v2, 0
	s_mov_b32 s11, exec_lo
	v_cmpx_ne_u16_e32 0, v3
	s_cbranch_execz .LBB6_4761
; %bb.4752:                             ;   in Loop: Header=BB6_4623 Depth=2
	v_bfrev_b32_e32 v2, 1
	s_mov_b32 s41, exec_lo
	v_cmpx_ne_u16_e32 0x80, v3
	s_cbranch_execz .LBB6_4760
; %bb.4753:                             ;   in Loop: Header=BB6_4623 Depth=2
	v_and_b32_e32 v2, 0x7c, v11
	v_and_b32_e32 v3, 3, v11
	s_delay_alu instid0(VALU_DEP_2) | instskip(SKIP_1) | instid1(SALU_CYCLE_1)
	v_cmp_ne_u32_e32 vcc_lo, 0x7c, v2
                                        ; implicit-def: $vgpr2
	s_and_saveexec_b32 s42, vcc_lo
	s_xor_b32 s42, exec_lo, s42
	s_cbranch_execz .LBB6_4757
; %bb.4754:                             ;   in Loop: Header=BB6_4623 Depth=2
	v_bfe_u32 v2, v11, 2, 5
	s_mov_b32 s43, exec_lo
	s_delay_alu instid0(VALU_DEP_1)
	v_cmpx_eq_u32_e32 0, v2
; %bb.4755:                             ;   in Loop: Header=BB6_4623 Depth=2
	v_clz_i32_u32_e32 v2, v3
	s_delay_alu instid0(VALU_DEP_1) | instskip(NEXT) | instid1(VALU_DEP_1)
	v_min_u32_e32 v2, 32, v2
	v_subrev_nc_u32_e32 v3, 29, v2
	s_delay_alu instid0(VALU_DEP_1) | instskip(NEXT) | instid1(VALU_DEP_1)
	v_lshlrev_b64_e32 v[4:5], v3, v[0:1]
	v_dual_sub_nc_u32 v2, 30, v2 :: v_dual_bitop2_b32 v3, 3, v4 bitop3:0x40
; %bb.4756:                             ;   in Loop: Header=BB6_4623 Depth=2
	s_or_b32 exec_lo, exec_lo, s43
	v_lshlrev_b32_e32 v4, 24, v11
	s_delay_alu instid0(VALU_DEP_1) | instskip(NEXT) | instid1(VALU_DEP_1)
	v_and_b32_e32 v4, 0x80000000, v4
	v_lshl_add_u32 v2, v2, 23, v4
	s_delay_alu instid0(VALU_DEP_1) | instskip(NEXT) | instid1(VALU_DEP_1)
	v_lshl_or_b32 v2, v3, 21, v2
                                        ; implicit-def: $vgpr3
	v_add_nc_u32_e32 v2, 0x38000000, v2
.LBB6_4757:                             ;   in Loop: Header=BB6_4623 Depth=2
	s_and_not1_saveexec_b32 s42, s42
; %bb.4758:                             ;   in Loop: Header=BB6_4623 Depth=2
	v_bfe_i32 v2, v11, 0, 8
	s_delay_alu instid0(VALU_DEP_1) | instskip(SKIP_1) | instid1(VALU_DEP_1)
	v_cmp_lt_i16_e32 vcc_lo, -1, v2
	v_mov_b32_e32 v2, 0x7f800000
	v_cndmask_b32_e32 v2, 0xff800000, v2, vcc_lo
	v_cmp_eq_u32_e32 vcc_lo, 0, v3
	s_delay_alu instid0(VALU_DEP_2)
	v_cndmask_b32_e32 v2, 0x7f800001, v2, vcc_lo
; %bb.4759:                             ;   in Loop: Header=BB6_4623 Depth=2
	s_or_b32 exec_lo, exec_lo, s42
.LBB6_4760:                             ;   in Loop: Header=BB6_4623 Depth=2
	s_delay_alu instid0(SALU_CYCLE_1)
	s_or_b32 exec_lo, exec_lo, s41
.LBB6_4761:                             ;   in Loop: Header=BB6_4623 Depth=2
	s_delay_alu instid0(SALU_CYCLE_1) | instskip(NEXT) | instid1(VALU_DEP_1)
	s_or_b32 exec_lo, exec_lo, s11
	v_dual_mul_f32 v4, s40, v2 :: v_dual_mov_b32 v29, v1
	v_mov_b32_e32 v3, v1
                                        ; implicit-def: $vgpr6
	s_mov_b32 s11, exec_lo
	s_delay_alu instid0(VALU_DEP_2) | instskip(SKIP_2) | instid1(VALU_DEP_3)
	v_and_b32_e32 v28, 0x7f800000, v4
	v_and_b32_e32 v2, 0x7fffff, v4
	v_lshrrev_b32_e32 v5, 24, v4
	v_cmpx_ne_u64_e32 0x7f800000, v[28:29]
	s_xor_b32 s41, exec_lo, s11
	s_cbranch_execz .LBB6_4775
; %bb.4762:                             ;   in Loop: Header=BB6_4623 Depth=2
	v_and_b32_e32 v28, 0x7fffffff, v4
	v_mov_b32_e32 v29, v1
	v_and_b32_e32 v23, 0x80, v5
                                        ; implicit-def: $vgpr6
	s_mov_b32 s11, exec_lo
	s_delay_alu instid0(VALU_DEP_2)
	v_cmpx_gt_u64_e32 0x47600001, v[28:29]
	s_xor_b32 s42, exec_lo, s11
	s_cbranch_execz .LBB6_4772
; %bb.4763:                             ;   in Loop: Header=BB6_4623 Depth=2
	v_mov_b32_e32 v6, 0
	s_mov_b32 s43, exec_lo
	v_cmpx_ne_u32_e32 0, v4
	s_cbranch_execz .LBB6_4771
; %bb.4764:                             ;   in Loop: Header=BB6_4623 Depth=2
	v_bfe_u32 v6, v4, 23, 8
	v_or_b32_e32 v26, 0x800000, v2
	s_delay_alu instid0(VALU_DEP_2) | instskip(SKIP_1) | instid1(VALU_DEP_2)
	v_sub_nc_u32_e32 v4, 0x71, v6
	v_cmp_gt_u32_e32 vcc_lo, 0x72, v6
	v_cndmask_b32_e32 v4, 0, v4, vcc_lo
	v_cmp_eq_u32_e32 vcc_lo, 0, v6
	s_delay_alu instid0(VALU_DEP_2) | instskip(NEXT) | instid1(VALU_DEP_1)
	v_cndmask_b32_e64 v25, v4, 0x70, vcc_lo
	v_dual_cndmask_b32 v2, v26, v2, vcc_lo :: v_dual_add_nc_u32 v4, 21, v25
	v_add_nc_u32_e32 v28, 20, v25
	s_delay_alu instid0(VALU_DEP_2) | instskip(NEXT) | instid1(VALU_DEP_2)
	v_lshlrev_b64_e64 v[4:5], v4, -1
	v_lshlrev_b64_e64 v[28:29], v28, 1
	s_delay_alu instid0(VALU_DEP_2) | instskip(SKIP_1) | instid1(VALU_DEP_4)
	v_bfi_b32 v4, v4, 0, v2
	v_lshrrev_b64 v[2:3], v25, v[2:3]
	v_bfi_b32 v5, v5, 0, 0
	s_delay_alu instid0(VALU_DEP_1) | instskip(NEXT) | instid1(VALU_DEP_3)
	v_cmp_eq_u64_e64 s11, v[4:5], v[28:29]
	v_mov_b64_e32 v[4:5], v[2:3]
	s_and_saveexec_b32 s44, s11
; %bb.4765:                             ;   in Loop: Header=BB6_4623 Depth=2
	v_bfe_u32 v4, v2, 21, 1
	v_mov_b32_e32 v5, v1
	s_delay_alu instid0(VALU_DEP_1) | instskip(NEXT) | instid1(VALU_DEP_1)
	v_add_nc_u64_e32 v[4:5], v[2:3], v[4:5]
	v_add_nc_u64_e32 v[4:5], -1, v[4:5]
; %bb.4766:                             ;   in Loop: Header=BB6_4623 Depth=2
	s_or_b32 exec_lo, exec_lo, s44
	v_add_nc_u32_e32 v3, 0xffffff81, v6
	v_lshrrev_b32_e32 v5, 23, v2
	s_mov_b32 s11, exec_lo
	s_delay_alu instid0(VALU_DEP_2) | instskip(NEXT) | instid1(VALU_DEP_1)
	v_cndmask_b32_e64 v3, v3, 0xffffff82, vcc_lo
	v_add3_u32 v5, v25, v3, v5
	v_and_b32_e32 v3, 0x1fffff, v4
                                        ; implicit-def: $vgpr4
	s_delay_alu instid0(VALU_DEP_1) | instskip(SKIP_1) | instid1(VALU_DEP_2)
	v_dual_add_nc_u32 v6, 14, v5 :: v_dual_add_nc_u32 v2, v3, v2
	v_mov_b32_e32 v3, v1
	v_cmpx_ne_u32_e32 0, v6
	s_xor_b32 s11, exec_lo, s11
; %bb.4767:                             ;   in Loop: Header=BB6_4623 Depth=2
	s_delay_alu instid0(VALU_DEP_2) | instskip(SKIP_2) | instid1(VALU_DEP_2)
	v_cmp_lt_u64_e32 vcc_lo, 0xffffff, v[2:3]
	v_add_nc_u32_e32 v4, 15, v5
	v_cndmask_b32_e64 v5, 0, 1, vcc_lo
	v_cndmask_b32_e32 v4, v6, v4, vcc_lo
	s_delay_alu instid0(VALU_DEP_2)
	v_lshrrev_b64 v[2:3], v5, v[2:3]
; %bb.4768:                             ;   in Loop: Header=BB6_4623 Depth=2
	s_and_not1_saveexec_b32 s11, s11
; %bb.4769:                             ;   in Loop: Header=BB6_4623 Depth=2
	s_delay_alu instid0(VALU_DEP_1)
	v_bfe_u32 v4, v2, 23, 1
; %bb.4770:                             ;   in Loop: Header=BB6_4623 Depth=2
	s_or_b32 exec_lo, exec_lo, s11
	s_delay_alu instid0(VALU_DEP_2) | instskip(NEXT) | instid1(VALU_DEP_2)
	v_lshrrev_b64 v[2:3], 21, v[2:3]
	v_cmp_gt_i32_e32 vcc_lo, 32, v4
	v_min_i32_e32 v5, 31, v4
	v_cmp_eq_u32_e64 s11, 0, v4
	s_delay_alu instid0(VALU_DEP_2) | instskip(SKIP_1) | instid1(VALU_DEP_2)
	v_dual_cndmask_b32 v3, 0, v3, vcc_lo :: v_dual_lshlrev_b32 v5, 2, v5
	v_cndmask_b32_e32 v2, 3, v2, vcc_lo
	v_and_b32_e32 v5, 0xfc, v5
	s_delay_alu instid0(VALU_DEP_2) | instskip(NEXT) | instid1(VALU_DEP_2)
	v_cmp_eq_u64_e32 vcc_lo, 0, v[2:3]
	v_and_or_b32 v2, v2, 3, v5
	s_and_b32 s11, s11, vcc_lo
	s_delay_alu instid0(VALU_DEP_1) | instid1(SALU_CYCLE_1)
	v_cndmask_b32_e64 v2, v2, 0, s11
	s_delay_alu instid0(VALU_DEP_1)
	v_or_b32_e32 v6, v2, v23
.LBB6_4771:                             ;   in Loop: Header=BB6_4623 Depth=2
	s_or_b32 exec_lo, exec_lo, s43
                                        ; implicit-def: $vgpr23
.LBB6_4772:                             ;   in Loop: Header=BB6_4623 Depth=2
	s_and_not1_saveexec_b32 s11, s42
; %bb.4773:                             ;   in Loop: Header=BB6_4623 Depth=2
	v_or_b32_e32 v6, 0x7b, v23
; %bb.4774:                             ;   in Loop: Header=BB6_4623 Depth=2
	s_or_b32 exec_lo, exec_lo, s11
                                        ; implicit-def: $vgpr4
                                        ; implicit-def: $vgpr2_vgpr3
                                        ; implicit-def: $vgpr5
.LBB6_4775:                             ;   in Loop: Header=BB6_4623 Depth=2
	s_and_not1_saveexec_b32 s11, s41
	s_cbranch_execz .LBB6_4781
; %bb.4776:                             ;   in Loop: Header=BB6_4623 Depth=2
	s_mov_b32 s41, exec_lo
                                        ; implicit-def: $vgpr6
	v_cmpx_ne_u64_e32 0, v[2:3]
	s_xor_b32 s41, exec_lo, s41
; %bb.4777:                             ;   in Loop: Header=BB6_4623 Depth=2
	v_or_b32_e32 v6, 0x7f, v5
                                        ; implicit-def: $vgpr4
; %bb.4778:                             ;   in Loop: Header=BB6_4623 Depth=2
	s_and_not1_saveexec_b32 s41, s41
; %bb.4779:                             ;   in Loop: Header=BB6_4623 Depth=2
	v_cmp_lt_i32_e32 vcc_lo, -1, v4
	v_mov_b32_e32 v2, 0x7c
	s_delay_alu instid0(VALU_DEP_1)
	v_cndmask_b32_e32 v6, 0xfc, v2, vcc_lo
; %bb.4780:                             ;   in Loop: Header=BB6_4623 Depth=2
	s_or_b32 exec_lo, exec_lo, s41
.LBB6_4781:                             ;   in Loop: Header=BB6_4623 Depth=2
	s_delay_alu instid0(SALU_CYCLE_1) | instskip(SKIP_3) | instid1(VALU_DEP_2)
	s_or_b32 exec_lo, exec_lo, s11
	v_lshrrev_b16 v2, 8, v0
	v_mov_b32_e32 v4, 0
	s_mov_b32 s11, exec_lo
	v_cmpx_ne_u16_e32 0, v2
	s_cbranch_execz .LBB6_4791
; %bb.4782:                             ;   in Loop: Header=BB6_4623 Depth=2
	v_bfrev_b32_e32 v4, 1
	s_mov_b32 s41, exec_lo
	v_cmpx_ne_u16_e32 0x80, v2
	s_cbranch_execz .LBB6_4790
; %bb.4783:                             ;   in Loop: Header=BB6_4623 Depth=2
	v_and_b32_e32 v5, 0xffff, v2
	s_delay_alu instid0(VALU_DEP_1) | instskip(SKIP_1) | instid1(VALU_DEP_2)
	v_and_b32_e32 v4, 0x7c, v5
	v_and_b32_e32 v3, 3, v5
	v_cmp_ne_u32_e32 vcc_lo, 0x7c, v4
                                        ; implicit-def: $vgpr4
	s_and_saveexec_b32 s42, vcc_lo
	s_delay_alu instid0(SALU_CYCLE_1)
	s_xor_b32 s42, exec_lo, s42
	s_cbranch_execz .LBB6_4787
; %bb.4784:                             ;   in Loop: Header=BB6_4623 Depth=2
	v_bfe_u32 v4, v5, 2, 5
	s_mov_b32 s43, exec_lo
	s_delay_alu instid0(VALU_DEP_1)
	v_cmpx_eq_u32_e32 0, v4
	s_cbranch_execz .LBB6_4786
; %bb.4785:                             ;   in Loop: Header=BB6_4623 Depth=2
	v_clz_i32_u32_e32 v3, v3
	s_delay_alu instid0(VALU_DEP_1) | instskip(SKIP_1) | instid1(VALU_DEP_2)
	v_min_u32_e32 v4, 32, v3
	v_mov_b32_e32 v3, v1
	v_subrev_nc_u32_e32 v5, 29, v4
	v_sub_nc_u32_e32 v4, 30, v4
	s_delay_alu instid0(VALU_DEP_2) | instskip(NEXT) | instid1(VALU_DEP_1)
	v_lshlrev_b64_e32 v[2:3], v5, v[2:3]
	v_and_b32_e32 v3, 3, v2
.LBB6_4786:                             ;   in Loop: Header=BB6_4623 Depth=2
	s_or_b32 exec_lo, exec_lo, s43
	v_lshlrev_b32_e32 v0, 16, v0
	s_delay_alu instid0(VALU_DEP_1) | instskip(NEXT) | instid1(VALU_DEP_1)
	v_and_b32_e32 v0, 0x80000000, v0
	v_lshl_add_u32 v0, v4, 23, v0
	s_delay_alu instid0(VALU_DEP_1) | instskip(NEXT) | instid1(VALU_DEP_1)
	v_lshl_or_b32 v0, v3, 21, v0
                                        ; implicit-def: $vgpr3
	v_add_nc_u32_e32 v4, 0x38000000, v0
.LBB6_4787:                             ;   in Loop: Header=BB6_4623 Depth=2
	s_and_not1_saveexec_b32 s42, s42
; %bb.4788:                             ;   in Loop: Header=BB6_4623 Depth=2
	v_cmp_lt_i16_e32 vcc_lo, -1, v0
	v_mov_b32_e32 v0, 0x7f800000
	s_delay_alu instid0(VALU_DEP_1) | instskip(SKIP_1) | instid1(VALU_DEP_2)
	v_cndmask_b32_e32 v0, 0xff800000, v0, vcc_lo
	v_cmp_eq_u32_e32 vcc_lo, 0, v3
	v_cndmask_b32_e32 v4, 0x7f800001, v0, vcc_lo
; %bb.4789:                             ;   in Loop: Header=BB6_4623 Depth=2
	s_or_b32 exec_lo, exec_lo, s42
.LBB6_4790:                             ;   in Loop: Header=BB6_4623 Depth=2
	s_delay_alu instid0(SALU_CYCLE_1)
	s_or_b32 exec_lo, exec_lo, s41
.LBB6_4791:                             ;   in Loop: Header=BB6_4623 Depth=2
	s_delay_alu instid0(SALU_CYCLE_1) | instskip(NEXT) | instid1(VALU_DEP_1)
	s_or_b32 exec_lo, exec_lo, s11
	v_dual_mul_f32 v2, s40, v4 :: v_dual_mov_b32 v5, v1
                                        ; implicit-def: $vgpr33
	s_mov_b32 s11, exec_lo
	s_delay_alu instid0(VALU_DEP_1) | instskip(SKIP_2) | instid1(VALU_DEP_3)
	v_and_b32_e32 v4, 0x7f800000, v2
	v_and_b32_e32 v0, 0x7fffff, v2
	v_lshrrev_b32_e32 v3, 24, v2
	v_cmpx_ne_u64_e32 0x7f800000, v[4:5]
	s_xor_b32 s41, exec_lo, s11
	s_cbranch_execz .LBB6_4805
; %bb.4792:                             ;   in Loop: Header=BB6_4623 Depth=2
	v_and_b32_e32 v4, 0x7fffffff, v2
	v_mov_b32_e32 v5, v1
	v_and_b32_e32 v23, 0x80, v3
                                        ; implicit-def: $vgpr33
	s_mov_b32 s11, exec_lo
	s_delay_alu instid0(VALU_DEP_2)
	v_cmpx_gt_u64_e32 0x47600001, v[4:5]
	s_xor_b32 s42, exec_lo, s11
	s_cbranch_execz .LBB6_4802
; %bb.4793:                             ;   in Loop: Header=BB6_4623 Depth=2
	v_mov_b32_e32 v33, 0
	s_mov_b32 s43, exec_lo
	v_cmpx_ne_u32_e32 0, v2
	s_cbranch_execz .LBB6_4801
; %bb.4794:                             ;   in Loop: Header=BB6_4623 Depth=2
	v_bfe_u32 v25, v2, 23, 8
	v_or_b32_e32 v4, 0x800000, v0
	s_mov_b32 s44, exec_lo
	s_delay_alu instid0(VALU_DEP_2) | instskip(SKIP_1) | instid1(VALU_DEP_2)
	v_dual_mov_b32 v5, v1 :: v_dual_sub_nc_u32 v2, 0x71, v25
	v_cmp_gt_u32_e32 vcc_lo, 0x72, v25
	v_cndmask_b32_e32 v2, 0, v2, vcc_lo
	v_cmp_eq_u32_e32 vcc_lo, 0, v25
	v_cndmask_b32_e32 v4, v4, v0, vcc_lo
	s_delay_alu instid0(VALU_DEP_3) | instskip(NEXT) | instid1(VALU_DEP_1)
	v_cndmask_b32_e64 v26, v2, 0x70, vcc_lo
	v_dual_add_nc_u32 v2, 21, v26 :: v_dual_add_nc_u32 v28, 20, v26
	s_delay_alu instid0(VALU_DEP_1) | instskip(NEXT) | instid1(VALU_DEP_2)
	v_lshlrev_b64_e64 v[2:3], v2, -1
	v_lshlrev_b64_e64 v[28:29], v28, 1
	s_delay_alu instid0(VALU_DEP_2) | instskip(NEXT) | instid1(VALU_DEP_3)
	v_bfi_b32 v31, v3, 0, 0
	v_bfi_b32 v30, v2, 0, v4
	v_lshrrev_b64 v[2:3], v26, v[4:5]
	s_delay_alu instid0(VALU_DEP_1) | instskip(NEXT) | instid1(VALU_DEP_3)
	v_mov_b64_e32 v[4:5], v[2:3]
	v_cmpx_eq_u64_e64 v[30:31], v[28:29]
; %bb.4795:                             ;   in Loop: Header=BB6_4623 Depth=2
	v_bfe_u32 v4, v2, 21, 1
	v_mov_b32_e32 v5, v1
	s_delay_alu instid0(VALU_DEP_1) | instskip(NEXT) | instid1(VALU_DEP_1)
	v_add_nc_u64_e32 v[4:5], v[2:3], v[4:5]
	v_add_nc_u64_e32 v[4:5], -1, v[4:5]
; %bb.4796:                             ;   in Loop: Header=BB6_4623 Depth=2
	s_or_b32 exec_lo, exec_lo, s44
	v_add_nc_u32_e32 v0, 0xffffff81, v25
	s_delay_alu instid0(VALU_DEP_2) | instskip(SKIP_2) | instid1(VALU_DEP_3)
	v_and_b32_e32 v4, 0x1fffff, v4
	v_lshrrev_b32_e32 v3, 23, v2
	s_mov_b32 s11, exec_lo
	v_cndmask_b32_e64 v0, v0, 0xffffff82, vcc_lo
	s_delay_alu instid0(VALU_DEP_1) | instskip(SKIP_1) | instid1(VALU_DEP_2)
	v_add3_u32 v5, v26, v0, v3
	v_add_nc_u32_e32 v0, v4, v2
                                        ; implicit-def: $vgpr2_vgpr3
                                        ; implicit-def: $vgpr4
	v_add_nc_u32_e32 v25, 14, v5
	s_delay_alu instid0(VALU_DEP_1)
	v_cmpx_ne_u32_e32 0, v25
	s_xor_b32 s11, exec_lo, s11
; %bb.4797:                             ;   in Loop: Header=BB6_4623 Depth=2
	s_delay_alu instid0(VALU_DEP_3) | instskip(SKIP_1) | instid1(VALU_DEP_1)
	v_cmp_lt_u64_e32 vcc_lo, 0xffffff, v[0:1]
	v_add_nc_u32_e32 v2, 15, v5
	v_cndmask_b32_e32 v4, v25, v2, vcc_lo
	v_cndmask_b32_e64 v2, 0, 1, vcc_lo
	s_delay_alu instid0(VALU_DEP_1)
	v_lshrrev_b64 v[2:3], v2, v[0:1]
; %bb.4798:                             ;   in Loop: Header=BB6_4623 Depth=2
	s_and_not1_saveexec_b32 s11, s11
; %bb.4799:                             ;   in Loop: Header=BB6_4623 Depth=2
	v_mov_b64_e32 v[2:3], v[0:1]
	v_bfe_u32 v4, v0, 23, 1
; %bb.4800:                             ;   in Loop: Header=BB6_4623 Depth=2
	s_or_b32 exec_lo, exec_lo, s11
	s_delay_alu instid0(VALU_DEP_2) | instskip(NEXT) | instid1(VALU_DEP_2)
	v_lshrrev_b64 v[2:3], 21, v[2:3]
	v_cmp_gt_i32_e32 vcc_lo, 32, v4
	v_min_i32_e32 v0, 31, v4
	v_cmp_eq_u32_e64 s11, 0, v4
	s_delay_alu instid0(VALU_DEP_2) | instskip(SKIP_1) | instid1(VALU_DEP_2)
	v_dual_cndmask_b32 v3, 0, v3 :: v_dual_lshlrev_b32 v0, 2, v0
	v_cndmask_b32_e32 v2, 3, v2, vcc_lo
	v_and_b32_e32 v0, 0xfc, v0
	s_delay_alu instid0(VALU_DEP_2) | instskip(NEXT) | instid1(VALU_DEP_2)
	v_cmp_eq_u64_e32 vcc_lo, 0, v[2:3]
	v_and_or_b32 v0, v2, 3, v0
	s_and_b32 s11, s11, vcc_lo
	s_delay_alu instid0(VALU_DEP_1) | instid1(SALU_CYCLE_1)
	v_cndmask_b32_e64 v0, v0, 0, s11
	s_delay_alu instid0(VALU_DEP_1)
	v_or_b32_e32 v33, v0, v23
.LBB6_4801:                             ;   in Loop: Header=BB6_4623 Depth=2
	s_or_b32 exec_lo, exec_lo, s43
                                        ; implicit-def: $vgpr23
.LBB6_4802:                             ;   in Loop: Header=BB6_4623 Depth=2
	s_and_not1_saveexec_b32 s11, s42
; %bb.4803:                             ;   in Loop: Header=BB6_4623 Depth=2
	v_or_b32_e32 v33, 0x7b, v23
; %bb.4804:                             ;   in Loop: Header=BB6_4623 Depth=2
	s_or_b32 exec_lo, exec_lo, s11
                                        ; implicit-def: $vgpr2
                                        ; implicit-def: $vgpr3
.LBB6_4805:                             ;   in Loop: Header=BB6_4623 Depth=2
	s_and_not1_saveexec_b32 s11, s41
	s_cbranch_execz .LBB6_4811
; %bb.4806:                             ;   in Loop: Header=BB6_4623 Depth=2
	s_mov_b32 s41, exec_lo
                                        ; implicit-def: $vgpr33
	v_cmpx_ne_u64_e32 0, v[0:1]
	s_xor_b32 s41, exec_lo, s41
; %bb.4807:                             ;   in Loop: Header=BB6_4623 Depth=2
	v_or_b32_e32 v33, 0x7f, v3
                                        ; implicit-def: $vgpr2
; %bb.4808:                             ;   in Loop: Header=BB6_4623 Depth=2
	s_and_not1_saveexec_b32 s41, s41
; %bb.4809:                             ;   in Loop: Header=BB6_4623 Depth=2
	v_cmp_lt_i32_e32 vcc_lo, -1, v2
	v_mov_b32_e32 v0, 0x7c
	s_delay_alu instid0(VALU_DEP_1)
	v_cndmask_b32_e32 v33, 0xfc, v0, vcc_lo
; %bb.4810:                             ;   in Loop: Header=BB6_4623 Depth=2
	s_or_b32 exec_lo, exec_lo, s41
.LBB6_4811:                             ;   in Loop: Header=BB6_4623 Depth=2
	s_delay_alu instid0(SALU_CYCLE_1) | instskip(SKIP_2) | instid1(VALU_DEP_1)
	s_or_b32 exec_lo, exec_lo, s11
	v_dual_lshrrev_b32 v0, 16, v11 :: v_dual_mov_b32 v2, 0
	s_mov_b32 s11, exec_lo
	v_and_b32_e32 v3, 0xff, v0
	s_delay_alu instid0(VALU_DEP_1)
	v_cmpx_ne_u16_e32 0, v3
	s_cbranch_execz .LBB6_4821
; %bb.4812:                             ;   in Loop: Header=BB6_4623 Depth=2
	v_bfrev_b32_e32 v2, 1
	s_mov_b32 s41, exec_lo
	v_cmpx_ne_u16_e32 0x80, v3
	s_cbranch_execz .LBB6_4820
; %bb.4813:                             ;   in Loop: Header=BB6_4623 Depth=2
	v_and_b32_e32 v2, 0x7c0000, v11
	v_bfe_u32 v3, v11, 16, 2
	s_delay_alu instid0(VALU_DEP_2) | instskip(SKIP_1) | instid1(SALU_CYCLE_1)
	v_cmp_ne_u32_e32 vcc_lo, 0x7c0000, v2
                                        ; implicit-def: $vgpr2
	s_and_saveexec_b32 s42, vcc_lo
	s_xor_b32 s42, exec_lo, s42
	s_cbranch_execz .LBB6_4817
; %bb.4814:                             ;   in Loop: Header=BB6_4623 Depth=2
	v_bfe_u32 v2, v11, 18, 5
	s_mov_b32 s43, exec_lo
	s_delay_alu instid0(VALU_DEP_1)
	v_cmpx_eq_u32_e32 0, v2
; %bb.4815:                             ;   in Loop: Header=BB6_4623 Depth=2
	v_clz_i32_u32_e32 v2, v3
	s_delay_alu instid0(VALU_DEP_1) | instskip(NEXT) | instid1(VALU_DEP_1)
	v_min_u32_e32 v2, 32, v2
	v_subrev_nc_u32_e32 v3, 29, v2
	s_delay_alu instid0(VALU_DEP_1) | instskip(NEXT) | instid1(VALU_DEP_1)
	v_lshlrev_b64_e32 v[4:5], v3, v[0:1]
	v_dual_sub_nc_u32 v2, 30, v2 :: v_dual_bitop2_b32 v3, 3, v4 bitop3:0x40
; %bb.4816:                             ;   in Loop: Header=BB6_4623 Depth=2
	s_or_b32 exec_lo, exec_lo, s43
	v_lshlrev_b32_e32 v0, 24, v0
	s_delay_alu instid0(VALU_DEP_1) | instskip(NEXT) | instid1(VALU_DEP_1)
	v_and_b32_e32 v0, 0x80000000, v0
	v_lshl_add_u32 v0, v2, 23, v0
	s_delay_alu instid0(VALU_DEP_1) | instskip(NEXT) | instid1(VALU_DEP_1)
	v_lshl_or_b32 v0, v3, 21, v0
                                        ; implicit-def: $vgpr3
	v_add_nc_u32_e32 v2, 0x38000000, v0
                                        ; implicit-def: $vgpr0
.LBB6_4817:                             ;   in Loop: Header=BB6_4623 Depth=2
	s_and_not1_saveexec_b32 s42, s42
; %bb.4818:                             ;   in Loop: Header=BB6_4623 Depth=2
	v_bfe_i32 v0, v0, 0, 8
	s_delay_alu instid0(VALU_DEP_1) | instskip(SKIP_1) | instid1(VALU_DEP_1)
	v_cmp_lt_i16_e32 vcc_lo, -1, v0
	v_mov_b32_e32 v0, 0x7f800000
	v_cndmask_b32_e32 v0, 0xff800000, v0, vcc_lo
	v_cmp_eq_u32_e32 vcc_lo, 0, v3
	s_delay_alu instid0(VALU_DEP_2)
	v_cndmask_b32_e32 v2, 0x7f800001, v0, vcc_lo
; %bb.4819:                             ;   in Loop: Header=BB6_4623 Depth=2
	s_or_b32 exec_lo, exec_lo, s42
.LBB6_4820:                             ;   in Loop: Header=BB6_4623 Depth=2
	s_delay_alu instid0(SALU_CYCLE_1)
	s_or_b32 exec_lo, exec_lo, s41
.LBB6_4821:                             ;   in Loop: Header=BB6_4623 Depth=2
	s_delay_alu instid0(SALU_CYCLE_1) | instskip(NEXT) | instid1(VALU_DEP_1)
	s_or_b32 exec_lo, exec_lo, s11
	v_dual_mul_f32 v2, s40, v2 :: v_dual_mov_b32 v5, v1
                                        ; implicit-def: $vgpr35
	s_mov_b32 s11, exec_lo
	s_delay_alu instid0(VALU_DEP_1) | instskip(SKIP_2) | instid1(VALU_DEP_3)
	v_and_b32_e32 v4, 0x7f800000, v2
	v_and_b32_e32 v0, 0x7fffff, v2
	v_lshrrev_b32_e32 v3, 24, v2
	v_cmpx_ne_u64_e32 0x7f800000, v[4:5]
	s_xor_b32 s41, exec_lo, s11
	s_cbranch_execz .LBB6_4835
; %bb.4822:                             ;   in Loop: Header=BB6_4623 Depth=2
	v_and_b32_e32 v4, 0x7fffffff, v2
	v_mov_b32_e32 v5, v1
	v_and_b32_e32 v23, 0x80, v3
                                        ; implicit-def: $vgpr35
	s_mov_b32 s11, exec_lo
	s_delay_alu instid0(VALU_DEP_2)
	v_cmpx_gt_u64_e32 0x47600001, v[4:5]
	s_xor_b32 s42, exec_lo, s11
	s_cbranch_execz .LBB6_4832
; %bb.4823:                             ;   in Loop: Header=BB6_4623 Depth=2
	v_mov_b32_e32 v35, 0
	s_mov_b32 s43, exec_lo
	v_cmpx_ne_u32_e32 0, v2
	s_cbranch_execz .LBB6_4831
; %bb.4824:                             ;   in Loop: Header=BB6_4623 Depth=2
	v_bfe_u32 v25, v2, 23, 8
	v_or_b32_e32 v4, 0x800000, v0
	s_mov_b32 s44, exec_lo
	s_delay_alu instid0(VALU_DEP_2) | instskip(SKIP_1) | instid1(VALU_DEP_2)
	v_dual_mov_b32 v5, v1 :: v_dual_sub_nc_u32 v2, 0x71, v25
	v_cmp_gt_u32_e32 vcc_lo, 0x72, v25
	v_cndmask_b32_e32 v2, 0, v2, vcc_lo
	v_cmp_eq_u32_e32 vcc_lo, 0, v25
	v_cndmask_b32_e32 v4, v4, v0, vcc_lo
	s_delay_alu instid0(VALU_DEP_3) | instskip(NEXT) | instid1(VALU_DEP_1)
	v_cndmask_b32_e64 v26, v2, 0x70, vcc_lo
	v_dual_add_nc_u32 v2, 21, v26 :: v_dual_add_nc_u32 v28, 20, v26
	s_delay_alu instid0(VALU_DEP_1) | instskip(NEXT) | instid1(VALU_DEP_2)
	v_lshlrev_b64_e64 v[2:3], v2, -1
	v_lshlrev_b64_e64 v[28:29], v28, 1
	s_delay_alu instid0(VALU_DEP_2) | instskip(NEXT) | instid1(VALU_DEP_3)
	v_bfi_b32 v31, v3, 0, 0
	v_bfi_b32 v30, v2, 0, v4
	v_lshrrev_b64 v[2:3], v26, v[4:5]
	s_delay_alu instid0(VALU_DEP_1) | instskip(NEXT) | instid1(VALU_DEP_3)
	v_mov_b64_e32 v[4:5], v[2:3]
	v_cmpx_eq_u64_e64 v[30:31], v[28:29]
; %bb.4825:                             ;   in Loop: Header=BB6_4623 Depth=2
	v_bfe_u32 v4, v2, 21, 1
	v_mov_b32_e32 v5, v1
	s_delay_alu instid0(VALU_DEP_1) | instskip(NEXT) | instid1(VALU_DEP_1)
	v_add_nc_u64_e32 v[4:5], v[2:3], v[4:5]
	v_add_nc_u64_e32 v[4:5], -1, v[4:5]
; %bb.4826:                             ;   in Loop: Header=BB6_4623 Depth=2
	s_or_b32 exec_lo, exec_lo, s44
	v_add_nc_u32_e32 v0, 0xffffff81, v25
	s_delay_alu instid0(VALU_DEP_2) | instskip(SKIP_2) | instid1(VALU_DEP_3)
	v_and_b32_e32 v4, 0x1fffff, v4
	v_lshrrev_b32_e32 v3, 23, v2
	s_mov_b32 s11, exec_lo
	v_cndmask_b32_e64 v0, v0, 0xffffff82, vcc_lo
	s_delay_alu instid0(VALU_DEP_1) | instskip(SKIP_1) | instid1(VALU_DEP_2)
	v_add3_u32 v5, v26, v0, v3
	v_add_nc_u32_e32 v0, v4, v2
                                        ; implicit-def: $vgpr2_vgpr3
                                        ; implicit-def: $vgpr4
	v_add_nc_u32_e32 v25, 14, v5
	s_delay_alu instid0(VALU_DEP_1)
	v_cmpx_ne_u32_e32 0, v25
	s_xor_b32 s11, exec_lo, s11
; %bb.4827:                             ;   in Loop: Header=BB6_4623 Depth=2
	s_delay_alu instid0(VALU_DEP_3) | instskip(SKIP_1) | instid1(VALU_DEP_1)
	v_cmp_lt_u64_e32 vcc_lo, 0xffffff, v[0:1]
	v_add_nc_u32_e32 v2, 15, v5
	v_cndmask_b32_e32 v4, v25, v2, vcc_lo
	v_cndmask_b32_e64 v2, 0, 1, vcc_lo
	s_delay_alu instid0(VALU_DEP_1)
	v_lshrrev_b64 v[2:3], v2, v[0:1]
; %bb.4828:                             ;   in Loop: Header=BB6_4623 Depth=2
	s_and_not1_saveexec_b32 s11, s11
; %bb.4829:                             ;   in Loop: Header=BB6_4623 Depth=2
	v_mov_b64_e32 v[2:3], v[0:1]
	v_bfe_u32 v4, v0, 23, 1
; %bb.4830:                             ;   in Loop: Header=BB6_4623 Depth=2
	s_or_b32 exec_lo, exec_lo, s11
	s_delay_alu instid0(VALU_DEP_2) | instskip(NEXT) | instid1(VALU_DEP_2)
	v_lshrrev_b64 v[2:3], 21, v[2:3]
	v_cmp_gt_i32_e32 vcc_lo, 32, v4
	v_min_i32_e32 v0, 31, v4
	v_cmp_eq_u32_e64 s11, 0, v4
	s_delay_alu instid0(VALU_DEP_2) | instskip(SKIP_1) | instid1(VALU_DEP_2)
	v_dual_cndmask_b32 v3, 0, v3 :: v_dual_lshlrev_b32 v0, 2, v0
	v_cndmask_b32_e32 v2, 3, v2, vcc_lo
	v_and_b32_e32 v0, 0xfc, v0
	s_delay_alu instid0(VALU_DEP_2) | instskip(NEXT) | instid1(VALU_DEP_2)
	v_cmp_eq_u64_e32 vcc_lo, 0, v[2:3]
	v_and_or_b32 v0, v2, 3, v0
	s_and_b32 s11, s11, vcc_lo
	s_delay_alu instid0(VALU_DEP_1) | instid1(SALU_CYCLE_1)
	v_cndmask_b32_e64 v0, v0, 0, s11
	s_delay_alu instid0(VALU_DEP_1)
	v_or_b32_e32 v35, v0, v23
.LBB6_4831:                             ;   in Loop: Header=BB6_4623 Depth=2
	s_or_b32 exec_lo, exec_lo, s43
                                        ; implicit-def: $vgpr23
.LBB6_4832:                             ;   in Loop: Header=BB6_4623 Depth=2
	s_and_not1_saveexec_b32 s11, s42
; %bb.4833:                             ;   in Loop: Header=BB6_4623 Depth=2
	v_or_b32_e32 v35, 0x7b, v23
; %bb.4834:                             ;   in Loop: Header=BB6_4623 Depth=2
	s_or_b32 exec_lo, exec_lo, s11
                                        ; implicit-def: $vgpr2
                                        ; implicit-def: $vgpr3
.LBB6_4835:                             ;   in Loop: Header=BB6_4623 Depth=2
	s_and_not1_saveexec_b32 s11, s41
	s_cbranch_execz .LBB6_4841
; %bb.4836:                             ;   in Loop: Header=BB6_4623 Depth=2
	s_mov_b32 s41, exec_lo
                                        ; implicit-def: $vgpr35
	v_cmpx_ne_u64_e32 0, v[0:1]
	s_xor_b32 s41, exec_lo, s41
; %bb.4837:                             ;   in Loop: Header=BB6_4623 Depth=2
	v_or_b32_e32 v35, 0x7f, v3
                                        ; implicit-def: $vgpr2
; %bb.4838:                             ;   in Loop: Header=BB6_4623 Depth=2
	s_and_not1_saveexec_b32 s41, s41
; %bb.4839:                             ;   in Loop: Header=BB6_4623 Depth=2
	v_cmp_lt_i32_e32 vcc_lo, -1, v2
	v_mov_b32_e32 v0, 0x7c
	s_delay_alu instid0(VALU_DEP_1)
	v_cndmask_b32_e32 v35, 0xfc, v0, vcc_lo
; %bb.4840:                             ;   in Loop: Header=BB6_4623 Depth=2
	s_or_b32 exec_lo, exec_lo, s41
.LBB6_4841:                             ;   in Loop: Header=BB6_4623 Depth=2
	s_delay_alu instid0(SALU_CYCLE_1)
	s_or_b32 exec_lo, exec_lo, s11
	v_mov_b32_e32 v2, 0
	s_mov_b32 s11, exec_lo
	v_cmpx_lt_u64_e64 s[12:13], v[10:11]
	s_cbranch_execz .LBB6_4851
; %bb.4842:                             ;   in Loop: Header=BB6_4623 Depth=2
	v_lshrrev_b32_e32 v0, 24, v11
	v_bfrev_b32_e32 v2, 1
	s_mov_b32 s41, exec_lo
	s_delay_alu instid0(VALU_DEP_2)
	v_cmpx_ne_u32_e32 0x80, v0
	s_cbranch_execz .LBB6_4850
; %bb.4843:                             ;   in Loop: Header=BB6_4623 Depth=2
	v_and_b32_e32 v2, 0x7c000000, v11
	v_bfe_u32 v3, v11, 24, 2
	s_delay_alu instid0(VALU_DEP_2) | instskip(SKIP_1) | instid1(SALU_CYCLE_1)
	v_cmp_ne_u32_e32 vcc_lo, 0x7c000000, v2
                                        ; implicit-def: $vgpr2
	s_and_saveexec_b32 s42, vcc_lo
	s_xor_b32 s42, exec_lo, s42
	s_cbranch_execz .LBB6_4847
; %bb.4844:                             ;   in Loop: Header=BB6_4623 Depth=2
	v_bfe_u32 v2, v11, 26, 5
	s_mov_b32 s43, exec_lo
	s_delay_alu instid0(VALU_DEP_1)
	v_cmpx_eq_u32_e32 0, v2
; %bb.4845:                             ;   in Loop: Header=BB6_4623 Depth=2
	v_clz_i32_u32_e32 v2, v3
	s_delay_alu instid0(VALU_DEP_1) | instskip(NEXT) | instid1(VALU_DEP_1)
	v_min_u32_e32 v2, 32, v2
	v_subrev_nc_u32_e32 v3, 29, v2
	s_delay_alu instid0(VALU_DEP_1) | instskip(NEXT) | instid1(VALU_DEP_1)
	v_lshlrev_b64_e32 v[4:5], v3, v[0:1]
	v_dual_sub_nc_u32 v2, 30, v2 :: v_dual_bitop2_b32 v3, 3, v4 bitop3:0x40
; %bb.4846:                             ;   in Loop: Header=BB6_4623 Depth=2
	s_or_b32 exec_lo, exec_lo, s43
	v_and_b32_e32 v0, 0x80000000, v11
	s_delay_alu instid0(VALU_DEP_1) | instskip(NEXT) | instid1(VALU_DEP_1)
	v_lshl_add_u32 v0, v2, 23, v0
	v_lshl_or_b32 v0, v3, 21, v0
                                        ; implicit-def: $vgpr3
	s_delay_alu instid0(VALU_DEP_1)
	v_add_nc_u32_e32 v2, 0x38000000, v0
.LBB6_4847:                             ;   in Loop: Header=BB6_4623 Depth=2
	s_and_not1_saveexec_b32 s42, s42
; %bb.4848:                             ;   in Loop: Header=BB6_4623 Depth=2
	v_cmp_lt_i64_e32 vcc_lo, -1, v[10:11]
	v_mov_b32_e32 v0, 0x7f800000
	s_delay_alu instid0(VALU_DEP_1) | instskip(SKIP_1) | instid1(VALU_DEP_2)
	v_cndmask_b32_e32 v0, 0xff800000, v0, vcc_lo
	v_cmp_eq_u32_e32 vcc_lo, 0, v3
	v_cndmask_b32_e32 v2, 0x7f800001, v0, vcc_lo
; %bb.4849:                             ;   in Loop: Header=BB6_4623 Depth=2
	s_or_b32 exec_lo, exec_lo, s42
.LBB6_4850:                             ;   in Loop: Header=BB6_4623 Depth=2
	s_delay_alu instid0(SALU_CYCLE_1)
	s_or_b32 exec_lo, exec_lo, s41
.LBB6_4851:                             ;   in Loop: Header=BB6_4623 Depth=2
	s_delay_alu instid0(SALU_CYCLE_1) | instskip(NEXT) | instid1(VALU_DEP_1)
	s_or_b32 exec_lo, exec_lo, s11
	v_dual_mul_f32 v2, s40, v2 :: v_dual_mov_b32 v5, v1
                                        ; implicit-def: $vgpr36
	s_mov_b32 s11, exec_lo
	s_delay_alu instid0(VALU_DEP_1) | instskip(SKIP_2) | instid1(VALU_DEP_3)
	v_and_b32_e32 v4, 0x7f800000, v2
	v_and_b32_e32 v0, 0x7fffff, v2
	v_lshrrev_b32_e32 v3, 24, v2
	v_cmpx_ne_u64_e32 0x7f800000, v[4:5]
	s_xor_b32 s41, exec_lo, s11
	s_cbranch_execz .LBB6_4865
; %bb.4852:                             ;   in Loop: Header=BB6_4623 Depth=2
	v_and_b32_e32 v4, 0x7fffffff, v2
	v_mov_b32_e32 v5, v1
	v_and_b32_e32 v10, 0x80, v3
                                        ; implicit-def: $vgpr36
	s_mov_b32 s11, exec_lo
	s_delay_alu instid0(VALU_DEP_2)
	v_cmpx_gt_u64_e32 0x47600001, v[4:5]
	s_xor_b32 s42, exec_lo, s11
	s_cbranch_execz .LBB6_4862
; %bb.4853:                             ;   in Loop: Header=BB6_4623 Depth=2
	v_mov_b32_e32 v36, 0
	s_mov_b32 s43, exec_lo
	v_cmpx_ne_u32_e32 0, v2
	s_cbranch_execz .LBB6_4861
; %bb.4854:                             ;   in Loop: Header=BB6_4623 Depth=2
	v_bfe_u32 v11, v2, 23, 8
	v_or_b32_e32 v4, 0x800000, v0
	s_mov_b32 s44, exec_lo
	s_delay_alu instid0(VALU_DEP_2) | instskip(SKIP_1) | instid1(VALU_DEP_2)
	v_dual_mov_b32 v5, v1 :: v_dual_sub_nc_u32 v2, 0x71, v11
	v_cmp_gt_u32_e32 vcc_lo, 0x72, v11
	v_cndmask_b32_e32 v2, 0, v2, vcc_lo
	v_cmp_eq_u32_e32 vcc_lo, 0, v11
	s_delay_alu instid0(VALU_DEP_2) | instskip(NEXT) | instid1(VALU_DEP_1)
	v_cndmask_b32_e64 v23, v2, 0x70, vcc_lo
	v_dual_cndmask_b32 v4, v4, v0, vcc_lo :: v_dual_add_nc_u32 v2, 21, v23
	v_add_nc_u32_e32 v25, 20, v23
	s_delay_alu instid0(VALU_DEP_2) | instskip(NEXT) | instid1(VALU_DEP_2)
	v_lshlrev_b64_e64 v[2:3], v2, -1
	v_lshlrev_b64_e64 v[28:29], v25, 1
	s_delay_alu instid0(VALU_DEP_2) | instskip(NEXT) | instid1(VALU_DEP_3)
	v_bfi_b32 v31, v3, 0, 0
	v_bfi_b32 v30, v2, 0, v4
	v_lshrrev_b64 v[2:3], v23, v[4:5]
	s_delay_alu instid0(VALU_DEP_1) | instskip(NEXT) | instid1(VALU_DEP_3)
	v_mov_b64_e32 v[4:5], v[2:3]
	v_cmpx_eq_u64_e64 v[30:31], v[28:29]
; %bb.4855:                             ;   in Loop: Header=BB6_4623 Depth=2
	v_bfe_u32 v4, v2, 21, 1
	v_mov_b32_e32 v5, v1
	s_delay_alu instid0(VALU_DEP_1) | instskip(NEXT) | instid1(VALU_DEP_1)
	v_add_nc_u64_e32 v[4:5], v[2:3], v[4:5]
	v_add_nc_u64_e32 v[4:5], -1, v[4:5]
; %bb.4856:                             ;   in Loop: Header=BB6_4623 Depth=2
	s_or_b32 exec_lo, exec_lo, s44
	v_add_nc_u32_e32 v0, 0xffffff81, v11
	s_delay_alu instid0(VALU_DEP_2) | instskip(SKIP_2) | instid1(VALU_DEP_3)
	v_and_b32_e32 v4, 0x1fffff, v4
	v_lshrrev_b32_e32 v3, 23, v2
	s_mov_b32 s11, exec_lo
	v_cndmask_b32_e64 v0, v0, 0xffffff82, vcc_lo
	s_delay_alu instid0(VALU_DEP_1) | instskip(SKIP_1) | instid1(VALU_DEP_2)
	v_add3_u32 v5, v23, v0, v3
	v_add_nc_u32_e32 v0, v4, v2
                                        ; implicit-def: $vgpr2_vgpr3
                                        ; implicit-def: $vgpr4
	v_add_nc_u32_e32 v11, 14, v5
	s_delay_alu instid0(VALU_DEP_1)
	v_cmpx_ne_u32_e32 0, v11
	s_xor_b32 s11, exec_lo, s11
; %bb.4857:                             ;   in Loop: Header=BB6_4623 Depth=2
	s_delay_alu instid0(VALU_DEP_3) | instskip(SKIP_1) | instid1(VALU_DEP_1)
	v_cmp_lt_u64_e32 vcc_lo, 0xffffff, v[0:1]
	v_add_nc_u32_e32 v2, 15, v5
	v_cndmask_b32_e32 v4, v11, v2, vcc_lo
	v_cndmask_b32_e64 v2, 0, 1, vcc_lo
	s_delay_alu instid0(VALU_DEP_1)
	v_lshrrev_b64 v[2:3], v2, v[0:1]
; %bb.4858:                             ;   in Loop: Header=BB6_4623 Depth=2
	s_and_not1_saveexec_b32 s11, s11
; %bb.4859:                             ;   in Loop: Header=BB6_4623 Depth=2
	v_mov_b64_e32 v[2:3], v[0:1]
	v_bfe_u32 v4, v0, 23, 1
; %bb.4860:                             ;   in Loop: Header=BB6_4623 Depth=2
	s_or_b32 exec_lo, exec_lo, s11
	s_delay_alu instid0(VALU_DEP_2) | instskip(NEXT) | instid1(VALU_DEP_2)
	v_lshrrev_b64 v[2:3], 21, v[2:3]
	v_cmp_gt_i32_e32 vcc_lo, 32, v4
	v_min_i32_e32 v0, 31, v4
	v_cmp_eq_u32_e64 s11, 0, v4
	s_delay_alu instid0(VALU_DEP_2) | instskip(SKIP_1) | instid1(VALU_DEP_2)
	v_dual_cndmask_b32 v3, 0, v3 :: v_dual_lshlrev_b32 v0, 2, v0
	v_cndmask_b32_e32 v2, 3, v2, vcc_lo
	v_and_b32_e32 v0, 0xfc, v0
	s_delay_alu instid0(VALU_DEP_2) | instskip(NEXT) | instid1(VALU_DEP_2)
	v_cmp_eq_u64_e32 vcc_lo, 0, v[2:3]
	v_and_or_b32 v0, v2, 3, v0
	s_and_b32 s11, s11, vcc_lo
	s_delay_alu instid0(VALU_DEP_1) | instid1(SALU_CYCLE_1)
	v_cndmask_b32_e64 v0, v0, 0, s11
	s_delay_alu instid0(VALU_DEP_1)
	v_or_b32_e32 v36, v0, v10
.LBB6_4861:                             ;   in Loop: Header=BB6_4623 Depth=2
	s_or_b32 exec_lo, exec_lo, s43
                                        ; implicit-def: $vgpr10
.LBB6_4862:                             ;   in Loop: Header=BB6_4623 Depth=2
	s_and_not1_saveexec_b32 s11, s42
; %bb.4863:                             ;   in Loop: Header=BB6_4623 Depth=2
	v_or_b32_e32 v36, 0x7b, v10
; %bb.4864:                             ;   in Loop: Header=BB6_4623 Depth=2
	s_or_b32 exec_lo, exec_lo, s11
                                        ; implicit-def: $vgpr2
                                        ; implicit-def: $vgpr3
.LBB6_4865:                             ;   in Loop: Header=BB6_4623 Depth=2
	s_and_not1_saveexec_b32 s11, s41
	s_cbranch_execz .LBB6_4871
; %bb.4866:                             ;   in Loop: Header=BB6_4623 Depth=2
	s_mov_b32 s41, exec_lo
                                        ; implicit-def: $vgpr36
	v_cmpx_ne_u64_e32 0, v[0:1]
	s_xor_b32 s41, exec_lo, s41
; %bb.4867:                             ;   in Loop: Header=BB6_4623 Depth=2
	v_or_b32_e32 v36, 0x7f, v3
                                        ; implicit-def: $vgpr2
; %bb.4868:                             ;   in Loop: Header=BB6_4623 Depth=2
	s_and_not1_saveexec_b32 s41, s41
; %bb.4869:                             ;   in Loop: Header=BB6_4623 Depth=2
	v_cmp_lt_i32_e32 vcc_lo, -1, v2
	v_mov_b32_e32 v0, 0x7c
	s_delay_alu instid0(VALU_DEP_1)
	v_cndmask_b32_e32 v36, 0xfc, v0, vcc_lo
; %bb.4870:                             ;   in Loop: Header=BB6_4623 Depth=2
	s_or_b32 exec_lo, exec_lo, s41
.LBB6_4871:                             ;   in Loop: Header=BB6_4623 Depth=2
	s_delay_alu instid0(SALU_CYCLE_1) | instskip(SKIP_1) | instid1(VALU_DEP_1)
	s_or_b32 exec_lo, exec_lo, s11
	v_and_b32_e32 v0, 0xff, v12
	v_cmp_ne_u16_e32 vcc_lo, 0, v0
	v_mov_b32_e32 v0, 0
	s_and_saveexec_b32 s11, vcc_lo
	s_cbranch_execz .LBB6_4881
; %bb.4872:                             ;   in Loop: Header=BB6_4623 Depth=2
	v_bfe_i32 v3, v12, 0, 8
	v_bfrev_b32_e32 v0, 1
	s_mov_b32 s41, exec_lo
	s_delay_alu instid0(VALU_DEP_2)
	v_cmpx_ne_u16_e32 0xff80, v3
	s_cbranch_execz .LBB6_4880
; %bb.4873:                             ;   in Loop: Header=BB6_4623 Depth=2
	v_and_b32_e32 v0, 0x7c, v12
	v_and_b32_e32 v2, 3, v12
	s_delay_alu instid0(VALU_DEP_2) | instskip(SKIP_1) | instid1(SALU_CYCLE_1)
	v_cmp_ne_u32_e32 vcc_lo, 0x7c, v0
                                        ; implicit-def: $vgpr0
	s_and_saveexec_b32 s42, vcc_lo
	s_xor_b32 s42, exec_lo, s42
	s_cbranch_execz .LBB6_4877
; %bb.4874:                             ;   in Loop: Header=BB6_4623 Depth=2
	v_bfe_u32 v0, v12, 2, 5
	s_mov_b32 s43, exec_lo
	s_delay_alu instid0(VALU_DEP_1)
	v_cmpx_eq_u32_e32 0, v0
; %bb.4875:                             ;   in Loop: Header=BB6_4623 Depth=2
	v_clz_i32_u32_e32 v0, v2
	s_delay_alu instid0(VALU_DEP_1) | instskip(NEXT) | instid1(VALU_DEP_1)
	v_min_u32_e32 v0, 32, v0
	v_subrev_nc_u32_e32 v2, 29, v0
	s_delay_alu instid0(VALU_DEP_1) | instskip(NEXT) | instid1(VALU_DEP_1)
	v_lshlrev_b64_e32 v[2:3], v2, v[12:13]
	v_dual_sub_nc_u32 v0, 30, v0 :: v_dual_bitop2_b32 v2, 3, v2 bitop3:0x40
; %bb.4876:                             ;   in Loop: Header=BB6_4623 Depth=2
	s_or_b32 exec_lo, exec_lo, s43
	v_lshlrev_b32_e32 v3, 24, v12
	s_delay_alu instid0(VALU_DEP_1) | instskip(NEXT) | instid1(VALU_DEP_1)
	v_and_b32_e32 v3, 0x80000000, v3
	v_lshl_add_u32 v0, v0, 23, v3
                                        ; implicit-def: $vgpr3
	s_delay_alu instid0(VALU_DEP_1) | instskip(NEXT) | instid1(VALU_DEP_1)
	v_lshl_or_b32 v0, v2, 21, v0
                                        ; implicit-def: $vgpr2
	v_add_nc_u32_e32 v0, 0x38000000, v0
.LBB6_4877:                             ;   in Loop: Header=BB6_4623 Depth=2
	s_and_not1_saveexec_b32 s42, s42
; %bb.4878:                             ;   in Loop: Header=BB6_4623 Depth=2
	v_cmp_lt_i16_e32 vcc_lo, -1, v3
	v_mov_b32_e32 v0, 0x7f800000
	s_delay_alu instid0(VALU_DEP_1) | instskip(SKIP_1) | instid1(VALU_DEP_2)
	v_cndmask_b32_e32 v0, 0xff800000, v0, vcc_lo
	v_cmp_eq_u32_e32 vcc_lo, 0, v2
	v_cndmask_b32_e32 v0, 0x7f800001, v0, vcc_lo
; %bb.4879:                             ;   in Loop: Header=BB6_4623 Depth=2
	s_or_b32 exec_lo, exec_lo, s42
.LBB6_4880:                             ;   in Loop: Header=BB6_4623 Depth=2
	s_delay_alu instid0(SALU_CYCLE_1)
	s_or_b32 exec_lo, exec_lo, s41
.LBB6_4881:                             ;   in Loop: Header=BB6_4623 Depth=2
	s_delay_alu instid0(SALU_CYCLE_1) | instskip(NEXT) | instid1(VALU_DEP_1)
	s_or_b32 exec_lo, exec_lo, s11
	v_dual_mul_f32 v2, s40, v0 :: v_dual_mov_b32 v5, v1
                                        ; implicit-def: $vgpr25
	s_mov_b32 s11, exec_lo
	s_delay_alu instid0(VALU_DEP_1) | instskip(SKIP_2) | instid1(VALU_DEP_3)
	v_and_b32_e32 v4, 0x7f800000, v2
	v_and_b32_e32 v0, 0x7fffff, v2
	v_lshrrev_b32_e32 v3, 24, v2
	v_cmpx_ne_u64_e32 0x7f800000, v[4:5]
	s_xor_b32 s41, exec_lo, s11
	s_cbranch_execz .LBB6_4895
; %bb.4882:                             ;   in Loop: Header=BB6_4623 Depth=2
	v_and_b32_e32 v4, 0x7fffffff, v2
	v_mov_b32_e32 v5, v1
	v_and_b32_e32 v10, 0x80, v3
                                        ; implicit-def: $vgpr25
	s_mov_b32 s11, exec_lo
	s_delay_alu instid0(VALU_DEP_2)
	v_cmpx_gt_u64_e32 0x47600001, v[4:5]
	s_xor_b32 s42, exec_lo, s11
	s_cbranch_execz .LBB6_4892
; %bb.4883:                             ;   in Loop: Header=BB6_4623 Depth=2
	v_mov_b32_e32 v25, 0
	s_mov_b32 s43, exec_lo
	v_cmpx_ne_u32_e32 0, v2
	s_cbranch_execz .LBB6_4891
; %bb.4884:                             ;   in Loop: Header=BB6_4623 Depth=2
	v_bfe_u32 v11, v2, 23, 8
	v_or_b32_e32 v4, 0x800000, v0
	s_mov_b32 s44, exec_lo
	s_delay_alu instid0(VALU_DEP_2) | instskip(SKIP_1) | instid1(VALU_DEP_2)
	v_dual_mov_b32 v5, v1 :: v_dual_sub_nc_u32 v2, 0x71, v11
	v_cmp_gt_u32_e32 vcc_lo, 0x72, v11
	v_cndmask_b32_e32 v2, 0, v2, vcc_lo
	v_cmp_eq_u32_e32 vcc_lo, 0, v11
	s_delay_alu instid0(VALU_DEP_2) | instskip(NEXT) | instid1(VALU_DEP_1)
	v_cndmask_b32_e64 v23, v2, 0x70, vcc_lo
	v_dual_cndmask_b32 v4, v4, v0, vcc_lo :: v_dual_add_nc_u32 v2, 21, v23
	v_add_nc_u32_e32 v25, 20, v23
	s_delay_alu instid0(VALU_DEP_2) | instskip(NEXT) | instid1(VALU_DEP_2)
	v_lshlrev_b64_e64 v[2:3], v2, -1
	v_lshlrev_b64_e64 v[28:29], v25, 1
	s_delay_alu instid0(VALU_DEP_2) | instskip(NEXT) | instid1(VALU_DEP_3)
	v_bfi_b32 v31, v3, 0, 0
	v_bfi_b32 v30, v2, 0, v4
	v_lshrrev_b64 v[2:3], v23, v[4:5]
	s_delay_alu instid0(VALU_DEP_1) | instskip(NEXT) | instid1(VALU_DEP_3)
	v_mov_b64_e32 v[4:5], v[2:3]
	v_cmpx_eq_u64_e64 v[30:31], v[28:29]
; %bb.4885:                             ;   in Loop: Header=BB6_4623 Depth=2
	v_bfe_u32 v4, v2, 21, 1
	v_mov_b32_e32 v5, v1
	s_delay_alu instid0(VALU_DEP_1) | instskip(NEXT) | instid1(VALU_DEP_1)
	v_add_nc_u64_e32 v[4:5], v[2:3], v[4:5]
	v_add_nc_u64_e32 v[4:5], -1, v[4:5]
; %bb.4886:                             ;   in Loop: Header=BB6_4623 Depth=2
	s_or_b32 exec_lo, exec_lo, s44
	v_add_nc_u32_e32 v0, 0xffffff81, v11
	s_delay_alu instid0(VALU_DEP_2) | instskip(SKIP_2) | instid1(VALU_DEP_3)
	v_and_b32_e32 v4, 0x1fffff, v4
	v_lshrrev_b32_e32 v3, 23, v2
	s_mov_b32 s11, exec_lo
	v_cndmask_b32_e64 v0, v0, 0xffffff82, vcc_lo
	s_delay_alu instid0(VALU_DEP_1) | instskip(SKIP_1) | instid1(VALU_DEP_2)
	v_add3_u32 v5, v23, v0, v3
	v_add_nc_u32_e32 v0, v4, v2
                                        ; implicit-def: $vgpr2_vgpr3
                                        ; implicit-def: $vgpr4
	v_add_nc_u32_e32 v11, 14, v5
	s_delay_alu instid0(VALU_DEP_1)
	v_cmpx_ne_u32_e32 0, v11
	s_xor_b32 s11, exec_lo, s11
; %bb.4887:                             ;   in Loop: Header=BB6_4623 Depth=2
	s_delay_alu instid0(VALU_DEP_3) | instskip(SKIP_1) | instid1(VALU_DEP_1)
	v_cmp_lt_u64_e32 vcc_lo, 0xffffff, v[0:1]
	v_add_nc_u32_e32 v2, 15, v5
	v_cndmask_b32_e32 v4, v11, v2, vcc_lo
	v_cndmask_b32_e64 v2, 0, 1, vcc_lo
	s_delay_alu instid0(VALU_DEP_1)
	v_lshrrev_b64 v[2:3], v2, v[0:1]
; %bb.4888:                             ;   in Loop: Header=BB6_4623 Depth=2
	s_and_not1_saveexec_b32 s11, s11
; %bb.4889:                             ;   in Loop: Header=BB6_4623 Depth=2
	v_mov_b64_e32 v[2:3], v[0:1]
	v_bfe_u32 v4, v0, 23, 1
; %bb.4890:                             ;   in Loop: Header=BB6_4623 Depth=2
	s_or_b32 exec_lo, exec_lo, s11
	s_delay_alu instid0(VALU_DEP_2) | instskip(NEXT) | instid1(VALU_DEP_2)
	v_lshrrev_b64 v[2:3], 21, v[2:3]
	v_cmp_gt_i32_e32 vcc_lo, 32, v4
	v_min_i32_e32 v0, 31, v4
	v_cmp_eq_u32_e64 s11, 0, v4
	s_delay_alu instid0(VALU_DEP_2) | instskip(SKIP_1) | instid1(VALU_DEP_2)
	v_dual_cndmask_b32 v3, 0, v3 :: v_dual_lshlrev_b32 v0, 2, v0
	v_cndmask_b32_e32 v2, 3, v2, vcc_lo
	v_and_b32_e32 v0, 0xfc, v0
	s_delay_alu instid0(VALU_DEP_2) | instskip(NEXT) | instid1(VALU_DEP_2)
	v_cmp_eq_u64_e32 vcc_lo, 0, v[2:3]
	v_and_or_b32 v0, v2, 3, v0
	s_and_b32 s11, s11, vcc_lo
	s_delay_alu instid0(VALU_DEP_1) | instid1(SALU_CYCLE_1)
	v_cndmask_b32_e64 v0, v0, 0, s11
	s_delay_alu instid0(VALU_DEP_1)
	v_or_b32_e32 v25, v0, v10
.LBB6_4891:                             ;   in Loop: Header=BB6_4623 Depth=2
	s_or_b32 exec_lo, exec_lo, s43
                                        ; implicit-def: $vgpr10
.LBB6_4892:                             ;   in Loop: Header=BB6_4623 Depth=2
	s_and_not1_saveexec_b32 s11, s42
; %bb.4893:                             ;   in Loop: Header=BB6_4623 Depth=2
	v_or_b32_e32 v25, 0x7b, v10
; %bb.4894:                             ;   in Loop: Header=BB6_4623 Depth=2
	s_or_b32 exec_lo, exec_lo, s11
                                        ; implicit-def: $vgpr2
                                        ; implicit-def: $vgpr3
.LBB6_4895:                             ;   in Loop: Header=BB6_4623 Depth=2
	s_and_not1_saveexec_b32 s11, s41
	s_cbranch_execz .LBB6_4901
; %bb.4896:                             ;   in Loop: Header=BB6_4623 Depth=2
	s_mov_b32 s41, exec_lo
                                        ; implicit-def: $vgpr25
	v_cmpx_ne_u64_e32 0, v[0:1]
	s_xor_b32 s41, exec_lo, s41
; %bb.4897:                             ;   in Loop: Header=BB6_4623 Depth=2
	v_or_b32_e32 v25, 0x7f, v3
                                        ; implicit-def: $vgpr2
; %bb.4898:                             ;   in Loop: Header=BB6_4623 Depth=2
	s_and_not1_saveexec_b32 s41, s41
; %bb.4899:                             ;   in Loop: Header=BB6_4623 Depth=2
	v_cmp_lt_i32_e32 vcc_lo, -1, v2
	v_mov_b32_e32 v0, 0x7c
	s_delay_alu instid0(VALU_DEP_1)
	v_cndmask_b32_e32 v25, 0xfc, v0, vcc_lo
; %bb.4900:                             ;   in Loop: Header=BB6_4623 Depth=2
	s_or_b32 exec_lo, exec_lo, s41
.LBB6_4901:                             ;   in Loop: Header=BB6_4623 Depth=2
	s_delay_alu instid0(SALU_CYCLE_1) | instskip(SKIP_3) | instid1(VALU_DEP_2)
	s_or_b32 exec_lo, exec_lo, s11
	v_lshrrev_b16 v2, 8, v12
	v_mov_b32_e32 v3, 0
	s_mov_b32 s11, exec_lo
	v_cmpx_ne_u16_e32 0, v2
	s_cbranch_execz .LBB6_4911
; %bb.4902:                             ;   in Loop: Header=BB6_4623 Depth=2
	v_bfrev_b32_e32 v3, 1
	s_mov_b32 s41, exec_lo
	v_cmpx_ne_u16_e32 0x80, v2
	s_cbranch_execz .LBB6_4910
; %bb.4903:                             ;   in Loop: Header=BB6_4623 Depth=2
	v_and_b32_e32 v4, 0xffff, v2
	s_delay_alu instid0(VALU_DEP_1) | instskip(SKIP_1) | instid1(VALU_DEP_2)
	v_and_b32_e32 v3, 0x7c, v4
	v_and_b32_e32 v0, 3, v4
	v_cmp_ne_u32_e32 vcc_lo, 0x7c, v3
                                        ; implicit-def: $vgpr3
	s_and_saveexec_b32 s42, vcc_lo
	s_delay_alu instid0(SALU_CYCLE_1)
	s_xor_b32 s42, exec_lo, s42
	s_cbranch_execz .LBB6_4907
; %bb.4904:                             ;   in Loop: Header=BB6_4623 Depth=2
	v_bfe_u32 v3, v4, 2, 5
	s_mov_b32 s43, exec_lo
	s_delay_alu instid0(VALU_DEP_1)
	v_cmpx_eq_u32_e32 0, v3
; %bb.4905:                             ;   in Loop: Header=BB6_4623 Depth=2
	v_clz_i32_u32_e32 v0, v0
	v_mov_b32_e32 v3, v1
	s_delay_alu instid0(VALU_DEP_2) | instskip(NEXT) | instid1(VALU_DEP_1)
	v_min_u32_e32 v0, 32, v0
	v_subrev_nc_u32_e32 v4, 29, v0
	s_delay_alu instid0(VALU_DEP_1) | instskip(NEXT) | instid1(VALU_DEP_1)
	v_lshlrev_b64_e32 v[2:3], v4, v[2:3]
	v_dual_sub_nc_u32 v3, 30, v0 :: v_dual_bitop2_b32 v0, 3, v2 bitop3:0x40
; %bb.4906:                             ;   in Loop: Header=BB6_4623 Depth=2
	s_or_b32 exec_lo, exec_lo, s43
	v_lshlrev_b32_e32 v2, 16, v12
	s_delay_alu instid0(VALU_DEP_1) | instskip(NEXT) | instid1(VALU_DEP_1)
	v_and_b32_e32 v2, 0x80000000, v2
	v_lshl_add_u32 v2, v3, 23, v2
	s_delay_alu instid0(VALU_DEP_1) | instskip(NEXT) | instid1(VALU_DEP_1)
	v_lshl_or_b32 v0, v0, 21, v2
	v_add_nc_u32_e32 v3, 0x38000000, v0
                                        ; implicit-def: $vgpr0
.LBB6_4907:                             ;   in Loop: Header=BB6_4623 Depth=2
	s_and_not1_saveexec_b32 s42, s42
; %bb.4908:                             ;   in Loop: Header=BB6_4623 Depth=2
	v_cmp_lt_i16_e32 vcc_lo, -1, v12
	v_mov_b32_e32 v2, 0x7f800000
	s_delay_alu instid0(VALU_DEP_1) | instskip(SKIP_1) | instid1(VALU_DEP_2)
	v_cndmask_b32_e32 v2, 0xff800000, v2, vcc_lo
	v_cmp_eq_u32_e32 vcc_lo, 0, v0
	v_cndmask_b32_e32 v3, 0x7f800001, v2, vcc_lo
; %bb.4909:                             ;   in Loop: Header=BB6_4623 Depth=2
	s_or_b32 exec_lo, exec_lo, s42
.LBB6_4910:                             ;   in Loop: Header=BB6_4623 Depth=2
	s_delay_alu instid0(SALU_CYCLE_1)
	s_or_b32 exec_lo, exec_lo, s41
.LBB6_4911:                             ;   in Loop: Header=BB6_4623 Depth=2
	s_delay_alu instid0(SALU_CYCLE_1) | instskip(NEXT) | instid1(VALU_DEP_1)
	s_or_b32 exec_lo, exec_lo, s11
	v_dual_mul_f32 v2, s40, v3 :: v_dual_mov_b32 v5, v1
                                        ; implicit-def: $vgpr29
	s_mov_b32 s11, exec_lo
	s_delay_alu instid0(VALU_DEP_1) | instskip(SKIP_2) | instid1(VALU_DEP_3)
	v_and_b32_e32 v4, 0x7f800000, v2
	v_and_b32_e32 v0, 0x7fffff, v2
	v_lshrrev_b32_e32 v3, 24, v2
	v_cmpx_ne_u64_e32 0x7f800000, v[4:5]
	s_xor_b32 s41, exec_lo, s11
	s_cbranch_execz .LBB6_4925
; %bb.4912:                             ;   in Loop: Header=BB6_4623 Depth=2
	v_and_b32_e32 v4, 0x7fffffff, v2
	v_mov_b32_e32 v5, v1
	v_and_b32_e32 v10, 0x80, v3
                                        ; implicit-def: $vgpr29
	s_mov_b32 s11, exec_lo
	s_delay_alu instid0(VALU_DEP_2)
	v_cmpx_gt_u64_e32 0x47600001, v[4:5]
	s_xor_b32 s42, exec_lo, s11
	s_cbranch_execz .LBB6_4922
; %bb.4913:                             ;   in Loop: Header=BB6_4623 Depth=2
	v_mov_b32_e32 v29, 0
	s_mov_b32 s43, exec_lo
	v_cmpx_ne_u32_e32 0, v2
	s_cbranch_execz .LBB6_4921
; %bb.4914:                             ;   in Loop: Header=BB6_4623 Depth=2
	v_bfe_u32 v11, v2, 23, 8
	v_or_b32_e32 v4, 0x800000, v0
	s_mov_b32 s44, exec_lo
	s_delay_alu instid0(VALU_DEP_2) | instskip(SKIP_1) | instid1(VALU_DEP_2)
	v_dual_mov_b32 v5, v1 :: v_dual_sub_nc_u32 v2, 0x71, v11
	v_cmp_gt_u32_e32 vcc_lo, 0x72, v11
	v_cndmask_b32_e32 v2, 0, v2, vcc_lo
	v_cmp_eq_u32_e32 vcc_lo, 0, v11
	s_delay_alu instid0(VALU_DEP_2) | instskip(NEXT) | instid1(VALU_DEP_1)
	v_cndmask_b32_e64 v23, v2, 0x70, vcc_lo
	v_dual_cndmask_b32 v4, v4, v0, vcc_lo :: v_dual_add_nc_u32 v2, 21, v23
	v_add_nc_u32_e32 v26, 20, v23
	s_delay_alu instid0(VALU_DEP_2) | instskip(NEXT) | instid1(VALU_DEP_2)
	v_lshlrev_b64_e64 v[2:3], v2, -1
	v_lshlrev_b64_e64 v[28:29], v26, 1
	s_delay_alu instid0(VALU_DEP_2) | instskip(NEXT) | instid1(VALU_DEP_3)
	v_bfi_b32 v31, v3, 0, 0
	v_bfi_b32 v30, v2, 0, v4
	v_lshrrev_b64 v[2:3], v23, v[4:5]
	s_delay_alu instid0(VALU_DEP_1) | instskip(NEXT) | instid1(VALU_DEP_3)
	v_mov_b64_e32 v[4:5], v[2:3]
	v_cmpx_eq_u64_e64 v[30:31], v[28:29]
; %bb.4915:                             ;   in Loop: Header=BB6_4623 Depth=2
	v_bfe_u32 v4, v2, 21, 1
	v_mov_b32_e32 v5, v1
	s_delay_alu instid0(VALU_DEP_1) | instskip(NEXT) | instid1(VALU_DEP_1)
	v_add_nc_u64_e32 v[4:5], v[2:3], v[4:5]
	v_add_nc_u64_e32 v[4:5], -1, v[4:5]
; %bb.4916:                             ;   in Loop: Header=BB6_4623 Depth=2
	s_or_b32 exec_lo, exec_lo, s44
	v_add_nc_u32_e32 v0, 0xffffff81, v11
	s_delay_alu instid0(VALU_DEP_2) | instskip(SKIP_2) | instid1(VALU_DEP_3)
	v_and_b32_e32 v4, 0x1fffff, v4
	v_lshrrev_b32_e32 v3, 23, v2
	s_mov_b32 s11, exec_lo
	v_cndmask_b32_e64 v0, v0, 0xffffff82, vcc_lo
	s_delay_alu instid0(VALU_DEP_1) | instskip(SKIP_1) | instid1(VALU_DEP_2)
	v_add3_u32 v5, v23, v0, v3
	v_add_nc_u32_e32 v0, v4, v2
                                        ; implicit-def: $vgpr2_vgpr3
                                        ; implicit-def: $vgpr4
	v_add_nc_u32_e32 v11, 14, v5
	s_delay_alu instid0(VALU_DEP_1)
	v_cmpx_ne_u32_e32 0, v11
	s_xor_b32 s11, exec_lo, s11
; %bb.4917:                             ;   in Loop: Header=BB6_4623 Depth=2
	s_delay_alu instid0(VALU_DEP_3) | instskip(SKIP_1) | instid1(VALU_DEP_1)
	v_cmp_lt_u64_e32 vcc_lo, 0xffffff, v[0:1]
	v_add_nc_u32_e32 v2, 15, v5
	v_cndmask_b32_e32 v4, v11, v2, vcc_lo
	v_cndmask_b32_e64 v2, 0, 1, vcc_lo
	s_delay_alu instid0(VALU_DEP_1)
	v_lshrrev_b64 v[2:3], v2, v[0:1]
; %bb.4918:                             ;   in Loop: Header=BB6_4623 Depth=2
	s_and_not1_saveexec_b32 s11, s11
; %bb.4919:                             ;   in Loop: Header=BB6_4623 Depth=2
	v_mov_b64_e32 v[2:3], v[0:1]
	v_bfe_u32 v4, v0, 23, 1
; %bb.4920:                             ;   in Loop: Header=BB6_4623 Depth=2
	s_or_b32 exec_lo, exec_lo, s11
	s_delay_alu instid0(VALU_DEP_2) | instskip(NEXT) | instid1(VALU_DEP_2)
	v_lshrrev_b64 v[2:3], 21, v[2:3]
	v_cmp_gt_i32_e32 vcc_lo, 32, v4
	v_min_i32_e32 v0, 31, v4
	v_cmp_eq_u32_e64 s11, 0, v4
	s_delay_alu instid0(VALU_DEP_2) | instskip(SKIP_1) | instid1(VALU_DEP_2)
	v_dual_cndmask_b32 v3, 0, v3 :: v_dual_lshlrev_b32 v0, 2, v0
	v_cndmask_b32_e32 v2, 3, v2, vcc_lo
	v_and_b32_e32 v0, 0xfc, v0
	s_delay_alu instid0(VALU_DEP_2) | instskip(NEXT) | instid1(VALU_DEP_2)
	v_cmp_eq_u64_e32 vcc_lo, 0, v[2:3]
	v_and_or_b32 v0, v2, 3, v0
	s_and_b32 s11, s11, vcc_lo
	s_delay_alu instid0(VALU_DEP_1) | instid1(SALU_CYCLE_1)
	v_cndmask_b32_e64 v0, v0, 0, s11
	s_delay_alu instid0(VALU_DEP_1)
	v_or_b32_e32 v29, v0, v10
.LBB6_4921:                             ;   in Loop: Header=BB6_4623 Depth=2
	s_or_b32 exec_lo, exec_lo, s43
                                        ; implicit-def: $vgpr10
.LBB6_4922:                             ;   in Loop: Header=BB6_4623 Depth=2
	s_and_not1_saveexec_b32 s11, s42
; %bb.4923:                             ;   in Loop: Header=BB6_4623 Depth=2
	v_or_b32_e32 v29, 0x7b, v10
; %bb.4924:                             ;   in Loop: Header=BB6_4623 Depth=2
	s_or_b32 exec_lo, exec_lo, s11
                                        ; implicit-def: $vgpr2
                                        ; implicit-def: $vgpr3
.LBB6_4925:                             ;   in Loop: Header=BB6_4623 Depth=2
	s_and_not1_saveexec_b32 s11, s41
	s_cbranch_execz .LBB6_4931
; %bb.4926:                             ;   in Loop: Header=BB6_4623 Depth=2
	s_mov_b32 s41, exec_lo
                                        ; implicit-def: $vgpr29
	v_cmpx_ne_u64_e32 0, v[0:1]
	s_xor_b32 s41, exec_lo, s41
; %bb.4927:                             ;   in Loop: Header=BB6_4623 Depth=2
	v_or_b32_e32 v29, 0x7f, v3
                                        ; implicit-def: $vgpr2
; %bb.4928:                             ;   in Loop: Header=BB6_4623 Depth=2
	s_and_not1_saveexec_b32 s41, s41
; %bb.4929:                             ;   in Loop: Header=BB6_4623 Depth=2
	v_cmp_lt_i32_e32 vcc_lo, -1, v2
	v_mov_b32_e32 v0, 0x7c
	s_delay_alu instid0(VALU_DEP_1)
	v_cndmask_b32_e32 v29, 0xfc, v0, vcc_lo
; %bb.4930:                             ;   in Loop: Header=BB6_4623 Depth=2
	s_or_b32 exec_lo, exec_lo, s41
.LBB6_4931:                             ;   in Loop: Header=BB6_4623 Depth=2
	s_delay_alu instid0(SALU_CYCLE_1) | instskip(SKIP_2) | instid1(VALU_DEP_1)
	s_or_b32 exec_lo, exec_lo, s11
	v_dual_lshrrev_b32 v0, 16, v12 :: v_dual_mov_b32 v2, 0
	s_mov_b32 s11, exec_lo
	v_and_b32_e32 v3, 0xff, v0
	s_delay_alu instid0(VALU_DEP_1)
	v_cmpx_ne_u16_e32 0, v3
	s_cbranch_execz .LBB6_4941
; %bb.4932:                             ;   in Loop: Header=BB6_4623 Depth=2
	v_bfrev_b32_e32 v2, 1
	s_mov_b32 s41, exec_lo
	v_cmpx_ne_u16_e32 0x80, v3
	s_cbranch_execz .LBB6_4940
; %bb.4933:                             ;   in Loop: Header=BB6_4623 Depth=2
	v_and_b32_e32 v2, 0x7c0000, v12
	v_bfe_u32 v3, v12, 16, 2
	s_delay_alu instid0(VALU_DEP_2) | instskip(SKIP_1) | instid1(SALU_CYCLE_1)
	v_cmp_ne_u32_e32 vcc_lo, 0x7c0000, v2
                                        ; implicit-def: $vgpr2
	s_and_saveexec_b32 s42, vcc_lo
	s_xor_b32 s42, exec_lo, s42
	s_cbranch_execz .LBB6_4937
; %bb.4934:                             ;   in Loop: Header=BB6_4623 Depth=2
	v_bfe_u32 v2, v12, 18, 5
	s_mov_b32 s43, exec_lo
	s_delay_alu instid0(VALU_DEP_1)
	v_cmpx_eq_u32_e32 0, v2
; %bb.4935:                             ;   in Loop: Header=BB6_4623 Depth=2
	v_clz_i32_u32_e32 v2, v3
	s_delay_alu instid0(VALU_DEP_1) | instskip(NEXT) | instid1(VALU_DEP_1)
	v_min_u32_e32 v2, 32, v2
	v_subrev_nc_u32_e32 v3, 29, v2
	s_delay_alu instid0(VALU_DEP_1) | instskip(NEXT) | instid1(VALU_DEP_1)
	v_lshlrev_b64_e32 v[4:5], v3, v[0:1]
	v_dual_sub_nc_u32 v2, 30, v2 :: v_dual_bitop2_b32 v3, 3, v4 bitop3:0x40
; %bb.4936:                             ;   in Loop: Header=BB6_4623 Depth=2
	s_or_b32 exec_lo, exec_lo, s43
	v_lshlrev_b32_e32 v0, 24, v0
	s_delay_alu instid0(VALU_DEP_1) | instskip(NEXT) | instid1(VALU_DEP_1)
	v_and_b32_e32 v0, 0x80000000, v0
	v_lshl_add_u32 v0, v2, 23, v0
	s_delay_alu instid0(VALU_DEP_1) | instskip(NEXT) | instid1(VALU_DEP_1)
	v_lshl_or_b32 v0, v3, 21, v0
                                        ; implicit-def: $vgpr3
	v_add_nc_u32_e32 v2, 0x38000000, v0
                                        ; implicit-def: $vgpr0
.LBB6_4937:                             ;   in Loop: Header=BB6_4623 Depth=2
	s_and_not1_saveexec_b32 s42, s42
; %bb.4938:                             ;   in Loop: Header=BB6_4623 Depth=2
	v_bfe_i32 v0, v0, 0, 8
	s_delay_alu instid0(VALU_DEP_1) | instskip(SKIP_1) | instid1(VALU_DEP_1)
	v_cmp_lt_i16_e32 vcc_lo, -1, v0
	v_mov_b32_e32 v0, 0x7f800000
	v_cndmask_b32_e32 v0, 0xff800000, v0, vcc_lo
	v_cmp_eq_u32_e32 vcc_lo, 0, v3
	s_delay_alu instid0(VALU_DEP_2)
	v_cndmask_b32_e32 v2, 0x7f800001, v0, vcc_lo
; %bb.4939:                             ;   in Loop: Header=BB6_4623 Depth=2
	s_or_b32 exec_lo, exec_lo, s42
.LBB6_4940:                             ;   in Loop: Header=BB6_4623 Depth=2
	s_delay_alu instid0(SALU_CYCLE_1)
	s_or_b32 exec_lo, exec_lo, s41
.LBB6_4941:                             ;   in Loop: Header=BB6_4623 Depth=2
	s_delay_alu instid0(SALU_CYCLE_1) | instskip(NEXT) | instid1(VALU_DEP_1)
	s_or_b32 exec_lo, exec_lo, s11
	v_dual_mul_f32 v2, s40, v2 :: v_dual_mov_b32 v5, v1
                                        ; implicit-def: $vgpr32
	s_mov_b32 s11, exec_lo
	s_delay_alu instid0(VALU_DEP_1) | instskip(SKIP_2) | instid1(VALU_DEP_3)
	v_and_b32_e32 v4, 0x7f800000, v2
	v_and_b32_e32 v0, 0x7fffff, v2
	v_lshrrev_b32_e32 v3, 24, v2
	v_cmpx_ne_u64_e32 0x7f800000, v[4:5]
	s_xor_b32 s41, exec_lo, s11
	s_cbranch_execz .LBB6_4955
; %bb.4942:                             ;   in Loop: Header=BB6_4623 Depth=2
	v_and_b32_e32 v4, 0x7fffffff, v2
	v_mov_b32_e32 v5, v1
	v_and_b32_e32 v10, 0x80, v3
                                        ; implicit-def: $vgpr32
	s_mov_b32 s11, exec_lo
	s_delay_alu instid0(VALU_DEP_2)
	v_cmpx_gt_u64_e32 0x47600001, v[4:5]
	s_xor_b32 s42, exec_lo, s11
	s_cbranch_execz .LBB6_4952
; %bb.4943:                             ;   in Loop: Header=BB6_4623 Depth=2
	v_mov_b32_e32 v32, 0
	s_mov_b32 s43, exec_lo
	v_cmpx_ne_u32_e32 0, v2
	s_cbranch_execz .LBB6_4951
; %bb.4944:                             ;   in Loop: Header=BB6_4623 Depth=2
	v_bfe_u32 v11, v2, 23, 8
	v_or_b32_e32 v4, 0x800000, v0
	s_mov_b32 s44, exec_lo
	s_delay_alu instid0(VALU_DEP_2) | instskip(SKIP_1) | instid1(VALU_DEP_2)
	v_dual_mov_b32 v5, v1 :: v_dual_sub_nc_u32 v2, 0x71, v11
	v_cmp_gt_u32_e32 vcc_lo, 0x72, v11
	v_cndmask_b32_e32 v2, 0, v2, vcc_lo
	v_cmp_eq_u32_e32 vcc_lo, 0, v11
	s_delay_alu instid0(VALU_DEP_2) | instskip(NEXT) | instid1(VALU_DEP_1)
	v_cndmask_b32_e64 v23, v2, 0x70, vcc_lo
	v_dual_cndmask_b32 v4, v4, v0, vcc_lo :: v_dual_add_nc_u32 v2, 21, v23
	v_add_nc_u32_e32 v26, 20, v23
	s_delay_alu instid0(VALU_DEP_2) | instskip(NEXT) | instid1(VALU_DEP_2)
	v_lshlrev_b64_e64 v[2:3], v2, -1
	v_lshlrev_b64_e64 v[30:31], v26, 1
	s_delay_alu instid0(VALU_DEP_2) | instskip(NEXT) | instid1(VALU_DEP_3)
	v_bfi_b32 v39, v3, 0, 0
	v_bfi_b32 v38, v2, 0, v4
	v_lshrrev_b64 v[2:3], v23, v[4:5]
	s_delay_alu instid0(VALU_DEP_1) | instskip(NEXT) | instid1(VALU_DEP_3)
	v_mov_b64_e32 v[4:5], v[2:3]
	v_cmpx_eq_u64_e64 v[38:39], v[30:31]
; %bb.4945:                             ;   in Loop: Header=BB6_4623 Depth=2
	v_bfe_u32 v4, v2, 21, 1
	v_mov_b32_e32 v5, v1
	s_delay_alu instid0(VALU_DEP_1) | instskip(NEXT) | instid1(VALU_DEP_1)
	v_add_nc_u64_e32 v[4:5], v[2:3], v[4:5]
	v_add_nc_u64_e32 v[4:5], -1, v[4:5]
; %bb.4946:                             ;   in Loop: Header=BB6_4623 Depth=2
	s_or_b32 exec_lo, exec_lo, s44
	v_add_nc_u32_e32 v0, 0xffffff81, v11
	s_delay_alu instid0(VALU_DEP_2) | instskip(SKIP_2) | instid1(VALU_DEP_3)
	v_and_b32_e32 v4, 0x1fffff, v4
	v_lshrrev_b32_e32 v3, 23, v2
	s_mov_b32 s11, exec_lo
	v_cndmask_b32_e64 v0, v0, 0xffffff82, vcc_lo
	s_delay_alu instid0(VALU_DEP_1) | instskip(SKIP_1) | instid1(VALU_DEP_2)
	v_add3_u32 v5, v23, v0, v3
	v_add_nc_u32_e32 v0, v4, v2
                                        ; implicit-def: $vgpr2_vgpr3
                                        ; implicit-def: $vgpr4
	v_add_nc_u32_e32 v11, 14, v5
	s_delay_alu instid0(VALU_DEP_1)
	v_cmpx_ne_u32_e32 0, v11
	s_xor_b32 s11, exec_lo, s11
; %bb.4947:                             ;   in Loop: Header=BB6_4623 Depth=2
	s_delay_alu instid0(VALU_DEP_3) | instskip(SKIP_1) | instid1(VALU_DEP_1)
	v_cmp_lt_u64_e32 vcc_lo, 0xffffff, v[0:1]
	v_add_nc_u32_e32 v2, 15, v5
	v_cndmask_b32_e32 v4, v11, v2, vcc_lo
	v_cndmask_b32_e64 v2, 0, 1, vcc_lo
	s_delay_alu instid0(VALU_DEP_1)
	v_lshrrev_b64 v[2:3], v2, v[0:1]
; %bb.4948:                             ;   in Loop: Header=BB6_4623 Depth=2
	s_and_not1_saveexec_b32 s11, s11
; %bb.4949:                             ;   in Loop: Header=BB6_4623 Depth=2
	v_mov_b64_e32 v[2:3], v[0:1]
	v_bfe_u32 v4, v0, 23, 1
; %bb.4950:                             ;   in Loop: Header=BB6_4623 Depth=2
	s_or_b32 exec_lo, exec_lo, s11
	s_delay_alu instid0(VALU_DEP_2) | instskip(NEXT) | instid1(VALU_DEP_2)
	v_lshrrev_b64 v[2:3], 21, v[2:3]
	v_cmp_gt_i32_e32 vcc_lo, 32, v4
	v_min_i32_e32 v0, 31, v4
	v_cmp_eq_u32_e64 s11, 0, v4
	s_delay_alu instid0(VALU_DEP_2) | instskip(SKIP_1) | instid1(VALU_DEP_2)
	v_dual_cndmask_b32 v3, 0, v3 :: v_dual_lshlrev_b32 v0, 2, v0
	v_cndmask_b32_e32 v2, 3, v2, vcc_lo
	v_and_b32_e32 v0, 0xfc, v0
	s_delay_alu instid0(VALU_DEP_2) | instskip(NEXT) | instid1(VALU_DEP_2)
	v_cmp_eq_u64_e32 vcc_lo, 0, v[2:3]
	v_and_or_b32 v0, v2, 3, v0
	s_and_b32 s11, s11, vcc_lo
	s_delay_alu instid0(VALU_DEP_1) | instid1(SALU_CYCLE_1)
	v_cndmask_b32_e64 v0, v0, 0, s11
	s_delay_alu instid0(VALU_DEP_1)
	v_or_b32_e32 v32, v0, v10
.LBB6_4951:                             ;   in Loop: Header=BB6_4623 Depth=2
	s_or_b32 exec_lo, exec_lo, s43
                                        ; implicit-def: $vgpr10
.LBB6_4952:                             ;   in Loop: Header=BB6_4623 Depth=2
	s_and_not1_saveexec_b32 s11, s42
; %bb.4953:                             ;   in Loop: Header=BB6_4623 Depth=2
	v_or_b32_e32 v32, 0x7b, v10
; %bb.4954:                             ;   in Loop: Header=BB6_4623 Depth=2
	s_or_b32 exec_lo, exec_lo, s11
                                        ; implicit-def: $vgpr2
                                        ; implicit-def: $vgpr3
.LBB6_4955:                             ;   in Loop: Header=BB6_4623 Depth=2
	s_and_not1_saveexec_b32 s11, s41
	s_cbranch_execz .LBB6_4961
; %bb.4956:                             ;   in Loop: Header=BB6_4623 Depth=2
	s_mov_b32 s41, exec_lo
                                        ; implicit-def: $vgpr32
	v_cmpx_ne_u64_e32 0, v[0:1]
	s_xor_b32 s41, exec_lo, s41
; %bb.4957:                             ;   in Loop: Header=BB6_4623 Depth=2
	v_or_b32_e32 v32, 0x7f, v3
                                        ; implicit-def: $vgpr2
; %bb.4958:                             ;   in Loop: Header=BB6_4623 Depth=2
	s_and_not1_saveexec_b32 s41, s41
; %bb.4959:                             ;   in Loop: Header=BB6_4623 Depth=2
	v_cmp_lt_i32_e32 vcc_lo, -1, v2
	v_mov_b32_e32 v0, 0x7c
	s_delay_alu instid0(VALU_DEP_1)
	v_cndmask_b32_e32 v32, 0xfc, v0, vcc_lo
; %bb.4960:                             ;   in Loop: Header=BB6_4623 Depth=2
	s_or_b32 exec_lo, exec_lo, s41
.LBB6_4961:                             ;   in Loop: Header=BB6_4623 Depth=2
	s_delay_alu instid0(SALU_CYCLE_1)
	s_or_b32 exec_lo, exec_lo, s11
	v_mov_b32_e32 v2, 0
	s_mov_b32 s11, exec_lo
	v_cmpx_lt_u32_e32 0xffffff, v12
	s_cbranch_execz .LBB6_4971
; %bb.4962:                             ;   in Loop: Header=BB6_4623 Depth=2
	v_lshrrev_b32_e32 v0, 24, v12
	v_bfrev_b32_e32 v2, 1
	s_mov_b32 s41, exec_lo
	s_delay_alu instid0(VALU_DEP_2)
	v_cmpx_ne_u32_e32 0x80, v0
	s_cbranch_execz .LBB6_4970
; %bb.4963:                             ;   in Loop: Header=BB6_4623 Depth=2
	v_and_b32_e32 v2, 0x7c000000, v12
	v_bfe_u32 v3, v12, 24, 2
	s_delay_alu instid0(VALU_DEP_2) | instskip(SKIP_1) | instid1(SALU_CYCLE_1)
	v_cmp_ne_u32_e32 vcc_lo, 0x7c000000, v2
                                        ; implicit-def: $vgpr2
	s_and_saveexec_b32 s42, vcc_lo
	s_xor_b32 s42, exec_lo, s42
	s_cbranch_execz .LBB6_4967
; %bb.4964:                             ;   in Loop: Header=BB6_4623 Depth=2
	v_bfe_u32 v2, v12, 26, 5
	s_mov_b32 s43, exec_lo
	s_delay_alu instid0(VALU_DEP_1)
	v_cmpx_eq_u32_e32 0, v2
; %bb.4965:                             ;   in Loop: Header=BB6_4623 Depth=2
	v_clz_i32_u32_e32 v2, v3
	s_delay_alu instid0(VALU_DEP_1) | instskip(NEXT) | instid1(VALU_DEP_1)
	v_min_u32_e32 v2, 32, v2
	v_subrev_nc_u32_e32 v3, 29, v2
	s_delay_alu instid0(VALU_DEP_1) | instskip(NEXT) | instid1(VALU_DEP_1)
	v_lshlrev_b64_e32 v[4:5], v3, v[0:1]
	v_dual_sub_nc_u32 v2, 30, v2 :: v_dual_bitop2_b32 v3, 3, v4 bitop3:0x40
; %bb.4966:                             ;   in Loop: Header=BB6_4623 Depth=2
	s_or_b32 exec_lo, exec_lo, s43
	v_and_b32_e32 v0, 0x80000000, v12
	s_delay_alu instid0(VALU_DEP_1) | instskip(NEXT) | instid1(VALU_DEP_1)
	v_lshl_add_u32 v0, v2, 23, v0
	v_lshl_or_b32 v0, v3, 21, v0
                                        ; implicit-def: $vgpr3
	s_delay_alu instid0(VALU_DEP_1)
	v_add_nc_u32_e32 v2, 0x38000000, v0
.LBB6_4967:                             ;   in Loop: Header=BB6_4623 Depth=2
	s_and_not1_saveexec_b32 s42, s42
; %bb.4968:                             ;   in Loop: Header=BB6_4623 Depth=2
	v_cmp_lt_i32_e32 vcc_lo, -1, v12
	v_mov_b32_e32 v0, 0x7f800000
	s_delay_alu instid0(VALU_DEP_1) | instskip(SKIP_1) | instid1(VALU_DEP_2)
	v_cndmask_b32_e32 v0, 0xff800000, v0, vcc_lo
	v_cmp_eq_u32_e32 vcc_lo, 0, v3
	v_cndmask_b32_e32 v2, 0x7f800001, v0, vcc_lo
; %bb.4969:                             ;   in Loop: Header=BB6_4623 Depth=2
	s_or_b32 exec_lo, exec_lo, s42
.LBB6_4970:                             ;   in Loop: Header=BB6_4623 Depth=2
	s_delay_alu instid0(SALU_CYCLE_1)
	s_or_b32 exec_lo, exec_lo, s41
.LBB6_4971:                             ;   in Loop: Header=BB6_4623 Depth=2
	s_delay_alu instid0(SALU_CYCLE_1) | instskip(NEXT) | instid1(VALU_DEP_1)
	s_or_b32 exec_lo, exec_lo, s11
	v_dual_mul_f32 v2, s40, v2 :: v_dual_mov_b32 v5, v1
                                        ; implicit-def: $vgpr34
	s_mov_b32 s11, exec_lo
	s_delay_alu instid0(VALU_DEP_1) | instskip(SKIP_2) | instid1(VALU_DEP_3)
	v_and_b32_e32 v4, 0x7f800000, v2
	v_and_b32_e32 v0, 0x7fffff, v2
	v_lshrrev_b32_e32 v3, 24, v2
	v_cmpx_ne_u64_e32 0x7f800000, v[4:5]
	s_xor_b32 s41, exec_lo, s11
	s_cbranch_execz .LBB6_4985
; %bb.4972:                             ;   in Loop: Header=BB6_4623 Depth=2
	v_and_b32_e32 v4, 0x7fffffff, v2
	v_mov_b32_e32 v5, v1
	v_and_b32_e32 v10, 0x80, v3
                                        ; implicit-def: $vgpr34
	s_mov_b32 s11, exec_lo
	s_delay_alu instid0(VALU_DEP_2)
	v_cmpx_gt_u64_e32 0x47600001, v[4:5]
	s_xor_b32 s42, exec_lo, s11
	s_cbranch_execz .LBB6_4982
; %bb.4973:                             ;   in Loop: Header=BB6_4623 Depth=2
	v_mov_b32_e32 v34, 0
	s_mov_b32 s43, exec_lo
	v_cmpx_ne_u32_e32 0, v2
	s_cbranch_execz .LBB6_4981
; %bb.4974:                             ;   in Loop: Header=BB6_4623 Depth=2
	v_bfe_u32 v11, v2, 23, 8
	v_or_b32_e32 v4, 0x800000, v0
	s_mov_b32 s44, exec_lo
	s_delay_alu instid0(VALU_DEP_2) | instskip(SKIP_1) | instid1(VALU_DEP_2)
	v_dual_mov_b32 v5, v1 :: v_dual_sub_nc_u32 v2, 0x71, v11
	v_cmp_gt_u32_e32 vcc_lo, 0x72, v11
	v_cndmask_b32_e32 v2, 0, v2, vcc_lo
	v_cmp_eq_u32_e32 vcc_lo, 0, v11
	s_delay_alu instid0(VALU_DEP_2) | instskip(NEXT) | instid1(VALU_DEP_1)
	v_cndmask_b32_e64 v23, v2, 0x70, vcc_lo
	v_dual_cndmask_b32 v4, v4, v0, vcc_lo :: v_dual_add_nc_u32 v2, 21, v23
	v_add_nc_u32_e32 v26, 20, v23
	s_delay_alu instid0(VALU_DEP_2) | instskip(NEXT) | instid1(VALU_DEP_2)
	v_lshlrev_b64_e64 v[2:3], v2, -1
	v_lshlrev_b64_e64 v[30:31], v26, 1
	s_delay_alu instid0(VALU_DEP_2) | instskip(NEXT) | instid1(VALU_DEP_3)
	v_bfi_b32 v39, v3, 0, 0
	v_bfi_b32 v38, v2, 0, v4
	v_lshrrev_b64 v[2:3], v23, v[4:5]
	s_delay_alu instid0(VALU_DEP_1) | instskip(NEXT) | instid1(VALU_DEP_3)
	v_mov_b64_e32 v[4:5], v[2:3]
	v_cmpx_eq_u64_e64 v[38:39], v[30:31]
; %bb.4975:                             ;   in Loop: Header=BB6_4623 Depth=2
	v_bfe_u32 v4, v2, 21, 1
	v_mov_b32_e32 v5, v1
	s_delay_alu instid0(VALU_DEP_1) | instskip(NEXT) | instid1(VALU_DEP_1)
	v_add_nc_u64_e32 v[4:5], v[2:3], v[4:5]
	v_add_nc_u64_e32 v[4:5], -1, v[4:5]
; %bb.4976:                             ;   in Loop: Header=BB6_4623 Depth=2
	s_or_b32 exec_lo, exec_lo, s44
	v_add_nc_u32_e32 v0, 0xffffff81, v11
	s_delay_alu instid0(VALU_DEP_2) | instskip(SKIP_2) | instid1(VALU_DEP_3)
	v_and_b32_e32 v4, 0x1fffff, v4
	v_lshrrev_b32_e32 v3, 23, v2
	s_mov_b32 s11, exec_lo
	v_cndmask_b32_e64 v0, v0, 0xffffff82, vcc_lo
	s_delay_alu instid0(VALU_DEP_1) | instskip(SKIP_1) | instid1(VALU_DEP_2)
	v_add3_u32 v5, v23, v0, v3
	v_add_nc_u32_e32 v0, v4, v2
                                        ; implicit-def: $vgpr2_vgpr3
                                        ; implicit-def: $vgpr4
	v_add_nc_u32_e32 v11, 14, v5
	s_delay_alu instid0(VALU_DEP_1)
	v_cmpx_ne_u32_e32 0, v11
	s_xor_b32 s11, exec_lo, s11
; %bb.4977:                             ;   in Loop: Header=BB6_4623 Depth=2
	s_delay_alu instid0(VALU_DEP_3) | instskip(SKIP_1) | instid1(VALU_DEP_1)
	v_cmp_lt_u64_e32 vcc_lo, 0xffffff, v[0:1]
	v_add_nc_u32_e32 v2, 15, v5
	v_cndmask_b32_e32 v4, v11, v2, vcc_lo
	v_cndmask_b32_e64 v2, 0, 1, vcc_lo
	s_delay_alu instid0(VALU_DEP_1)
	v_lshrrev_b64 v[2:3], v2, v[0:1]
; %bb.4978:                             ;   in Loop: Header=BB6_4623 Depth=2
	s_and_not1_saveexec_b32 s11, s11
; %bb.4979:                             ;   in Loop: Header=BB6_4623 Depth=2
	v_mov_b64_e32 v[2:3], v[0:1]
	v_bfe_u32 v4, v0, 23, 1
; %bb.4980:                             ;   in Loop: Header=BB6_4623 Depth=2
	s_or_b32 exec_lo, exec_lo, s11
	s_delay_alu instid0(VALU_DEP_2) | instskip(NEXT) | instid1(VALU_DEP_2)
	v_lshrrev_b64 v[2:3], 21, v[2:3]
	v_cmp_gt_i32_e32 vcc_lo, 32, v4
	v_min_i32_e32 v0, 31, v4
	v_cmp_eq_u32_e64 s11, 0, v4
	s_delay_alu instid0(VALU_DEP_2) | instskip(SKIP_1) | instid1(VALU_DEP_2)
	v_dual_cndmask_b32 v3, 0, v3 :: v_dual_lshlrev_b32 v0, 2, v0
	v_cndmask_b32_e32 v2, 3, v2, vcc_lo
	v_and_b32_e32 v0, 0xfc, v0
	s_delay_alu instid0(VALU_DEP_2) | instskip(NEXT) | instid1(VALU_DEP_2)
	v_cmp_eq_u64_e32 vcc_lo, 0, v[2:3]
	v_and_or_b32 v0, v2, 3, v0
	s_and_b32 s11, s11, vcc_lo
	s_delay_alu instid0(VALU_DEP_1) | instid1(SALU_CYCLE_1)
	v_cndmask_b32_e64 v0, v0, 0, s11
	s_delay_alu instid0(VALU_DEP_1)
	v_or_b32_e32 v34, v0, v10
.LBB6_4981:                             ;   in Loop: Header=BB6_4623 Depth=2
	s_or_b32 exec_lo, exec_lo, s43
                                        ; implicit-def: $vgpr10
.LBB6_4982:                             ;   in Loop: Header=BB6_4623 Depth=2
	s_and_not1_saveexec_b32 s11, s42
; %bb.4983:                             ;   in Loop: Header=BB6_4623 Depth=2
	v_or_b32_e32 v34, 0x7b, v10
; %bb.4984:                             ;   in Loop: Header=BB6_4623 Depth=2
	s_or_b32 exec_lo, exec_lo, s11
                                        ; implicit-def: $vgpr2
                                        ; implicit-def: $vgpr3
.LBB6_4985:                             ;   in Loop: Header=BB6_4623 Depth=2
	s_and_not1_saveexec_b32 s11, s41
	s_cbranch_execz .LBB6_4991
; %bb.4986:                             ;   in Loop: Header=BB6_4623 Depth=2
	s_mov_b32 s41, exec_lo
                                        ; implicit-def: $vgpr34
	v_cmpx_ne_u64_e32 0, v[0:1]
	s_xor_b32 s41, exec_lo, s41
; %bb.4987:                             ;   in Loop: Header=BB6_4623 Depth=2
	v_or_b32_e32 v34, 0x7f, v3
                                        ; implicit-def: $vgpr2
; %bb.4988:                             ;   in Loop: Header=BB6_4623 Depth=2
	s_and_not1_saveexec_b32 s41, s41
; %bb.4989:                             ;   in Loop: Header=BB6_4623 Depth=2
	v_cmp_lt_i32_e32 vcc_lo, -1, v2
	v_mov_b32_e32 v0, 0x7c
	s_delay_alu instid0(VALU_DEP_1)
	v_cndmask_b32_e32 v34, 0xfc, v0, vcc_lo
; %bb.4990:                             ;   in Loop: Header=BB6_4623 Depth=2
	s_or_b32 exec_lo, exec_lo, s41
.LBB6_4991:                             ;   in Loop: Header=BB6_4623 Depth=2
	s_delay_alu instid0(SALU_CYCLE_1) | instskip(SKIP_3) | instid1(VALU_DEP_2)
	s_or_b32 exec_lo, exec_lo, s11
	v_and_b32_e32 v3, 0xff, v13
	v_dual_mov_b32 v0, v13 :: v_dual_mov_b32 v2, 0
	s_mov_b32 s11, exec_lo
	v_cmpx_ne_u16_e32 0, v3
	s_cbranch_execz .LBB6_5001
; %bb.4992:                             ;   in Loop: Header=BB6_4623 Depth=2
	v_bfrev_b32_e32 v2, 1
	s_mov_b32 s41, exec_lo
	v_cmpx_ne_u16_e32 0x80, v3
	s_cbranch_execz .LBB6_5000
; %bb.4993:                             ;   in Loop: Header=BB6_4623 Depth=2
	v_and_b32_e32 v2, 0x7c, v13
	v_and_b32_e32 v3, 3, v13
	s_delay_alu instid0(VALU_DEP_2) | instskip(SKIP_1) | instid1(SALU_CYCLE_1)
	v_cmp_ne_u32_e32 vcc_lo, 0x7c, v2
                                        ; implicit-def: $vgpr2
	s_and_saveexec_b32 s42, vcc_lo
	s_xor_b32 s42, exec_lo, s42
	s_cbranch_execz .LBB6_4997
; %bb.4994:                             ;   in Loop: Header=BB6_4623 Depth=2
	v_bfe_u32 v2, v13, 2, 5
	s_mov_b32 s43, exec_lo
	s_delay_alu instid0(VALU_DEP_1)
	v_cmpx_eq_u32_e32 0, v2
; %bb.4995:                             ;   in Loop: Header=BB6_4623 Depth=2
	v_clz_i32_u32_e32 v2, v3
	s_delay_alu instid0(VALU_DEP_1) | instskip(NEXT) | instid1(VALU_DEP_1)
	v_min_u32_e32 v2, 32, v2
	v_subrev_nc_u32_e32 v3, 29, v2
	s_delay_alu instid0(VALU_DEP_1) | instskip(NEXT) | instid1(VALU_DEP_1)
	v_lshlrev_b64_e32 v[4:5], v3, v[0:1]
	v_dual_sub_nc_u32 v2, 30, v2 :: v_dual_bitop2_b32 v3, 3, v4 bitop3:0x40
; %bb.4996:                             ;   in Loop: Header=BB6_4623 Depth=2
	s_or_b32 exec_lo, exec_lo, s43
	v_lshlrev_b32_e32 v4, 24, v13
	s_delay_alu instid0(VALU_DEP_1) | instskip(NEXT) | instid1(VALU_DEP_1)
	v_and_b32_e32 v4, 0x80000000, v4
	v_lshl_add_u32 v2, v2, 23, v4
	s_delay_alu instid0(VALU_DEP_1) | instskip(NEXT) | instid1(VALU_DEP_1)
	v_lshl_or_b32 v2, v3, 21, v2
                                        ; implicit-def: $vgpr3
	v_add_nc_u32_e32 v2, 0x38000000, v2
.LBB6_4997:                             ;   in Loop: Header=BB6_4623 Depth=2
	s_and_not1_saveexec_b32 s42, s42
; %bb.4998:                             ;   in Loop: Header=BB6_4623 Depth=2
	v_bfe_i32 v2, v13, 0, 8
	s_delay_alu instid0(VALU_DEP_1) | instskip(SKIP_1) | instid1(VALU_DEP_1)
	v_cmp_lt_i16_e32 vcc_lo, -1, v2
	v_mov_b32_e32 v2, 0x7f800000
	v_cndmask_b32_e32 v2, 0xff800000, v2, vcc_lo
	v_cmp_eq_u32_e32 vcc_lo, 0, v3
	s_delay_alu instid0(VALU_DEP_2)
	v_cndmask_b32_e32 v2, 0x7f800001, v2, vcc_lo
; %bb.4999:                             ;   in Loop: Header=BB6_4623 Depth=2
	s_or_b32 exec_lo, exec_lo, s42
.LBB6_5000:                             ;   in Loop: Header=BB6_4623 Depth=2
	s_delay_alu instid0(SALU_CYCLE_1)
	s_or_b32 exec_lo, exec_lo, s41
.LBB6_5001:                             ;   in Loop: Header=BB6_4623 Depth=2
	s_delay_alu instid0(SALU_CYCLE_1) | instskip(NEXT) | instid1(VALU_DEP_1)
	s_or_b32 exec_lo, exec_lo, s11
	v_dual_mul_f32 v4, s40, v2 :: v_dual_mov_b32 v11, v1
	v_mov_b32_e32 v3, v1
                                        ; implicit-def: $vgpr23
	s_mov_b32 s11, exec_lo
	s_delay_alu instid0(VALU_DEP_2) | instskip(SKIP_2) | instid1(VALU_DEP_3)
	v_and_b32_e32 v10, 0x7f800000, v4
	v_and_b32_e32 v2, 0x7fffff, v4
	v_lshrrev_b32_e32 v5, 24, v4
	v_cmpx_ne_u64_e32 0x7f800000, v[10:11]
	s_xor_b32 s41, exec_lo, s11
	s_cbranch_execz .LBB6_5015
; %bb.5002:                             ;   in Loop: Header=BB6_4623 Depth=2
	v_and_b32_e32 v10, 0x7fffffff, v4
	v_mov_b32_e32 v11, v1
                                        ; implicit-def: $vgpr23
	s_delay_alu instid0(VALU_DEP_1) | instskip(SKIP_2) | instid1(SALU_CYCLE_1)
	v_cmp_gt_u64_e32 vcc_lo, 0x47600001, v[10:11]
	v_and_b32_e32 v10, 0x80, v5
	s_and_saveexec_b32 s11, vcc_lo
	s_xor_b32 s42, exec_lo, s11
	s_cbranch_execz .LBB6_5012
; %bb.5003:                             ;   in Loop: Header=BB6_4623 Depth=2
	v_mov_b32_e32 v23, 0
	s_mov_b32 s43, exec_lo
	v_cmpx_ne_u32_e32 0, v4
	s_cbranch_execz .LBB6_5011
; %bb.5004:                             ;   in Loop: Header=BB6_4623 Depth=2
	v_bfe_u32 v11, v4, 23, 8
	v_or_b32_e32 v26, 0x800000, v2
	s_delay_alu instid0(VALU_DEP_2) | instskip(SKIP_1) | instid1(VALU_DEP_2)
	v_sub_nc_u32_e32 v4, 0x71, v11
	v_cmp_gt_u32_e32 vcc_lo, 0x72, v11
	v_cndmask_b32_e32 v4, 0, v4, vcc_lo
	v_cmp_eq_u32_e32 vcc_lo, 0, v11
	s_delay_alu instid0(VALU_DEP_2) | instskip(NEXT) | instid1(VALU_DEP_1)
	v_cndmask_b32_e64 v23, v4, 0x70, vcc_lo
	v_dual_cndmask_b32 v2, v26, v2, vcc_lo :: v_dual_add_nc_u32 v4, 21, v23
	v_add_nc_u32_e32 v28, 20, v23
	s_delay_alu instid0(VALU_DEP_2) | instskip(NEXT) | instid1(VALU_DEP_2)
	v_lshlrev_b64_e64 v[4:5], v4, -1
	v_lshlrev_b64_e64 v[30:31], v28, 1
	s_delay_alu instid0(VALU_DEP_2) | instskip(SKIP_1) | instid1(VALU_DEP_4)
	v_bfi_b32 v4, v4, 0, v2
	v_lshrrev_b64 v[2:3], v23, v[2:3]
	v_bfi_b32 v5, v5, 0, 0
	s_delay_alu instid0(VALU_DEP_1) | instskip(NEXT) | instid1(VALU_DEP_3)
	v_cmp_eq_u64_e64 s11, v[4:5], v[30:31]
	v_mov_b64_e32 v[4:5], v[2:3]
	s_and_saveexec_b32 s44, s11
; %bb.5005:                             ;   in Loop: Header=BB6_4623 Depth=2
	v_bfe_u32 v4, v2, 21, 1
	v_mov_b32_e32 v5, v1
	s_delay_alu instid0(VALU_DEP_1) | instskip(NEXT) | instid1(VALU_DEP_1)
	v_add_nc_u64_e32 v[4:5], v[2:3], v[4:5]
	v_add_nc_u64_e32 v[4:5], -1, v[4:5]
; %bb.5006:                             ;   in Loop: Header=BB6_4623 Depth=2
	s_or_b32 exec_lo, exec_lo, s44
	v_add_nc_u32_e32 v3, 0xffffff81, v11
	v_lshrrev_b32_e32 v5, 23, v2
	s_mov_b32 s11, exec_lo
	s_delay_alu instid0(VALU_DEP_2) | instskip(NEXT) | instid1(VALU_DEP_1)
	v_cndmask_b32_e64 v3, v3, 0xffffff82, vcc_lo
	v_add3_u32 v5, v23, v3, v5
	v_and_b32_e32 v3, 0x1fffff, v4
                                        ; implicit-def: $vgpr4
	s_delay_alu instid0(VALU_DEP_1) | instskip(SKIP_1) | instid1(VALU_DEP_2)
	v_dual_add_nc_u32 v11, 14, v5 :: v_dual_add_nc_u32 v2, v3, v2
	v_mov_b32_e32 v3, v1
	v_cmpx_ne_u32_e32 0, v11
	s_xor_b32 s11, exec_lo, s11
; %bb.5007:                             ;   in Loop: Header=BB6_4623 Depth=2
	s_delay_alu instid0(VALU_DEP_2) | instskip(SKIP_2) | instid1(VALU_DEP_2)
	v_cmp_lt_u64_e32 vcc_lo, 0xffffff, v[2:3]
	v_add_nc_u32_e32 v4, 15, v5
	v_cndmask_b32_e64 v5, 0, 1, vcc_lo
	v_cndmask_b32_e32 v4, v11, v4, vcc_lo
	s_delay_alu instid0(VALU_DEP_2)
	v_lshrrev_b64 v[2:3], v5, v[2:3]
; %bb.5008:                             ;   in Loop: Header=BB6_4623 Depth=2
	s_and_not1_saveexec_b32 s11, s11
; %bb.5009:                             ;   in Loop: Header=BB6_4623 Depth=2
	s_delay_alu instid0(VALU_DEP_1)
	v_bfe_u32 v4, v2, 23, 1
; %bb.5010:                             ;   in Loop: Header=BB6_4623 Depth=2
	s_or_b32 exec_lo, exec_lo, s11
	s_delay_alu instid0(VALU_DEP_2) | instskip(NEXT) | instid1(VALU_DEP_2)
	v_lshrrev_b64 v[2:3], 21, v[2:3]
	v_cmp_gt_i32_e32 vcc_lo, 32, v4
	v_min_i32_e32 v5, 31, v4
	v_cmp_eq_u32_e64 s11, 0, v4
	s_delay_alu instid0(VALU_DEP_2) | instskip(SKIP_1) | instid1(VALU_DEP_2)
	v_dual_cndmask_b32 v3, 0, v3, vcc_lo :: v_dual_lshlrev_b32 v5, 2, v5
	v_cndmask_b32_e32 v2, 3, v2, vcc_lo
	v_and_b32_e32 v5, 0xfc, v5
	s_delay_alu instid0(VALU_DEP_2) | instskip(NEXT) | instid1(VALU_DEP_2)
	v_cmp_eq_u64_e32 vcc_lo, 0, v[2:3]
	v_and_or_b32 v2, v2, 3, v5
	s_and_b32 s11, s11, vcc_lo
	s_delay_alu instid0(VALU_DEP_1) | instid1(SALU_CYCLE_1)
	v_cndmask_b32_e64 v2, v2, 0, s11
	s_delay_alu instid0(VALU_DEP_1)
	v_or_b32_e32 v23, v2, v10
.LBB6_5011:                             ;   in Loop: Header=BB6_4623 Depth=2
	s_or_b32 exec_lo, exec_lo, s43
                                        ; implicit-def: $vgpr10
.LBB6_5012:                             ;   in Loop: Header=BB6_4623 Depth=2
	s_and_not1_saveexec_b32 s11, s42
; %bb.5013:                             ;   in Loop: Header=BB6_4623 Depth=2
	v_or_b32_e32 v23, 0x7b, v10
; %bb.5014:                             ;   in Loop: Header=BB6_4623 Depth=2
	s_or_b32 exec_lo, exec_lo, s11
                                        ; implicit-def: $vgpr4
                                        ; implicit-def: $vgpr2_vgpr3
                                        ; implicit-def: $vgpr5
.LBB6_5015:                             ;   in Loop: Header=BB6_4623 Depth=2
	s_and_not1_saveexec_b32 s11, s41
	s_cbranch_execz .LBB6_5021
; %bb.5016:                             ;   in Loop: Header=BB6_4623 Depth=2
	s_mov_b32 s41, exec_lo
                                        ; implicit-def: $vgpr23
	v_cmpx_ne_u64_e32 0, v[2:3]
	s_xor_b32 s41, exec_lo, s41
; %bb.5017:                             ;   in Loop: Header=BB6_4623 Depth=2
	v_or_b32_e32 v23, 0x7f, v5
                                        ; implicit-def: $vgpr4
; %bb.5018:                             ;   in Loop: Header=BB6_4623 Depth=2
	s_and_not1_saveexec_b32 s41, s41
; %bb.5019:                             ;   in Loop: Header=BB6_4623 Depth=2
	v_cmp_lt_i32_e32 vcc_lo, -1, v4
	v_mov_b32_e32 v2, 0x7c
	s_delay_alu instid0(VALU_DEP_1)
	v_cndmask_b32_e32 v23, 0xfc, v2, vcc_lo
; %bb.5020:                             ;   in Loop: Header=BB6_4623 Depth=2
	s_or_b32 exec_lo, exec_lo, s41
.LBB6_5021:                             ;   in Loop: Header=BB6_4623 Depth=2
	s_delay_alu instid0(SALU_CYCLE_1) | instskip(SKIP_3) | instid1(VALU_DEP_2)
	s_or_b32 exec_lo, exec_lo, s11
	v_lshrrev_b16 v2, 8, v0
	v_mov_b32_e32 v4, 0
	s_mov_b32 s11, exec_lo
	v_cmpx_ne_u16_e32 0, v2
	s_cbranch_execz .LBB6_5031
; %bb.5022:                             ;   in Loop: Header=BB6_4623 Depth=2
	v_bfrev_b32_e32 v4, 1
	s_mov_b32 s41, exec_lo
	v_cmpx_ne_u16_e32 0x80, v2
	s_cbranch_execz .LBB6_5030
; %bb.5023:                             ;   in Loop: Header=BB6_4623 Depth=2
	v_and_b32_e32 v5, 0xffff, v2
	s_delay_alu instid0(VALU_DEP_1) | instskip(SKIP_1) | instid1(VALU_DEP_2)
	v_and_b32_e32 v4, 0x7c, v5
	v_and_b32_e32 v3, 3, v5
	v_cmp_ne_u32_e32 vcc_lo, 0x7c, v4
                                        ; implicit-def: $vgpr4
	s_and_saveexec_b32 s42, vcc_lo
	s_delay_alu instid0(SALU_CYCLE_1)
	s_xor_b32 s42, exec_lo, s42
	s_cbranch_execz .LBB6_5027
; %bb.5024:                             ;   in Loop: Header=BB6_4623 Depth=2
	v_bfe_u32 v4, v5, 2, 5
	s_mov_b32 s43, exec_lo
	s_delay_alu instid0(VALU_DEP_1)
	v_cmpx_eq_u32_e32 0, v4
	s_cbranch_execz .LBB6_5026
; %bb.5025:                             ;   in Loop: Header=BB6_4623 Depth=2
	v_clz_i32_u32_e32 v3, v3
	s_delay_alu instid0(VALU_DEP_1) | instskip(SKIP_1) | instid1(VALU_DEP_2)
	v_min_u32_e32 v4, 32, v3
	v_mov_b32_e32 v3, v1
	v_subrev_nc_u32_e32 v5, 29, v4
	v_sub_nc_u32_e32 v4, 30, v4
	s_delay_alu instid0(VALU_DEP_2) | instskip(NEXT) | instid1(VALU_DEP_1)
	v_lshlrev_b64_e32 v[2:3], v5, v[2:3]
	v_and_b32_e32 v3, 3, v2
.LBB6_5026:                             ;   in Loop: Header=BB6_4623 Depth=2
	s_or_b32 exec_lo, exec_lo, s43
	v_lshlrev_b32_e32 v0, 16, v0
	s_delay_alu instid0(VALU_DEP_1) | instskip(NEXT) | instid1(VALU_DEP_1)
	v_and_b32_e32 v0, 0x80000000, v0
	v_lshl_add_u32 v0, v4, 23, v0
	s_delay_alu instid0(VALU_DEP_1) | instskip(NEXT) | instid1(VALU_DEP_1)
	v_lshl_or_b32 v0, v3, 21, v0
                                        ; implicit-def: $vgpr3
	v_add_nc_u32_e32 v4, 0x38000000, v0
.LBB6_5027:                             ;   in Loop: Header=BB6_4623 Depth=2
	s_and_not1_saveexec_b32 s42, s42
; %bb.5028:                             ;   in Loop: Header=BB6_4623 Depth=2
	v_cmp_lt_i16_e32 vcc_lo, -1, v0
	v_mov_b32_e32 v0, 0x7f800000
	s_delay_alu instid0(VALU_DEP_1) | instskip(SKIP_1) | instid1(VALU_DEP_2)
	v_cndmask_b32_e32 v0, 0xff800000, v0, vcc_lo
	v_cmp_eq_u32_e32 vcc_lo, 0, v3
	v_cndmask_b32_e32 v4, 0x7f800001, v0, vcc_lo
; %bb.5029:                             ;   in Loop: Header=BB6_4623 Depth=2
	s_or_b32 exec_lo, exec_lo, s42
.LBB6_5030:                             ;   in Loop: Header=BB6_4623 Depth=2
	s_delay_alu instid0(SALU_CYCLE_1)
	s_or_b32 exec_lo, exec_lo, s41
.LBB6_5031:                             ;   in Loop: Header=BB6_4623 Depth=2
	s_delay_alu instid0(SALU_CYCLE_1) | instskip(NEXT) | instid1(VALU_DEP_1)
	s_or_b32 exec_lo, exec_lo, s11
	v_dual_mul_f32 v2, s40, v4 :: v_dual_mov_b32 v5, v1
                                        ; implicit-def: $vgpr26
	s_mov_b32 s11, exec_lo
	s_delay_alu instid0(VALU_DEP_1) | instskip(SKIP_2) | instid1(VALU_DEP_3)
	v_and_b32_e32 v4, 0x7f800000, v2
	v_and_b32_e32 v0, 0x7fffff, v2
	v_lshrrev_b32_e32 v3, 24, v2
	v_cmpx_ne_u64_e32 0x7f800000, v[4:5]
	s_xor_b32 s41, exec_lo, s11
	s_cbranch_execz .LBB6_5045
; %bb.5032:                             ;   in Loop: Header=BB6_4623 Depth=2
	v_and_b32_e32 v4, 0x7fffffff, v2
	v_mov_b32_e32 v5, v1
	v_and_b32_e32 v10, 0x80, v3
                                        ; implicit-def: $vgpr26
	s_mov_b32 s11, exec_lo
	s_delay_alu instid0(VALU_DEP_2)
	v_cmpx_gt_u64_e32 0x47600001, v[4:5]
	s_xor_b32 s42, exec_lo, s11
	s_cbranch_execz .LBB6_5042
; %bb.5033:                             ;   in Loop: Header=BB6_4623 Depth=2
	v_mov_b32_e32 v26, 0
	s_mov_b32 s43, exec_lo
	v_cmpx_ne_u32_e32 0, v2
	s_cbranch_execz .LBB6_5041
; %bb.5034:                             ;   in Loop: Header=BB6_4623 Depth=2
	v_bfe_u32 v11, v2, 23, 8
	v_or_b32_e32 v4, 0x800000, v0
	s_mov_b32 s44, exec_lo
	s_delay_alu instid0(VALU_DEP_2) | instskip(SKIP_1) | instid1(VALU_DEP_2)
	v_dual_mov_b32 v5, v1 :: v_dual_sub_nc_u32 v2, 0x71, v11
	v_cmp_gt_u32_e32 vcc_lo, 0x72, v11
	v_cndmask_b32_e32 v2, 0, v2, vcc_lo
	v_cmp_eq_u32_e32 vcc_lo, 0, v11
	v_cndmask_b32_e32 v4, v4, v0, vcc_lo
	s_delay_alu instid0(VALU_DEP_3) | instskip(NEXT) | instid1(VALU_DEP_1)
	v_cndmask_b32_e64 v26, v2, 0x70, vcc_lo
	v_dual_add_nc_u32 v2, 21, v26 :: v_dual_add_nc_u32 v28, 20, v26
	s_delay_alu instid0(VALU_DEP_1) | instskip(NEXT) | instid1(VALU_DEP_2)
	v_lshlrev_b64_e64 v[2:3], v2, -1
	v_lshlrev_b64_e64 v[30:31], v28, 1
	s_delay_alu instid0(VALU_DEP_2) | instskip(NEXT) | instid1(VALU_DEP_3)
	v_bfi_b32 v39, v3, 0, 0
	v_bfi_b32 v38, v2, 0, v4
	v_lshrrev_b64 v[2:3], v26, v[4:5]
	s_delay_alu instid0(VALU_DEP_1) | instskip(NEXT) | instid1(VALU_DEP_3)
	v_mov_b64_e32 v[4:5], v[2:3]
	v_cmpx_eq_u64_e64 v[38:39], v[30:31]
; %bb.5035:                             ;   in Loop: Header=BB6_4623 Depth=2
	v_bfe_u32 v4, v2, 21, 1
	v_mov_b32_e32 v5, v1
	s_delay_alu instid0(VALU_DEP_1) | instskip(NEXT) | instid1(VALU_DEP_1)
	v_add_nc_u64_e32 v[4:5], v[2:3], v[4:5]
	v_add_nc_u64_e32 v[4:5], -1, v[4:5]
; %bb.5036:                             ;   in Loop: Header=BB6_4623 Depth=2
	s_or_b32 exec_lo, exec_lo, s44
	v_add_nc_u32_e32 v0, 0xffffff81, v11
	s_delay_alu instid0(VALU_DEP_2) | instskip(SKIP_2) | instid1(VALU_DEP_3)
	v_and_b32_e32 v4, 0x1fffff, v4
	v_lshrrev_b32_e32 v3, 23, v2
	s_mov_b32 s11, exec_lo
	v_cndmask_b32_e64 v0, v0, 0xffffff82, vcc_lo
	s_delay_alu instid0(VALU_DEP_1) | instskip(SKIP_1) | instid1(VALU_DEP_2)
	v_add3_u32 v5, v26, v0, v3
	v_add_nc_u32_e32 v0, v4, v2
                                        ; implicit-def: $vgpr2_vgpr3
                                        ; implicit-def: $vgpr4
	v_add_nc_u32_e32 v11, 14, v5
	s_delay_alu instid0(VALU_DEP_1)
	v_cmpx_ne_u32_e32 0, v11
	s_xor_b32 s11, exec_lo, s11
; %bb.5037:                             ;   in Loop: Header=BB6_4623 Depth=2
	s_delay_alu instid0(VALU_DEP_3) | instskip(SKIP_1) | instid1(VALU_DEP_1)
	v_cmp_lt_u64_e32 vcc_lo, 0xffffff, v[0:1]
	v_add_nc_u32_e32 v2, 15, v5
	v_cndmask_b32_e32 v4, v11, v2, vcc_lo
	v_cndmask_b32_e64 v2, 0, 1, vcc_lo
	s_delay_alu instid0(VALU_DEP_1)
	v_lshrrev_b64 v[2:3], v2, v[0:1]
; %bb.5038:                             ;   in Loop: Header=BB6_4623 Depth=2
	s_and_not1_saveexec_b32 s11, s11
; %bb.5039:                             ;   in Loop: Header=BB6_4623 Depth=2
	v_mov_b64_e32 v[2:3], v[0:1]
	v_bfe_u32 v4, v0, 23, 1
; %bb.5040:                             ;   in Loop: Header=BB6_4623 Depth=2
	s_or_b32 exec_lo, exec_lo, s11
	s_delay_alu instid0(VALU_DEP_2) | instskip(NEXT) | instid1(VALU_DEP_2)
	v_lshrrev_b64 v[2:3], 21, v[2:3]
	v_cmp_gt_i32_e32 vcc_lo, 32, v4
	v_min_i32_e32 v0, 31, v4
	v_cmp_eq_u32_e64 s11, 0, v4
	s_delay_alu instid0(VALU_DEP_2) | instskip(SKIP_1) | instid1(VALU_DEP_2)
	v_dual_cndmask_b32 v3, 0, v3 :: v_dual_lshlrev_b32 v0, 2, v0
	v_cndmask_b32_e32 v2, 3, v2, vcc_lo
	v_and_b32_e32 v0, 0xfc, v0
	s_delay_alu instid0(VALU_DEP_2) | instskip(NEXT) | instid1(VALU_DEP_2)
	v_cmp_eq_u64_e32 vcc_lo, 0, v[2:3]
	v_and_or_b32 v0, v2, 3, v0
	s_and_b32 s11, s11, vcc_lo
	s_delay_alu instid0(VALU_DEP_1) | instid1(SALU_CYCLE_1)
	v_cndmask_b32_e64 v0, v0, 0, s11
	s_delay_alu instid0(VALU_DEP_1)
	v_or_b32_e32 v26, v0, v10
.LBB6_5041:                             ;   in Loop: Header=BB6_4623 Depth=2
	s_or_b32 exec_lo, exec_lo, s43
                                        ; implicit-def: $vgpr10
.LBB6_5042:                             ;   in Loop: Header=BB6_4623 Depth=2
	s_and_not1_saveexec_b32 s11, s42
; %bb.5043:                             ;   in Loop: Header=BB6_4623 Depth=2
	v_or_b32_e32 v26, 0x7b, v10
; %bb.5044:                             ;   in Loop: Header=BB6_4623 Depth=2
	s_or_b32 exec_lo, exec_lo, s11
                                        ; implicit-def: $vgpr2
                                        ; implicit-def: $vgpr3
.LBB6_5045:                             ;   in Loop: Header=BB6_4623 Depth=2
	s_and_not1_saveexec_b32 s11, s41
	s_cbranch_execz .LBB6_5051
; %bb.5046:                             ;   in Loop: Header=BB6_4623 Depth=2
	s_mov_b32 s41, exec_lo
                                        ; implicit-def: $vgpr26
	v_cmpx_ne_u64_e32 0, v[0:1]
	s_xor_b32 s41, exec_lo, s41
; %bb.5047:                             ;   in Loop: Header=BB6_4623 Depth=2
	v_or_b32_e32 v26, 0x7f, v3
                                        ; implicit-def: $vgpr2
; %bb.5048:                             ;   in Loop: Header=BB6_4623 Depth=2
	s_and_not1_saveexec_b32 s41, s41
; %bb.5049:                             ;   in Loop: Header=BB6_4623 Depth=2
	v_cmp_lt_i32_e32 vcc_lo, -1, v2
	v_mov_b32_e32 v0, 0x7c
	s_delay_alu instid0(VALU_DEP_1)
	v_cndmask_b32_e32 v26, 0xfc, v0, vcc_lo
; %bb.5050:                             ;   in Loop: Header=BB6_4623 Depth=2
	s_or_b32 exec_lo, exec_lo, s41
.LBB6_5051:                             ;   in Loop: Header=BB6_4623 Depth=2
	s_delay_alu instid0(SALU_CYCLE_1) | instskip(SKIP_2) | instid1(VALU_DEP_1)
	s_or_b32 exec_lo, exec_lo, s11
	v_dual_lshrrev_b32 v0, 16, v13 :: v_dual_mov_b32 v2, 0
	s_mov_b32 s11, exec_lo
	v_and_b32_e32 v3, 0xff, v0
	s_delay_alu instid0(VALU_DEP_1)
	v_cmpx_ne_u16_e32 0, v3
	s_cbranch_execz .LBB6_5061
; %bb.5052:                             ;   in Loop: Header=BB6_4623 Depth=2
	v_bfrev_b32_e32 v2, 1
	s_mov_b32 s41, exec_lo
	v_cmpx_ne_u16_e32 0x80, v3
	s_cbranch_execz .LBB6_5060
; %bb.5053:                             ;   in Loop: Header=BB6_4623 Depth=2
	v_and_b32_e32 v2, 0x7c0000, v13
	v_bfe_u32 v3, v13, 16, 2
	s_delay_alu instid0(VALU_DEP_2) | instskip(SKIP_1) | instid1(SALU_CYCLE_1)
	v_cmp_ne_u32_e32 vcc_lo, 0x7c0000, v2
                                        ; implicit-def: $vgpr2
	s_and_saveexec_b32 s42, vcc_lo
	s_xor_b32 s42, exec_lo, s42
	s_cbranch_execz .LBB6_5057
; %bb.5054:                             ;   in Loop: Header=BB6_4623 Depth=2
	v_bfe_u32 v2, v13, 18, 5
	s_mov_b32 s43, exec_lo
	s_delay_alu instid0(VALU_DEP_1)
	v_cmpx_eq_u32_e32 0, v2
; %bb.5055:                             ;   in Loop: Header=BB6_4623 Depth=2
	v_clz_i32_u32_e32 v2, v3
	s_delay_alu instid0(VALU_DEP_1) | instskip(NEXT) | instid1(VALU_DEP_1)
	v_min_u32_e32 v2, 32, v2
	v_subrev_nc_u32_e32 v3, 29, v2
	s_delay_alu instid0(VALU_DEP_1) | instskip(NEXT) | instid1(VALU_DEP_1)
	v_lshlrev_b64_e32 v[4:5], v3, v[0:1]
	v_dual_sub_nc_u32 v2, 30, v2 :: v_dual_bitop2_b32 v3, 3, v4 bitop3:0x40
; %bb.5056:                             ;   in Loop: Header=BB6_4623 Depth=2
	s_or_b32 exec_lo, exec_lo, s43
	v_lshlrev_b32_e32 v0, 24, v0
	s_delay_alu instid0(VALU_DEP_1) | instskip(NEXT) | instid1(VALU_DEP_1)
	v_and_b32_e32 v0, 0x80000000, v0
	v_lshl_add_u32 v0, v2, 23, v0
	s_delay_alu instid0(VALU_DEP_1) | instskip(NEXT) | instid1(VALU_DEP_1)
	v_lshl_or_b32 v0, v3, 21, v0
                                        ; implicit-def: $vgpr3
	v_add_nc_u32_e32 v2, 0x38000000, v0
                                        ; implicit-def: $vgpr0
.LBB6_5057:                             ;   in Loop: Header=BB6_4623 Depth=2
	s_and_not1_saveexec_b32 s42, s42
; %bb.5058:                             ;   in Loop: Header=BB6_4623 Depth=2
	v_bfe_i32 v0, v0, 0, 8
	s_delay_alu instid0(VALU_DEP_1) | instskip(SKIP_1) | instid1(VALU_DEP_1)
	v_cmp_lt_i16_e32 vcc_lo, -1, v0
	v_mov_b32_e32 v0, 0x7f800000
	v_cndmask_b32_e32 v0, 0xff800000, v0, vcc_lo
	v_cmp_eq_u32_e32 vcc_lo, 0, v3
	s_delay_alu instid0(VALU_DEP_2)
	v_cndmask_b32_e32 v2, 0x7f800001, v0, vcc_lo
; %bb.5059:                             ;   in Loop: Header=BB6_4623 Depth=2
	s_or_b32 exec_lo, exec_lo, s42
.LBB6_5060:                             ;   in Loop: Header=BB6_4623 Depth=2
	s_delay_alu instid0(SALU_CYCLE_1)
	s_or_b32 exec_lo, exec_lo, s41
.LBB6_5061:                             ;   in Loop: Header=BB6_4623 Depth=2
	s_delay_alu instid0(SALU_CYCLE_1) | instskip(NEXT) | instid1(VALU_DEP_1)
	s_or_b32 exec_lo, exec_lo, s11
	v_dual_mul_f32 v2, s40, v2 :: v_dual_mov_b32 v5, v1
                                        ; implicit-def: $vgpr28
	s_mov_b32 s11, exec_lo
	s_delay_alu instid0(VALU_DEP_1) | instskip(SKIP_2) | instid1(VALU_DEP_3)
	v_and_b32_e32 v4, 0x7f800000, v2
	v_and_b32_e32 v0, 0x7fffff, v2
	v_lshrrev_b32_e32 v3, 24, v2
	v_cmpx_ne_u64_e32 0x7f800000, v[4:5]
	s_xor_b32 s41, exec_lo, s11
	s_cbranch_execz .LBB6_5075
; %bb.5062:                             ;   in Loop: Header=BB6_4623 Depth=2
	v_and_b32_e32 v4, 0x7fffffff, v2
	v_mov_b32_e32 v5, v1
	v_and_b32_e32 v10, 0x80, v3
                                        ; implicit-def: $vgpr28
	s_mov_b32 s11, exec_lo
	s_delay_alu instid0(VALU_DEP_2)
	v_cmpx_gt_u64_e32 0x47600001, v[4:5]
	s_xor_b32 s42, exec_lo, s11
	s_cbranch_execz .LBB6_5072
; %bb.5063:                             ;   in Loop: Header=BB6_4623 Depth=2
	v_mov_b32_e32 v28, 0
	s_mov_b32 s43, exec_lo
	v_cmpx_ne_u32_e32 0, v2
	s_cbranch_execz .LBB6_5071
; %bb.5064:                             ;   in Loop: Header=BB6_4623 Depth=2
	v_bfe_u32 v11, v2, 23, 8
	v_or_b32_e32 v4, 0x800000, v0
	s_mov_b32 s44, exec_lo
	s_delay_alu instid0(VALU_DEP_2) | instskip(SKIP_1) | instid1(VALU_DEP_2)
	v_dual_mov_b32 v5, v1 :: v_dual_sub_nc_u32 v2, 0x71, v11
	v_cmp_gt_u32_e32 vcc_lo, 0x72, v11
	v_cndmask_b32_e32 v2, 0, v2, vcc_lo
	v_cmp_eq_u32_e32 vcc_lo, 0, v11
	s_delay_alu instid0(VALU_DEP_2) | instskip(SKIP_1) | instid1(VALU_DEP_2)
	v_cndmask_b32_e64 v28, v2, 0x70, vcc_lo
	v_cndmask_b32_e32 v4, v4, v0, vcc_lo
	v_dual_add_nc_u32 v2, 21, v28 :: v_dual_add_nc_u32 v30, 20, v28
	s_delay_alu instid0(VALU_DEP_1) | instskip(NEXT) | instid1(VALU_DEP_2)
	v_lshlrev_b64_e64 v[2:3], v2, -1
	v_lshlrev_b64_e64 v[30:31], v30, 1
	s_delay_alu instid0(VALU_DEP_2) | instskip(NEXT) | instid1(VALU_DEP_3)
	v_bfi_b32 v39, v3, 0, 0
	v_bfi_b32 v38, v2, 0, v4
	v_lshrrev_b64 v[2:3], v28, v[4:5]
	s_delay_alu instid0(VALU_DEP_1) | instskip(NEXT) | instid1(VALU_DEP_3)
	v_mov_b64_e32 v[4:5], v[2:3]
	v_cmpx_eq_u64_e64 v[38:39], v[30:31]
; %bb.5065:                             ;   in Loop: Header=BB6_4623 Depth=2
	v_bfe_u32 v4, v2, 21, 1
	v_mov_b32_e32 v5, v1
	s_delay_alu instid0(VALU_DEP_1) | instskip(NEXT) | instid1(VALU_DEP_1)
	v_add_nc_u64_e32 v[4:5], v[2:3], v[4:5]
	v_add_nc_u64_e32 v[4:5], -1, v[4:5]
; %bb.5066:                             ;   in Loop: Header=BB6_4623 Depth=2
	s_or_b32 exec_lo, exec_lo, s44
	v_add_nc_u32_e32 v0, 0xffffff81, v11
	s_delay_alu instid0(VALU_DEP_2) | instskip(SKIP_2) | instid1(VALU_DEP_3)
	v_and_b32_e32 v4, 0x1fffff, v4
	v_lshrrev_b32_e32 v3, 23, v2
	s_mov_b32 s11, exec_lo
	v_cndmask_b32_e64 v0, v0, 0xffffff82, vcc_lo
	s_delay_alu instid0(VALU_DEP_1) | instskip(SKIP_1) | instid1(VALU_DEP_2)
	v_add3_u32 v5, v28, v0, v3
	v_add_nc_u32_e32 v0, v4, v2
                                        ; implicit-def: $vgpr2_vgpr3
                                        ; implicit-def: $vgpr4
	v_add_nc_u32_e32 v11, 14, v5
	s_delay_alu instid0(VALU_DEP_1)
	v_cmpx_ne_u32_e32 0, v11
	s_xor_b32 s11, exec_lo, s11
; %bb.5067:                             ;   in Loop: Header=BB6_4623 Depth=2
	s_delay_alu instid0(VALU_DEP_3) | instskip(SKIP_1) | instid1(VALU_DEP_1)
	v_cmp_lt_u64_e32 vcc_lo, 0xffffff, v[0:1]
	v_add_nc_u32_e32 v2, 15, v5
	v_cndmask_b32_e32 v4, v11, v2, vcc_lo
	v_cndmask_b32_e64 v2, 0, 1, vcc_lo
	s_delay_alu instid0(VALU_DEP_1)
	v_lshrrev_b64 v[2:3], v2, v[0:1]
; %bb.5068:                             ;   in Loop: Header=BB6_4623 Depth=2
	s_and_not1_saveexec_b32 s11, s11
; %bb.5069:                             ;   in Loop: Header=BB6_4623 Depth=2
	v_mov_b64_e32 v[2:3], v[0:1]
	v_bfe_u32 v4, v0, 23, 1
; %bb.5070:                             ;   in Loop: Header=BB6_4623 Depth=2
	s_or_b32 exec_lo, exec_lo, s11
	s_delay_alu instid0(VALU_DEP_2) | instskip(NEXT) | instid1(VALU_DEP_2)
	v_lshrrev_b64 v[2:3], 21, v[2:3]
	v_cmp_gt_i32_e32 vcc_lo, 32, v4
	v_min_i32_e32 v0, 31, v4
	v_cmp_eq_u32_e64 s11, 0, v4
	s_delay_alu instid0(VALU_DEP_2) | instskip(SKIP_1) | instid1(VALU_DEP_2)
	v_dual_cndmask_b32 v3, 0, v3 :: v_dual_lshlrev_b32 v0, 2, v0
	v_cndmask_b32_e32 v2, 3, v2, vcc_lo
	v_and_b32_e32 v0, 0xfc, v0
	s_delay_alu instid0(VALU_DEP_2) | instskip(NEXT) | instid1(VALU_DEP_2)
	v_cmp_eq_u64_e32 vcc_lo, 0, v[2:3]
	v_and_or_b32 v0, v2, 3, v0
	s_and_b32 s11, s11, vcc_lo
	s_delay_alu instid0(VALU_DEP_1) | instid1(SALU_CYCLE_1)
	v_cndmask_b32_e64 v0, v0, 0, s11
	s_delay_alu instid0(VALU_DEP_1)
	v_or_b32_e32 v28, v0, v10
.LBB6_5071:                             ;   in Loop: Header=BB6_4623 Depth=2
	s_or_b32 exec_lo, exec_lo, s43
                                        ; implicit-def: $vgpr10
.LBB6_5072:                             ;   in Loop: Header=BB6_4623 Depth=2
	s_and_not1_saveexec_b32 s11, s42
; %bb.5073:                             ;   in Loop: Header=BB6_4623 Depth=2
	v_or_b32_e32 v28, 0x7b, v10
; %bb.5074:                             ;   in Loop: Header=BB6_4623 Depth=2
	s_or_b32 exec_lo, exec_lo, s11
                                        ; implicit-def: $vgpr2
                                        ; implicit-def: $vgpr3
.LBB6_5075:                             ;   in Loop: Header=BB6_4623 Depth=2
	s_and_not1_saveexec_b32 s11, s41
	s_cbranch_execz .LBB6_5081
; %bb.5076:                             ;   in Loop: Header=BB6_4623 Depth=2
	s_mov_b32 s41, exec_lo
                                        ; implicit-def: $vgpr28
	v_cmpx_ne_u64_e32 0, v[0:1]
	s_xor_b32 s41, exec_lo, s41
; %bb.5077:                             ;   in Loop: Header=BB6_4623 Depth=2
	v_or_b32_e32 v28, 0x7f, v3
                                        ; implicit-def: $vgpr2
; %bb.5078:                             ;   in Loop: Header=BB6_4623 Depth=2
	s_and_not1_saveexec_b32 s41, s41
; %bb.5079:                             ;   in Loop: Header=BB6_4623 Depth=2
	v_cmp_lt_i32_e32 vcc_lo, -1, v2
	v_mov_b32_e32 v0, 0x7c
	s_delay_alu instid0(VALU_DEP_1)
	v_cndmask_b32_e32 v28, 0xfc, v0, vcc_lo
; %bb.5080:                             ;   in Loop: Header=BB6_4623 Depth=2
	s_or_b32 exec_lo, exec_lo, s41
.LBB6_5081:                             ;   in Loop: Header=BB6_4623 Depth=2
	s_delay_alu instid0(SALU_CYCLE_1)
	s_or_b32 exec_lo, exec_lo, s11
	v_mov_b32_e32 v2, 0
	s_mov_b32 s11, exec_lo
	v_cmpx_lt_u64_e64 s[12:13], v[12:13]
	s_cbranch_execz .LBB6_5091
; %bb.5082:                             ;   in Loop: Header=BB6_4623 Depth=2
	v_lshrrev_b32_e32 v0, 24, v13
	v_bfrev_b32_e32 v2, 1
	s_mov_b32 s41, exec_lo
	s_delay_alu instid0(VALU_DEP_2)
	v_cmpx_ne_u32_e32 0x80, v0
	s_cbranch_execz .LBB6_5090
; %bb.5083:                             ;   in Loop: Header=BB6_4623 Depth=2
	v_and_b32_e32 v2, 0x7c000000, v13
	v_bfe_u32 v3, v13, 24, 2
	s_delay_alu instid0(VALU_DEP_2) | instskip(SKIP_1) | instid1(SALU_CYCLE_1)
	v_cmp_ne_u32_e32 vcc_lo, 0x7c000000, v2
                                        ; implicit-def: $vgpr2
	s_and_saveexec_b32 s42, vcc_lo
	s_xor_b32 s42, exec_lo, s42
	s_cbranch_execz .LBB6_5087
; %bb.5084:                             ;   in Loop: Header=BB6_4623 Depth=2
	v_bfe_u32 v2, v13, 26, 5
	s_mov_b32 s43, exec_lo
	s_delay_alu instid0(VALU_DEP_1)
	v_cmpx_eq_u32_e32 0, v2
; %bb.5085:                             ;   in Loop: Header=BB6_4623 Depth=2
	v_clz_i32_u32_e32 v2, v3
	s_delay_alu instid0(VALU_DEP_1) | instskip(NEXT) | instid1(VALU_DEP_1)
	v_min_u32_e32 v2, 32, v2
	v_subrev_nc_u32_e32 v3, 29, v2
	s_delay_alu instid0(VALU_DEP_1) | instskip(NEXT) | instid1(VALU_DEP_1)
	v_lshlrev_b64_e32 v[4:5], v3, v[0:1]
	v_dual_sub_nc_u32 v2, 30, v2 :: v_dual_bitop2_b32 v3, 3, v4 bitop3:0x40
; %bb.5086:                             ;   in Loop: Header=BB6_4623 Depth=2
	s_or_b32 exec_lo, exec_lo, s43
	v_and_b32_e32 v0, 0x80000000, v13
                                        ; implicit-def: $vgpr12_vgpr13
	s_delay_alu instid0(VALU_DEP_1) | instskip(NEXT) | instid1(VALU_DEP_1)
	v_lshl_add_u32 v0, v2, 23, v0
	v_lshl_or_b32 v0, v3, 21, v0
                                        ; implicit-def: $vgpr3
	s_delay_alu instid0(VALU_DEP_1)
	v_add_nc_u32_e32 v2, 0x38000000, v0
.LBB6_5087:                             ;   in Loop: Header=BB6_4623 Depth=2
	s_and_not1_saveexec_b32 s42, s42
; %bb.5088:                             ;   in Loop: Header=BB6_4623 Depth=2
	v_cmp_lt_i64_e32 vcc_lo, -1, v[12:13]
	v_mov_b32_e32 v0, 0x7f800000
	s_delay_alu instid0(VALU_DEP_1) | instskip(SKIP_1) | instid1(VALU_DEP_2)
	v_cndmask_b32_e32 v0, 0xff800000, v0, vcc_lo
	v_cmp_eq_u32_e32 vcc_lo, 0, v3
	v_cndmask_b32_e32 v2, 0x7f800001, v0, vcc_lo
; %bb.5089:                             ;   in Loop: Header=BB6_4623 Depth=2
	s_or_b32 exec_lo, exec_lo, s42
.LBB6_5090:                             ;   in Loop: Header=BB6_4623 Depth=2
	s_delay_alu instid0(SALU_CYCLE_1)
	s_or_b32 exec_lo, exec_lo, s41
.LBB6_5091:                             ;   in Loop: Header=BB6_4623 Depth=2
	s_delay_alu instid0(SALU_CYCLE_1) | instskip(NEXT) | instid1(VALU_DEP_1)
	s_or_b32 exec_lo, exec_lo, s11
	v_dual_mul_f32 v2, s40, v2 :: v_dual_mov_b32 v5, v1
                                        ; implicit-def: $vgpr31
	s_mov_b32 s11, exec_lo
	s_delay_alu instid0(VALU_DEP_1) | instskip(SKIP_2) | instid1(VALU_DEP_3)
	v_and_b32_e32 v4, 0x7f800000, v2
	v_and_b32_e32 v0, 0x7fffff, v2
	v_lshrrev_b32_e32 v3, 24, v2
	v_cmpx_ne_u64_e32 0x7f800000, v[4:5]
	s_xor_b32 s40, exec_lo, s11
	s_cbranch_execz .LBB6_5105
; %bb.5092:                             ;   in Loop: Header=BB6_4623 Depth=2
	v_and_b32_e32 v4, 0x7fffffff, v2
	v_mov_b32_e32 v5, v1
	v_and_b32_e32 v10, 0x80, v3
                                        ; implicit-def: $vgpr31
	s_mov_b32 s11, exec_lo
	s_delay_alu instid0(VALU_DEP_2)
	v_cmpx_gt_u64_e32 0x47600001, v[4:5]
	s_xor_b32 s41, exec_lo, s11
	s_cbranch_execz .LBB6_5102
; %bb.5093:                             ;   in Loop: Header=BB6_4623 Depth=2
	v_mov_b32_e32 v31, 0
	s_mov_b32 s42, exec_lo
	v_cmpx_ne_u32_e32 0, v2
	s_cbranch_execz .LBB6_5101
; %bb.5094:                             ;   in Loop: Header=BB6_4623 Depth=2
	v_bfe_u32 v11, v2, 23, 8
	v_or_b32_e32 v4, 0x800000, v0
	s_mov_b32 s43, exec_lo
	s_delay_alu instid0(VALU_DEP_2) | instskip(SKIP_1) | instid1(VALU_DEP_2)
	v_dual_mov_b32 v5, v1 :: v_dual_sub_nc_u32 v2, 0x71, v11
	v_cmp_gt_u32_e32 vcc_lo, 0x72, v11
	v_cndmask_b32_e32 v2, 0, v2, vcc_lo
	v_cmp_eq_u32_e32 vcc_lo, 0, v11
	s_delay_alu instid0(VALU_DEP_2) | instskip(SKIP_1) | instid1(VALU_DEP_2)
	v_cndmask_b32_e64 v12, v2, 0x70, vcc_lo
	v_cndmask_b32_e32 v4, v4, v0, vcc_lo
	v_dual_add_nc_u32 v2, 21, v12 :: v_dual_add_nc_u32 v13, 20, v12
	s_delay_alu instid0(VALU_DEP_1) | instskip(NEXT) | instid1(VALU_DEP_2)
	v_lshlrev_b64_e64 v[2:3], v2, -1
	v_lshlrev_b64_e64 v[30:31], v13, 1
	s_delay_alu instid0(VALU_DEP_2) | instskip(NEXT) | instid1(VALU_DEP_3)
	v_bfi_b32 v39, v3, 0, 0
	v_bfi_b32 v38, v2, 0, v4
	v_lshrrev_b64 v[2:3], v12, v[4:5]
	s_delay_alu instid0(VALU_DEP_1) | instskip(NEXT) | instid1(VALU_DEP_3)
	v_mov_b64_e32 v[4:5], v[2:3]
	v_cmpx_eq_u64_e64 v[38:39], v[30:31]
; %bb.5095:                             ;   in Loop: Header=BB6_4623 Depth=2
	v_bfe_u32 v4, v2, 21, 1
	v_mov_b32_e32 v5, v1
	s_delay_alu instid0(VALU_DEP_1) | instskip(NEXT) | instid1(VALU_DEP_1)
	v_add_nc_u64_e32 v[4:5], v[2:3], v[4:5]
	v_add_nc_u64_e32 v[4:5], -1, v[4:5]
; %bb.5096:                             ;   in Loop: Header=BB6_4623 Depth=2
	s_or_b32 exec_lo, exec_lo, s43
	v_add_nc_u32_e32 v0, 0xffffff81, v11
	s_delay_alu instid0(VALU_DEP_2) | instskip(SKIP_2) | instid1(VALU_DEP_3)
	v_and_b32_e32 v4, 0x1fffff, v4
	v_lshrrev_b32_e32 v3, 23, v2
	s_mov_b32 s11, exec_lo
	v_cndmask_b32_e64 v0, v0, 0xffffff82, vcc_lo
	s_delay_alu instid0(VALU_DEP_1) | instskip(SKIP_1) | instid1(VALU_DEP_2)
	v_add3_u32 v5, v12, v0, v3
	v_add_nc_u32_e32 v0, v4, v2
                                        ; implicit-def: $vgpr2_vgpr3
                                        ; implicit-def: $vgpr4
	v_add_nc_u32_e32 v11, 14, v5
	s_delay_alu instid0(VALU_DEP_1)
	v_cmpx_ne_u32_e32 0, v11
	s_xor_b32 s11, exec_lo, s11
; %bb.5097:                             ;   in Loop: Header=BB6_4623 Depth=2
	s_delay_alu instid0(VALU_DEP_3) | instskip(SKIP_1) | instid1(VALU_DEP_1)
	v_cmp_lt_u64_e32 vcc_lo, 0xffffff, v[0:1]
	v_add_nc_u32_e32 v2, 15, v5
	v_cndmask_b32_e32 v4, v11, v2, vcc_lo
	v_cndmask_b32_e64 v2, 0, 1, vcc_lo
	s_delay_alu instid0(VALU_DEP_1)
	v_lshrrev_b64 v[2:3], v2, v[0:1]
; %bb.5098:                             ;   in Loop: Header=BB6_4623 Depth=2
	s_and_not1_saveexec_b32 s11, s11
; %bb.5099:                             ;   in Loop: Header=BB6_4623 Depth=2
	v_mov_b64_e32 v[2:3], v[0:1]
	v_bfe_u32 v4, v0, 23, 1
; %bb.5100:                             ;   in Loop: Header=BB6_4623 Depth=2
	s_or_b32 exec_lo, exec_lo, s11
	s_delay_alu instid0(VALU_DEP_2) | instskip(NEXT) | instid1(VALU_DEP_2)
	v_lshrrev_b64 v[2:3], 21, v[2:3]
	v_cmp_gt_i32_e32 vcc_lo, 32, v4
	v_min_i32_e32 v0, 31, v4
	v_cmp_eq_u32_e64 s11, 0, v4
	s_delay_alu instid0(VALU_DEP_2) | instskip(SKIP_1) | instid1(VALU_DEP_2)
	v_dual_cndmask_b32 v3, 0, v3 :: v_dual_lshlrev_b32 v0, 2, v0
	v_cndmask_b32_e32 v2, 3, v2, vcc_lo
	v_and_b32_e32 v0, 0xfc, v0
	s_delay_alu instid0(VALU_DEP_2) | instskip(NEXT) | instid1(VALU_DEP_2)
	v_cmp_eq_u64_e32 vcc_lo, 0, v[2:3]
	v_and_or_b32 v0, v2, 3, v0
	s_and_b32 s11, s11, vcc_lo
	s_delay_alu instid0(VALU_DEP_1) | instid1(SALU_CYCLE_1)
	v_cndmask_b32_e64 v0, v0, 0, s11
	s_delay_alu instid0(VALU_DEP_1)
	v_or_b32_e32 v31, v0, v10
.LBB6_5101:                             ;   in Loop: Header=BB6_4623 Depth=2
	s_or_b32 exec_lo, exec_lo, s42
                                        ; implicit-def: $vgpr10
.LBB6_5102:                             ;   in Loop: Header=BB6_4623 Depth=2
	s_and_not1_saveexec_b32 s11, s41
; %bb.5103:                             ;   in Loop: Header=BB6_4623 Depth=2
	v_or_b32_e32 v31, 0x7b, v10
; %bb.5104:                             ;   in Loop: Header=BB6_4623 Depth=2
	s_or_b32 exec_lo, exec_lo, s11
                                        ; implicit-def: $vgpr2
                                        ; implicit-def: $vgpr3
.LBB6_5105:                             ;   in Loop: Header=BB6_4623 Depth=2
	s_and_not1_saveexec_b32 s11, s40
	s_cbranch_execz .LBB6_5111
; %bb.5106:                             ;   in Loop: Header=BB6_4623 Depth=2
	s_mov_b32 s40, exec_lo
                                        ; implicit-def: $vgpr31
	v_cmpx_ne_u64_e32 0, v[0:1]
	s_xor_b32 s40, exec_lo, s40
; %bb.5107:                             ;   in Loop: Header=BB6_4623 Depth=2
	v_or_b32_e32 v31, 0x7f, v3
                                        ; implicit-def: $vgpr2
; %bb.5108:                             ;   in Loop: Header=BB6_4623 Depth=2
	s_and_not1_saveexec_b32 s40, s40
; %bb.5109:                             ;   in Loop: Header=BB6_4623 Depth=2
	v_cmp_lt_i32_e32 vcc_lo, -1, v2
	v_mov_b32_e32 v0, 0x7c
	s_delay_alu instid0(VALU_DEP_1)
	v_cndmask_b32_e32 v31, 0xfc, v0, vcc_lo
; %bb.5110:                             ;   in Loop: Header=BB6_4623 Depth=2
	s_or_b32 exec_lo, exec_lo, s40
.LBB6_5111:                             ;   in Loop: Header=BB6_4623 Depth=2
	s_delay_alu instid0(SALU_CYCLE_1) | instskip(SKIP_4) | instid1(VALU_DEP_1)
	s_or_b32 exec_lo, exec_lo, s11
	global_load_b128 v[10:13], v[18:19], off th:TH_LOAD_NT
	v_lshl_or_b32 v30, v22, 8, v7
	v_dual_lshlrev_b32 v0, 16, v24 :: v_dual_lshlrev_b32 v2, 24, v27
	s_mov_b32 s11, exec_lo
	v_or3_b32 v0, v0, v2, v30
	v_mov_b32_e32 v2, 0
	s_wait_xcnt 0x0
	v_cmpx_ne_u32_e32 0, v7
	s_cbranch_execz .LBB6_5121
; %bb.5112:                             ;   in Loop: Header=BB6_4623 Depth=2
	v_bfrev_b32_e32 v2, 1
	s_mov_b32 s40, exec_lo
	v_cmpx_ne_u32_e32 0x80, v7
	s_cbranch_execz .LBB6_5120
; %bb.5113:                             ;   in Loop: Header=BB6_4623 Depth=2
	v_and_b32_e32 v2, 0x7c, v7
	v_and_b32_e32 v3, 3, v7
	s_delay_alu instid0(VALU_DEP_2) | instskip(SKIP_1) | instid1(SALU_CYCLE_1)
	v_cmp_ne_u32_e32 vcc_lo, 0x7c, v2
                                        ; implicit-def: $vgpr2
	s_and_saveexec_b32 s41, vcc_lo
	s_xor_b32 s41, exec_lo, s41
	s_cbranch_execz .LBB6_5117
; %bb.5114:                             ;   in Loop: Header=BB6_4623 Depth=2
	v_bfe_u32 v2, v7, 2, 5
	s_mov_b32 s42, exec_lo
	s_delay_alu instid0(VALU_DEP_1)
	v_cmpx_eq_u32_e32 0, v2
; %bb.5115:                             ;   in Loop: Header=BB6_4623 Depth=2
	v_clz_i32_u32_e32 v2, v3
	s_delay_alu instid0(VALU_DEP_1) | instskip(NEXT) | instid1(VALU_DEP_1)
	v_min_u32_e32 v2, 32, v2
	v_subrev_nc_u32_e32 v3, 29, v2
	s_delay_alu instid0(VALU_DEP_1) | instskip(NEXT) | instid1(VALU_DEP_1)
	v_lshlrev_b64_e32 v[4:5], v3, v[0:1]
	v_dual_sub_nc_u32 v2, 30, v2 :: v_dual_bitop2_b32 v3, 3, v4 bitop3:0x40
; %bb.5116:                             ;   in Loop: Header=BB6_4623 Depth=2
	s_or_b32 exec_lo, exec_lo, s42
	v_lshlrev_b32_e32 v4, 24, v7
                                        ; implicit-def: $vgpr7
	s_delay_alu instid0(VALU_DEP_1) | instskip(NEXT) | instid1(VALU_DEP_1)
	v_and_b32_e32 v4, 0x80000000, v4
	v_lshl_add_u32 v2, v2, 23, v4
	s_delay_alu instid0(VALU_DEP_1) | instskip(NEXT) | instid1(VALU_DEP_1)
	v_lshl_or_b32 v2, v3, 21, v2
                                        ; implicit-def: $vgpr3
	v_add_nc_u32_e32 v2, 0x38000000, v2
.LBB6_5117:                             ;   in Loop: Header=BB6_4623 Depth=2
	s_and_not1_saveexec_b32 s41, s41
; %bb.5118:                             ;   in Loop: Header=BB6_4623 Depth=2
	v_and_b32_e32 v2, 0x80, v7
	s_delay_alu instid0(VALU_DEP_1) | instskip(SKIP_1) | instid1(VALU_DEP_1)
	v_cmp_eq_u32_e32 vcc_lo, 0, v2
	v_mov_b32_e32 v2, 0x7f800000
	v_cndmask_b32_e32 v2, 0xff800000, v2, vcc_lo
	v_cmp_eq_u32_e32 vcc_lo, 0, v3
	s_delay_alu instid0(VALU_DEP_2)
	v_cndmask_b32_e32 v2, 0x7f800001, v2, vcc_lo
; %bb.5119:                             ;   in Loop: Header=BB6_4623 Depth=2
	s_or_b32 exec_lo, exec_lo, s41
.LBB6_5120:                             ;   in Loop: Header=BB6_4623 Depth=2
	s_delay_alu instid0(SALU_CYCLE_1)
	s_or_b32 exec_lo, exec_lo, s40
.LBB6_5121:                             ;   in Loop: Header=BB6_4623 Depth=2
	s_delay_alu instid0(SALU_CYCLE_1) | instskip(SKIP_4) | instid1(VALU_DEP_1)
	s_or_b32 exec_lo, exec_lo, s11
	s_wait_loadcnt 0x0
	v_and_b32_e32 v4, 0xff, v10
	s_mov_b32 s40, 0
	s_mov_b32 s11, exec_lo
	v_cmpx_lt_i16_e32 0x7f, v4
	s_xor_b32 s11, exec_lo, s11
	s_cbranch_execnz .LBB6_5638
; %bb.5122:                             ;   in Loop: Header=BB6_4623 Depth=2
	s_or_saveexec_b32 s11, s11
	v_bfrev_b32_e32 v3, 1
	s_xor_b32 exec_lo, exec_lo, s11
	s_cbranch_execnz .LBB6_5641
.LBB6_5123:                             ;   in Loop: Header=BB6_4623 Depth=2
	s_or_b32 exec_lo, exec_lo, s11
	s_and_saveexec_b32 s11, s40
	s_cbranch_execz .LBB6_5125
.LBB6_5124:                             ;   in Loop: Header=BB6_4623 Depth=2
	v_and_b32_e32 v3, 3, v10
	v_bfe_u32 v22, v10, 2, 5
	s_delay_alu instid0(VALU_DEP_2) | instskip(NEXT) | instid1(VALU_DEP_2)
	v_clz_i32_u32_e32 v4, v3
	v_cmp_eq_u32_e32 vcc_lo, 0, v22
	s_delay_alu instid0(VALU_DEP_2) | instskip(NEXT) | instid1(VALU_DEP_1)
	v_min_u32_e32 v7, 32, v4
	v_subrev_nc_u32_e32 v4, 29, v7
	s_delay_alu instid0(VALU_DEP_1) | instskip(SKIP_1) | instid1(VALU_DEP_1)
	v_lshlrev_b64_e32 v[4:5], v4, v[10:11]
	v_dual_lshlrev_b32 v5, 24, v10 :: v_dual_sub_nc_u32 v7, 30, v7
	v_and_b32_e32 v5, 0x80000000, v5
	s_delay_alu instid0(VALU_DEP_2) | instskip(SKIP_1) | instid1(VALU_DEP_2)
	v_dual_cndmask_b32 v7, v22, v7, vcc_lo :: v_dual_bitop2_b32 v4, 3, v4 bitop3:0x40
	v_bfe_i32 v22, v10, 0, 8
	v_cndmask_b32_e32 v4, v3, v4, vcc_lo
	s_delay_alu instid0(VALU_DEP_3) | instskip(NEXT) | instid1(VALU_DEP_3)
	v_lshl_add_u32 v5, v7, 23, v5
	v_cmp_lt_i16_e32 vcc_lo, -1, v22
	v_mov_b32_e32 v7, 0x7f800000
	s_delay_alu instid0(VALU_DEP_3) | instskip(SKIP_1) | instid1(VALU_DEP_3)
	v_lshl_or_b32 v4, v4, 21, v5
	v_and_b32_e32 v5, 0x7c, v10
	v_cndmask_b32_e32 v7, 0xff800000, v7, vcc_lo
	v_cmp_eq_u32_e32 vcc_lo, 0, v3
	s_delay_alu instid0(VALU_DEP_4) | instskip(NEXT) | instid1(VALU_DEP_3)
	v_add_nc_u32_e32 v4, 0x38000000, v4
	v_cndmask_b32_e32 v3, 0x7f800001, v7, vcc_lo
	v_cmp_eq_u32_e32 vcc_lo, 0x7c, v5
	s_delay_alu instid0(VALU_DEP_2)
	v_cndmask_b32_e32 v3, v4, v3, vcc_lo
.LBB6_5125:                             ;   in Loop: Header=BB6_4623 Depth=2
	s_or_b32 exec_lo, exec_lo, s11
	s_delay_alu instid0(VALU_DEP_1) | instskip(SKIP_2) | instid1(VALU_DEP_2)
	v_dual_add_f32 v4, v2, v3 :: v_dual_mov_b32 v39, v1
	v_mov_b32_e32 v3, v1
                                        ; implicit-def: $vgpr22
	s_mov_b32 s11, exec_lo
	v_and_b32_e32 v38, 0x7f800000, v4
	v_and_b32_e32 v2, 0x7fffff, v4
	v_lshrrev_b32_e32 v5, 24, v4
	s_delay_alu instid0(VALU_DEP_3)
	v_cmpx_ne_u64_e32 0x7f800000, v[38:39]
	s_xor_b32 s40, exec_lo, s11
	s_cbranch_execz .LBB6_5139
; %bb.5126:                             ;   in Loop: Header=BB6_4623 Depth=2
	v_and_b32_e32 v38, 0x7fffffff, v4
	v_mov_b32_e32 v39, v1
	v_and_b32_e32 v7, 0x80, v5
                                        ; implicit-def: $vgpr22
	s_mov_b32 s11, exec_lo
	s_delay_alu instid0(VALU_DEP_2)
	v_cmpx_gt_u64_e32 0x47600001, v[38:39]
	s_xor_b32 s41, exec_lo, s11
	s_cbranch_execz .LBB6_5136
; %bb.5127:                             ;   in Loop: Header=BB6_4623 Depth=2
	v_mov_b32_e32 v22, 0
	s_mov_b32 s42, exec_lo
	v_cmpx_ne_u32_e32 0, v4
	s_cbranch_execz .LBB6_5135
; %bb.5128:                             ;   in Loop: Header=BB6_4623 Depth=2
	v_bfe_u32 v22, v4, 23, 8
	v_or_b32_e32 v27, 0x800000, v2
	s_delay_alu instid0(VALU_DEP_2) | instskip(SKIP_1) | instid1(VALU_DEP_2)
	v_sub_nc_u32_e32 v4, 0x71, v22
	v_cmp_gt_u32_e32 vcc_lo, 0x72, v22
	v_cndmask_b32_e32 v4, 0, v4, vcc_lo
	v_cmp_eq_u32_e32 vcc_lo, 0, v22
	v_cndmask_b32_e32 v2, v27, v2, vcc_lo
	s_delay_alu instid0(VALU_DEP_3) | instskip(NEXT) | instid1(VALU_DEP_1)
	v_cndmask_b32_e64 v24, v4, 0x70, vcc_lo
	v_dual_add_nc_u32 v4, 21, v24 :: v_dual_add_nc_u32 v37, 20, v24
	s_delay_alu instid0(VALU_DEP_1) | instskip(NEXT) | instid1(VALU_DEP_2)
	v_lshlrev_b64_e64 v[4:5], v4, -1
	v_lshlrev_b64_e64 v[38:39], v37, 1
	s_delay_alu instid0(VALU_DEP_2) | instskip(SKIP_1) | instid1(VALU_DEP_4)
	v_bfi_b32 v4, v4, 0, v2
	v_lshrrev_b64 v[2:3], v24, v[2:3]
	v_bfi_b32 v5, v5, 0, 0
	s_delay_alu instid0(VALU_DEP_1) | instskip(NEXT) | instid1(VALU_DEP_3)
	v_cmp_eq_u64_e64 s11, v[4:5], v[38:39]
	v_mov_b64_e32 v[4:5], v[2:3]
	s_and_saveexec_b32 s43, s11
; %bb.5129:                             ;   in Loop: Header=BB6_4623 Depth=2
	v_bfe_u32 v4, v2, 21, 1
	v_mov_b32_e32 v5, v1
	s_delay_alu instid0(VALU_DEP_1) | instskip(NEXT) | instid1(VALU_DEP_1)
	v_add_nc_u64_e32 v[4:5], v[2:3], v[4:5]
	v_add_nc_u64_e32 v[4:5], -1, v[4:5]
; %bb.5130:                             ;   in Loop: Header=BB6_4623 Depth=2
	s_or_b32 exec_lo, exec_lo, s43
	v_add_nc_u32_e32 v3, 0xffffff81, v22
	v_lshrrev_b32_e32 v5, 23, v2
	s_mov_b32 s11, exec_lo
	s_delay_alu instid0(VALU_DEP_2) | instskip(NEXT) | instid1(VALU_DEP_1)
	v_cndmask_b32_e64 v3, v3, 0xffffff82, vcc_lo
	v_add3_u32 v5, v24, v3, v5
	v_and_b32_e32 v3, 0x1fffff, v4
                                        ; implicit-def: $vgpr4
	s_delay_alu instid0(VALU_DEP_1) | instskip(SKIP_1) | instid1(VALU_DEP_2)
	v_dual_add_nc_u32 v22, 14, v5 :: v_dual_add_nc_u32 v2, v3, v2
	v_mov_b32_e32 v3, v1
	v_cmpx_ne_u32_e32 0, v22
	s_xor_b32 s11, exec_lo, s11
; %bb.5131:                             ;   in Loop: Header=BB6_4623 Depth=2
	s_delay_alu instid0(VALU_DEP_2) | instskip(SKIP_2) | instid1(VALU_DEP_2)
	v_cmp_lt_u64_e32 vcc_lo, 0xffffff, v[2:3]
	v_add_nc_u32_e32 v4, 15, v5
	v_cndmask_b32_e64 v5, 0, 1, vcc_lo
	v_cndmask_b32_e32 v4, v22, v4, vcc_lo
	s_delay_alu instid0(VALU_DEP_2)
	v_lshrrev_b64 v[2:3], v5, v[2:3]
; %bb.5132:                             ;   in Loop: Header=BB6_4623 Depth=2
	s_and_not1_saveexec_b32 s11, s11
; %bb.5133:                             ;   in Loop: Header=BB6_4623 Depth=2
	s_delay_alu instid0(VALU_DEP_1)
	v_bfe_u32 v4, v2, 23, 1
; %bb.5134:                             ;   in Loop: Header=BB6_4623 Depth=2
	s_or_b32 exec_lo, exec_lo, s11
	s_delay_alu instid0(VALU_DEP_2) | instskip(NEXT) | instid1(VALU_DEP_2)
	v_lshrrev_b64 v[2:3], 21, v[2:3]
	v_cmp_gt_i32_e32 vcc_lo, 32, v4
	v_min_i32_e32 v5, 31, v4
	v_cmp_eq_u32_e64 s11, 0, v4
	s_delay_alu instid0(VALU_DEP_2) | instskip(SKIP_1) | instid1(VALU_DEP_2)
	v_dual_cndmask_b32 v3, 0, v3, vcc_lo :: v_dual_lshlrev_b32 v5, 2, v5
	v_cndmask_b32_e32 v2, 3, v2, vcc_lo
	v_and_b32_e32 v5, 0xfc, v5
	s_delay_alu instid0(VALU_DEP_2) | instskip(NEXT) | instid1(VALU_DEP_2)
	v_cmp_eq_u64_e32 vcc_lo, 0, v[2:3]
	v_and_or_b32 v2, v2, 3, v5
	s_and_b32 s11, s11, vcc_lo
	s_delay_alu instid0(VALU_DEP_1) | instid1(SALU_CYCLE_1)
	v_cndmask_b32_e64 v2, v2, 0, s11
	s_delay_alu instid0(VALU_DEP_1)
	v_or_b32_e32 v22, v2, v7
.LBB6_5135:                             ;   in Loop: Header=BB6_4623 Depth=2
	s_or_b32 exec_lo, exec_lo, s42
                                        ; implicit-def: $vgpr7
.LBB6_5136:                             ;   in Loop: Header=BB6_4623 Depth=2
	s_and_not1_saveexec_b32 s11, s41
; %bb.5137:                             ;   in Loop: Header=BB6_4623 Depth=2
	v_or_b32_e32 v22, 0x7b, v7
; %bb.5138:                             ;   in Loop: Header=BB6_4623 Depth=2
	s_or_b32 exec_lo, exec_lo, s11
                                        ; implicit-def: $vgpr4
                                        ; implicit-def: $vgpr2_vgpr3
                                        ; implicit-def: $vgpr5
.LBB6_5139:                             ;   in Loop: Header=BB6_4623 Depth=2
	s_and_not1_saveexec_b32 s11, s40
	s_cbranch_execz .LBB6_5145
; %bb.5140:                             ;   in Loop: Header=BB6_4623 Depth=2
	s_mov_b32 s40, exec_lo
                                        ; implicit-def: $vgpr22
	v_cmpx_ne_u64_e32 0, v[2:3]
	s_xor_b32 s40, exec_lo, s40
; %bb.5141:                             ;   in Loop: Header=BB6_4623 Depth=2
	v_or_b32_e32 v22, 0x7f, v5
                                        ; implicit-def: $vgpr4
; %bb.5142:                             ;   in Loop: Header=BB6_4623 Depth=2
	s_and_not1_saveexec_b32 s40, s40
; %bb.5143:                             ;   in Loop: Header=BB6_4623 Depth=2
	v_cmp_lt_i32_e32 vcc_lo, -1, v4
	v_mov_b32_e32 v2, 0x7c
	s_delay_alu instid0(VALU_DEP_1)
	v_cndmask_b32_e32 v22, 0xfc, v2, vcc_lo
; %bb.5144:                             ;   in Loop: Header=BB6_4623 Depth=2
	s_or_b32 exec_lo, exec_lo, s40
.LBB6_5145:                             ;   in Loop: Header=BB6_4623 Depth=2
	s_delay_alu instid0(SALU_CYCLE_1) | instskip(SKIP_3) | instid1(VALU_DEP_2)
	s_or_b32 exec_lo, exec_lo, s11
	v_lshrrev_b16 v2, 8, v30
	v_mov_b32_e32 v4, 0
	s_mov_b32 s11, exec_lo
	v_cmpx_ne_u16_e32 0, v2
	s_cbranch_execz .LBB6_5155
; %bb.5146:                             ;   in Loop: Header=BB6_4623 Depth=2
	v_bfrev_b32_e32 v4, 1
	s_mov_b32 s40, exec_lo
	v_cmpx_ne_u16_e32 0x80, v2
	s_cbranch_execz .LBB6_5154
; %bb.5147:                             ;   in Loop: Header=BB6_4623 Depth=2
	v_and_b32_e32 v5, 0xffff, v2
	s_delay_alu instid0(VALU_DEP_1) | instskip(SKIP_1) | instid1(VALU_DEP_2)
	v_and_b32_e32 v4, 0x7c, v5
	v_and_b32_e32 v3, 3, v5
	v_cmp_ne_u32_e32 vcc_lo, 0x7c, v4
                                        ; implicit-def: $vgpr4
	s_and_saveexec_b32 s41, vcc_lo
	s_delay_alu instid0(SALU_CYCLE_1)
	s_xor_b32 s41, exec_lo, s41
	s_cbranch_execz .LBB6_5151
; %bb.5148:                             ;   in Loop: Header=BB6_4623 Depth=2
	v_bfe_u32 v4, v5, 2, 5
	s_mov_b32 s42, exec_lo
	s_delay_alu instid0(VALU_DEP_1)
	v_cmpx_eq_u32_e32 0, v4
	s_cbranch_execz .LBB6_5150
; %bb.5149:                             ;   in Loop: Header=BB6_4623 Depth=2
	v_clz_i32_u32_e32 v3, v3
	s_delay_alu instid0(VALU_DEP_1) | instskip(SKIP_1) | instid1(VALU_DEP_2)
	v_min_u32_e32 v4, 32, v3
	v_mov_b32_e32 v3, v1
	v_subrev_nc_u32_e32 v5, 29, v4
	v_sub_nc_u32_e32 v4, 30, v4
	s_delay_alu instid0(VALU_DEP_2) | instskip(NEXT) | instid1(VALU_DEP_1)
	v_lshlrev_b64_e32 v[2:3], v5, v[2:3]
	v_and_b32_e32 v3, 3, v2
.LBB6_5150:                             ;   in Loop: Header=BB6_4623 Depth=2
	s_or_b32 exec_lo, exec_lo, s42
	v_lshlrev_b32_e32 v2, 16, v30
                                        ; implicit-def: $vgpr30
	s_delay_alu instid0(VALU_DEP_1) | instskip(NEXT) | instid1(VALU_DEP_1)
	v_and_b32_e32 v2, 0x80000000, v2
	v_lshl_add_u32 v2, v4, 23, v2
	s_delay_alu instid0(VALU_DEP_1) | instskip(NEXT) | instid1(VALU_DEP_1)
	v_lshl_or_b32 v2, v3, 21, v2
                                        ; implicit-def: $vgpr3
	v_add_nc_u32_e32 v4, 0x38000000, v2
.LBB6_5151:                             ;   in Loop: Header=BB6_4623 Depth=2
	s_and_not1_saveexec_b32 s41, s41
; %bb.5152:                             ;   in Loop: Header=BB6_4623 Depth=2
	v_cmp_lt_i16_e32 vcc_lo, -1, v30
	v_mov_b32_e32 v2, 0x7f800000
	s_delay_alu instid0(VALU_DEP_1) | instskip(SKIP_1) | instid1(VALU_DEP_2)
	v_cndmask_b32_e32 v2, 0xff800000, v2, vcc_lo
	v_cmp_eq_u32_e32 vcc_lo, 0, v3
	v_cndmask_b32_e32 v4, 0x7f800001, v2, vcc_lo
; %bb.5153:                             ;   in Loop: Header=BB6_4623 Depth=2
	s_or_b32 exec_lo, exec_lo, s41
.LBB6_5154:                             ;   in Loop: Header=BB6_4623 Depth=2
	s_delay_alu instid0(SALU_CYCLE_1)
	s_or_b32 exec_lo, exec_lo, s40
.LBB6_5155:                             ;   in Loop: Header=BB6_4623 Depth=2
	s_delay_alu instid0(SALU_CYCLE_1) | instskip(SKIP_3) | instid1(VALU_DEP_1)
	s_or_b32 exec_lo, exec_lo, s11
	v_lshrrev_b16 v2, 8, v10
	s_mov_b32 s40, 0
	s_mov_b32 s11, exec_lo
	v_cmpx_lt_i16_e32 0x7f, v2
	s_xor_b32 s11, exec_lo, s11
	s_cbranch_execnz .LBB6_5642
; %bb.5156:                             ;   in Loop: Header=BB6_4623 Depth=2
	s_or_saveexec_b32 s11, s11
	v_bfrev_b32_e32 v3, 1
	s_xor_b32 exec_lo, exec_lo, s11
	s_cbranch_execnz .LBB6_5645
.LBB6_5157:                             ;   in Loop: Header=BB6_4623 Depth=2
	s_or_b32 exec_lo, exec_lo, s11
	s_and_saveexec_b32 s11, s40
	s_cbranch_execz .LBB6_5159
.LBB6_5158:                             ;   in Loop: Header=BB6_4623 Depth=2
	v_and_b32_e32 v5, 0xffff, v2
	s_delay_alu instid0(VALU_DEP_1) | instskip(NEXT) | instid1(VALU_DEP_1)
	v_and_b32_e32 v7, 3, v5
	v_clz_i32_u32_e32 v3, v7
	s_delay_alu instid0(VALU_DEP_1) | instskip(SKIP_1) | instid1(VALU_DEP_2)
	v_min_u32_e32 v24, 32, v3
	v_mov_b32_e32 v3, v1
	v_subrev_nc_u32_e32 v27, 29, v24
	v_sub_nc_u32_e32 v24, 30, v24
	s_delay_alu instid0(VALU_DEP_2) | instskip(SKIP_3) | instid1(VALU_DEP_3)
	v_lshlrev_b64_e32 v[38:39], v27, v[2:3]
	v_bfe_u32 v3, v5, 2, 5
	v_lshlrev_b32_e32 v2, 24, v2
	v_and_b32_e32 v5, 0x7c, v5
	v_cmp_eq_u32_e32 vcc_lo, 0, v3
	s_delay_alu instid0(VALU_DEP_3) | instskip(SKIP_1) | instid1(VALU_DEP_1)
	v_and_b32_e32 v2, 0x80000000, v2
	v_dual_cndmask_b32 v3, v3, v24, vcc_lo :: v_dual_bitop2_b32 v27, 3, v38 bitop3:0x40
	v_cndmask_b32_e32 v24, v7, v27, vcc_lo
	v_cmp_lt_i16_e32 vcc_lo, -1, v10
	s_delay_alu instid0(VALU_DEP_3) | instskip(SKIP_1) | instid1(VALU_DEP_2)
	v_lshl_add_u32 v2, v3, 23, v2
	v_mov_b32_e32 v3, 0x7f800000
	v_lshl_or_b32 v2, v24, 21, v2
	s_delay_alu instid0(VALU_DEP_2) | instskip(SKIP_1) | instid1(VALU_DEP_3)
	v_cndmask_b32_e32 v3, 0xff800000, v3, vcc_lo
	v_cmp_eq_u32_e32 vcc_lo, 0, v7
	v_add_nc_u32_e32 v2, 0x38000000, v2
	s_delay_alu instid0(VALU_DEP_3) | instskip(SKIP_1) | instid1(VALU_DEP_2)
	v_cndmask_b32_e32 v3, 0x7f800001, v3, vcc_lo
	v_cmp_eq_u32_e32 vcc_lo, 0x7c, v5
	v_cndmask_b32_e32 v3, v2, v3, vcc_lo
.LBB6_5159:                             ;   in Loop: Header=BB6_4623 Depth=2
	s_or_b32 exec_lo, exec_lo, s11
	s_delay_alu instid0(VALU_DEP_1) | instskip(SKIP_2) | instid1(VALU_DEP_2)
	v_dual_add_f32 v4, v4, v3 :: v_dual_mov_b32 v39, v1
	v_mov_b32_e32 v3, v1
                                        ; implicit-def: $vgpr24
	s_mov_b32 s11, exec_lo
	v_and_b32_e32 v38, 0x7f800000, v4
	v_and_b32_e32 v2, 0x7fffff, v4
	v_lshrrev_b32_e32 v5, 24, v4
	s_delay_alu instid0(VALU_DEP_3)
	v_cmpx_ne_u64_e32 0x7f800000, v[38:39]
	s_xor_b32 s40, exec_lo, s11
	s_cbranch_execz .LBB6_5173
; %bb.5160:                             ;   in Loop: Header=BB6_4623 Depth=2
	v_and_b32_e32 v38, 0x7fffffff, v4
	v_mov_b32_e32 v39, v1
	v_and_b32_e32 v7, 0x80, v5
                                        ; implicit-def: $vgpr24
	s_mov_b32 s11, exec_lo
	s_delay_alu instid0(VALU_DEP_2)
	v_cmpx_gt_u64_e32 0x47600001, v[38:39]
	s_xor_b32 s41, exec_lo, s11
	s_cbranch_execz .LBB6_5170
; %bb.5161:                             ;   in Loop: Header=BB6_4623 Depth=2
	v_mov_b32_e32 v24, 0
	s_mov_b32 s42, exec_lo
	v_cmpx_ne_u32_e32 0, v4
	s_cbranch_execz .LBB6_5169
; %bb.5162:                             ;   in Loop: Header=BB6_4623 Depth=2
	v_bfe_u32 v24, v4, 23, 8
	v_or_b32_e32 v30, 0x800000, v2
	s_delay_alu instid0(VALU_DEP_2) | instskip(SKIP_1) | instid1(VALU_DEP_2)
	v_sub_nc_u32_e32 v4, 0x71, v24
	v_cmp_gt_u32_e32 vcc_lo, 0x72, v24
	v_cndmask_b32_e32 v4, 0, v4, vcc_lo
	v_cmp_eq_u32_e32 vcc_lo, 0, v24
	s_delay_alu instid0(VALU_DEP_2) | instskip(NEXT) | instid1(VALU_DEP_1)
	v_cndmask_b32_e64 v27, v4, 0x70, vcc_lo
	v_dual_cndmask_b32 v2, v30, v2, vcc_lo :: v_dual_add_nc_u32 v4, 21, v27
	v_add_nc_u32_e32 v37, 20, v27
	s_delay_alu instid0(VALU_DEP_2) | instskip(NEXT) | instid1(VALU_DEP_2)
	v_lshlrev_b64_e64 v[4:5], v4, -1
	v_lshlrev_b64_e64 v[38:39], v37, 1
	s_delay_alu instid0(VALU_DEP_2) | instskip(SKIP_1) | instid1(VALU_DEP_4)
	v_bfi_b32 v4, v4, 0, v2
	v_lshrrev_b64 v[2:3], v27, v[2:3]
	v_bfi_b32 v5, v5, 0, 0
	s_delay_alu instid0(VALU_DEP_1) | instskip(NEXT) | instid1(VALU_DEP_3)
	v_cmp_eq_u64_e64 s11, v[4:5], v[38:39]
	v_mov_b64_e32 v[4:5], v[2:3]
	s_and_saveexec_b32 s43, s11
; %bb.5163:                             ;   in Loop: Header=BB6_4623 Depth=2
	v_bfe_u32 v4, v2, 21, 1
	v_mov_b32_e32 v5, v1
	s_delay_alu instid0(VALU_DEP_1) | instskip(NEXT) | instid1(VALU_DEP_1)
	v_add_nc_u64_e32 v[4:5], v[2:3], v[4:5]
	v_add_nc_u64_e32 v[4:5], -1, v[4:5]
; %bb.5164:                             ;   in Loop: Header=BB6_4623 Depth=2
	s_or_b32 exec_lo, exec_lo, s43
	v_add_nc_u32_e32 v3, 0xffffff81, v24
	v_lshrrev_b32_e32 v5, 23, v2
	s_mov_b32 s11, exec_lo
	s_delay_alu instid0(VALU_DEP_2) | instskip(NEXT) | instid1(VALU_DEP_1)
	v_cndmask_b32_e64 v3, v3, 0xffffff82, vcc_lo
	v_add3_u32 v5, v27, v3, v5
	v_and_b32_e32 v3, 0x1fffff, v4
                                        ; implicit-def: $vgpr4
	s_delay_alu instid0(VALU_DEP_1) | instskip(SKIP_1) | instid1(VALU_DEP_2)
	v_dual_add_nc_u32 v24, 14, v5 :: v_dual_add_nc_u32 v2, v3, v2
	v_mov_b32_e32 v3, v1
	v_cmpx_ne_u32_e32 0, v24
	s_xor_b32 s11, exec_lo, s11
; %bb.5165:                             ;   in Loop: Header=BB6_4623 Depth=2
	s_delay_alu instid0(VALU_DEP_2) | instskip(SKIP_2) | instid1(VALU_DEP_2)
	v_cmp_lt_u64_e32 vcc_lo, 0xffffff, v[2:3]
	v_add_nc_u32_e32 v4, 15, v5
	v_cndmask_b32_e64 v5, 0, 1, vcc_lo
	v_cndmask_b32_e32 v4, v24, v4, vcc_lo
	s_delay_alu instid0(VALU_DEP_2)
	v_lshrrev_b64 v[2:3], v5, v[2:3]
; %bb.5166:                             ;   in Loop: Header=BB6_4623 Depth=2
	s_and_not1_saveexec_b32 s11, s11
; %bb.5167:                             ;   in Loop: Header=BB6_4623 Depth=2
	s_delay_alu instid0(VALU_DEP_1)
	v_bfe_u32 v4, v2, 23, 1
; %bb.5168:                             ;   in Loop: Header=BB6_4623 Depth=2
	s_or_b32 exec_lo, exec_lo, s11
	s_delay_alu instid0(VALU_DEP_2) | instskip(NEXT) | instid1(VALU_DEP_2)
	v_lshrrev_b64 v[2:3], 21, v[2:3]
	v_cmp_gt_i32_e32 vcc_lo, 32, v4
	v_min_i32_e32 v5, 31, v4
	v_cmp_eq_u32_e64 s11, 0, v4
	s_delay_alu instid0(VALU_DEP_2) | instskip(SKIP_1) | instid1(VALU_DEP_2)
	v_dual_cndmask_b32 v3, 0, v3, vcc_lo :: v_dual_lshlrev_b32 v5, 2, v5
	v_cndmask_b32_e32 v2, 3, v2, vcc_lo
	v_and_b32_e32 v5, 0xfc, v5
	s_delay_alu instid0(VALU_DEP_2) | instskip(NEXT) | instid1(VALU_DEP_2)
	v_cmp_eq_u64_e32 vcc_lo, 0, v[2:3]
	v_and_or_b32 v2, v2, 3, v5
	s_and_b32 s11, s11, vcc_lo
	s_delay_alu instid0(VALU_DEP_1) | instid1(SALU_CYCLE_1)
	v_cndmask_b32_e64 v2, v2, 0, s11
	s_delay_alu instid0(VALU_DEP_1)
	v_or_b32_e32 v24, v2, v7
.LBB6_5169:                             ;   in Loop: Header=BB6_4623 Depth=2
	s_or_b32 exec_lo, exec_lo, s42
                                        ; implicit-def: $vgpr7
.LBB6_5170:                             ;   in Loop: Header=BB6_4623 Depth=2
	s_and_not1_saveexec_b32 s11, s41
; %bb.5171:                             ;   in Loop: Header=BB6_4623 Depth=2
	v_or_b32_e32 v24, 0x7b, v7
; %bb.5172:                             ;   in Loop: Header=BB6_4623 Depth=2
	s_or_b32 exec_lo, exec_lo, s11
                                        ; implicit-def: $vgpr4
                                        ; implicit-def: $vgpr2_vgpr3
                                        ; implicit-def: $vgpr5
.LBB6_5173:                             ;   in Loop: Header=BB6_4623 Depth=2
	s_and_not1_saveexec_b32 s11, s40
	s_cbranch_execz .LBB6_5179
; %bb.5174:                             ;   in Loop: Header=BB6_4623 Depth=2
	s_mov_b32 s40, exec_lo
                                        ; implicit-def: $vgpr24
	v_cmpx_ne_u64_e32 0, v[2:3]
	s_xor_b32 s40, exec_lo, s40
; %bb.5175:                             ;   in Loop: Header=BB6_4623 Depth=2
	v_or_b32_e32 v24, 0x7f, v5
                                        ; implicit-def: $vgpr4
; %bb.5176:                             ;   in Loop: Header=BB6_4623 Depth=2
	s_and_not1_saveexec_b32 s40, s40
; %bb.5177:                             ;   in Loop: Header=BB6_4623 Depth=2
	v_cmp_lt_i32_e32 vcc_lo, -1, v4
	v_mov_b32_e32 v2, 0x7c
	s_delay_alu instid0(VALU_DEP_1)
	v_cndmask_b32_e32 v24, 0xfc, v2, vcc_lo
; %bb.5178:                             ;   in Loop: Header=BB6_4623 Depth=2
	s_or_b32 exec_lo, exec_lo, s40
.LBB6_5179:                             ;   in Loop: Header=BB6_4623 Depth=2
	s_delay_alu instid0(SALU_CYCLE_1) | instskip(SKIP_2) | instid1(VALU_DEP_1)
	s_or_b32 exec_lo, exec_lo, s11
	v_dual_mov_b32 v3, 0 :: v_dual_lshrrev_b32 v2, 16, v0
	s_mov_b32 s11, exec_lo
	v_and_b32_e32 v4, 0xff, v2
	s_delay_alu instid0(VALU_DEP_1)
	v_cmpx_ne_u16_e32 0, v4
	s_cbranch_execz .LBB6_5189
; %bb.5180:                             ;   in Loop: Header=BB6_4623 Depth=2
	v_bfrev_b32_e32 v3, 1
	s_mov_b32 s40, exec_lo
	v_cmpx_ne_u16_e32 0x80, v4
	s_cbranch_execz .LBB6_5188
; %bb.5181:                             ;   in Loop: Header=BB6_4623 Depth=2
	v_and_b32_e32 v3, 0x7c0000, v0
	v_bfe_u32 v4, v0, 16, 2
	s_delay_alu instid0(VALU_DEP_2) | instskip(SKIP_1) | instid1(SALU_CYCLE_1)
	v_cmp_ne_u32_e32 vcc_lo, 0x7c0000, v3
                                        ; implicit-def: $vgpr3
	s_and_saveexec_b32 s41, vcc_lo
	s_xor_b32 s41, exec_lo, s41
	s_cbranch_execz .LBB6_5185
; %bb.5182:                             ;   in Loop: Header=BB6_4623 Depth=2
	v_bfe_u32 v3, v0, 18, 5
	v_lshrrev_b32_e32 v2, 16, v0
	s_mov_b32 s42, exec_lo
	s_delay_alu instid0(VALU_DEP_2)
	v_cmpx_eq_u32_e32 0, v3
; %bb.5183:                             ;   in Loop: Header=BB6_4623 Depth=2
	v_clz_i32_u32_e32 v3, v4
	s_delay_alu instid0(VALU_DEP_1) | instskip(NEXT) | instid1(VALU_DEP_1)
	v_min_u32_e32 v3, 32, v3
	v_subrev_nc_u32_e32 v4, 29, v3
	s_delay_alu instid0(VALU_DEP_1) | instskip(NEXT) | instid1(VALU_DEP_1)
	v_lshlrev_b64_e32 v[4:5], v4, v[2:3]
	v_dual_sub_nc_u32 v3, 30, v3 :: v_dual_bitop2_b32 v4, 3, v4 bitop3:0x40
; %bb.5184:                             ;   in Loop: Header=BB6_4623 Depth=2
	s_or_b32 exec_lo, exec_lo, s42
	v_lshlrev_b32_e32 v2, 24, v2
	s_delay_alu instid0(VALU_DEP_1) | instskip(NEXT) | instid1(VALU_DEP_1)
	v_and_b32_e32 v2, 0x80000000, v2
	v_lshl_add_u32 v2, v3, 23, v2
	s_delay_alu instid0(VALU_DEP_1) | instskip(NEXT) | instid1(VALU_DEP_1)
	v_lshl_or_b32 v2, v4, 21, v2
                                        ; implicit-def: $vgpr4
	v_add_nc_u32_e32 v3, 0x38000000, v2
                                        ; implicit-def: $vgpr2
.LBB6_5185:                             ;   in Loop: Header=BB6_4623 Depth=2
	s_and_not1_saveexec_b32 s41, s41
; %bb.5186:                             ;   in Loop: Header=BB6_4623 Depth=2
	v_bfe_i32 v2, v2, 0, 8
	s_delay_alu instid0(VALU_DEP_1) | instskip(SKIP_1) | instid1(VALU_DEP_1)
	v_cmp_lt_i16_e32 vcc_lo, -1, v2
	v_mov_b32_e32 v2, 0x7f800000
	v_cndmask_b32_e32 v2, 0xff800000, v2, vcc_lo
	v_cmp_eq_u32_e32 vcc_lo, 0, v4
	s_delay_alu instid0(VALU_DEP_2)
	v_cndmask_b32_e32 v3, 0x7f800001, v2, vcc_lo
; %bb.5187:                             ;   in Loop: Header=BB6_4623 Depth=2
	s_or_b32 exec_lo, exec_lo, s41
.LBB6_5188:                             ;   in Loop: Header=BB6_4623 Depth=2
	s_delay_alu instid0(SALU_CYCLE_1)
	s_or_b32 exec_lo, exec_lo, s40
.LBB6_5189:                             ;   in Loop: Header=BB6_4623 Depth=2
	s_delay_alu instid0(SALU_CYCLE_1) | instskip(SKIP_3) | instid1(VALU_DEP_1)
	s_or_b32 exec_lo, exec_lo, s11
	v_lshrrev_b32_e32 v2, 16, v10
	s_mov_b32 s40, 0
	s_mov_b32 s11, exec_lo
	v_and_b32_e32 v5, 0xff, v2
	s_delay_alu instid0(VALU_DEP_1)
	v_cmpx_lt_i16_e32 0x7f, v5
	s_xor_b32 s11, exec_lo, s11
	s_cbranch_execnz .LBB6_5646
; %bb.5190:                             ;   in Loop: Header=BB6_4623 Depth=2
	s_or_saveexec_b32 s11, s11
	v_bfrev_b32_e32 v4, 1
	s_xor_b32 exec_lo, exec_lo, s11
	s_cbranch_execnz .LBB6_5649
.LBB6_5191:                             ;   in Loop: Header=BB6_4623 Depth=2
	s_or_b32 exec_lo, exec_lo, s11
	s_and_saveexec_b32 s11, s40
	s_cbranch_execz .LBB6_5193
.LBB6_5192:                             ;   in Loop: Header=BB6_4623 Depth=2
	v_and_b32_e32 v7, 3, v2
	v_bfe_u32 v30, v10, 18, 5
	s_delay_alu instid0(VALU_DEP_2) | instskip(NEXT) | instid1(VALU_DEP_2)
	v_clz_i32_u32_e32 v4, v7
	v_cmp_eq_u32_e32 vcc_lo, 0, v30
	s_delay_alu instid0(VALU_DEP_2) | instskip(NEXT) | instid1(VALU_DEP_1)
	v_min_u32_e32 v27, 32, v4
	v_subrev_nc_u32_e32 v4, 29, v27
	s_delay_alu instid0(VALU_DEP_1) | instskip(SKIP_2) | instid1(VALU_DEP_2)
	v_lshlrev_b64_e32 v[4:5], v4, v[2:3]
	v_dual_lshlrev_b32 v5, 24, v2 :: v_dual_sub_nc_u32 v27, 30, v27
	v_bfe_i32 v2, v2, 0, 8
	v_and_b32_e32 v5, 0x80000000, v5
	s_delay_alu instid0(VALU_DEP_3) | instskip(NEXT) | instid1(VALU_DEP_1)
	v_dual_cndmask_b32 v27, v30, v27, vcc_lo :: v_dual_bitop2_b32 v4, 3, v4 bitop3:0x40
	v_cndmask_b32_e32 v4, v7, v4, vcc_lo
	s_delay_alu instid0(VALU_DEP_2) | instskip(SKIP_2) | instid1(VALU_DEP_3)
	v_lshl_add_u32 v5, v27, 23, v5
	v_cmp_lt_i16_e32 vcc_lo, -1, v2
	v_mov_b32_e32 v2, 0x7f800000
	v_lshl_or_b32 v4, v4, 21, v5
	v_and_b32_e32 v5, 0x7c0000, v10
	s_delay_alu instid0(VALU_DEP_3) | instskip(SKIP_1) | instid1(VALU_DEP_4)
	v_cndmask_b32_e32 v2, 0xff800000, v2, vcc_lo
	v_cmp_eq_u32_e32 vcc_lo, 0, v7
	v_add_nc_u32_e32 v4, 0x38000000, v4
	s_delay_alu instid0(VALU_DEP_3) | instskip(SKIP_1) | instid1(VALU_DEP_2)
	v_cndmask_b32_e32 v2, 0x7f800001, v2, vcc_lo
	v_cmp_eq_u32_e32 vcc_lo, 0x7c0000, v5
	v_cndmask_b32_e32 v4, v4, v2, vcc_lo
.LBB6_5193:                             ;   in Loop: Header=BB6_4623 Depth=2
	s_or_b32 exec_lo, exec_lo, s11
	s_delay_alu instid0(VALU_DEP_1) | instskip(SKIP_2) | instid1(VALU_DEP_2)
	v_dual_add_f32 v4, v3, v4 :: v_dual_mov_b32 v39, v1
	v_mov_b32_e32 v3, v1
                                        ; implicit-def: $vgpr27
	s_mov_b32 s11, exec_lo
	v_and_b32_e32 v38, 0x7f800000, v4
	v_and_b32_e32 v2, 0x7fffff, v4
	v_lshrrev_b32_e32 v5, 24, v4
	s_delay_alu instid0(VALU_DEP_3)
	v_cmpx_ne_u64_e32 0x7f800000, v[38:39]
	s_xor_b32 s40, exec_lo, s11
	s_cbranch_execz .LBB6_5207
; %bb.5194:                             ;   in Loop: Header=BB6_4623 Depth=2
	v_and_b32_e32 v38, 0x7fffffff, v4
	v_mov_b32_e32 v39, v1
	v_and_b32_e32 v7, 0x80, v5
                                        ; implicit-def: $vgpr27
	s_mov_b32 s11, exec_lo
	s_delay_alu instid0(VALU_DEP_2)
	v_cmpx_gt_u64_e32 0x47600001, v[38:39]
	s_xor_b32 s41, exec_lo, s11
	s_cbranch_execz .LBB6_5204
; %bb.5195:                             ;   in Loop: Header=BB6_4623 Depth=2
	v_mov_b32_e32 v27, 0
	s_mov_b32 s42, exec_lo
	v_cmpx_ne_u32_e32 0, v4
	s_cbranch_execz .LBB6_5203
; %bb.5196:                             ;   in Loop: Header=BB6_4623 Depth=2
	v_bfe_u32 v27, v4, 23, 8
	v_or_b32_e32 v37, 0x800000, v2
	s_delay_alu instid0(VALU_DEP_2) | instskip(SKIP_1) | instid1(VALU_DEP_2)
	v_sub_nc_u32_e32 v4, 0x71, v27
	v_cmp_gt_u32_e32 vcc_lo, 0x72, v27
	v_cndmask_b32_e32 v4, 0, v4, vcc_lo
	v_cmp_eq_u32_e32 vcc_lo, 0, v27
	s_delay_alu instid0(VALU_DEP_2) | instskip(SKIP_1) | instid1(VALU_DEP_2)
	v_cndmask_b32_e64 v30, v4, 0x70, vcc_lo
	v_cndmask_b32_e32 v2, v37, v2, vcc_lo
	v_dual_add_nc_u32 v4, 21, v30 :: v_dual_add_nc_u32 v38, 20, v30
	s_delay_alu instid0(VALU_DEP_1) | instskip(NEXT) | instid1(VALU_DEP_2)
	v_lshlrev_b64_e64 v[4:5], v4, -1
	v_lshlrev_b64_e64 v[38:39], v38, 1
	s_delay_alu instid0(VALU_DEP_2) | instskip(SKIP_1) | instid1(VALU_DEP_4)
	v_bfi_b32 v4, v4, 0, v2
	v_lshrrev_b64 v[2:3], v30, v[2:3]
	v_bfi_b32 v5, v5, 0, 0
	s_delay_alu instid0(VALU_DEP_1) | instskip(NEXT) | instid1(VALU_DEP_3)
	v_cmp_eq_u64_e64 s11, v[4:5], v[38:39]
	v_mov_b64_e32 v[4:5], v[2:3]
	s_and_saveexec_b32 s43, s11
; %bb.5197:                             ;   in Loop: Header=BB6_4623 Depth=2
	v_bfe_u32 v4, v2, 21, 1
	v_mov_b32_e32 v5, v1
	s_delay_alu instid0(VALU_DEP_1) | instskip(NEXT) | instid1(VALU_DEP_1)
	v_add_nc_u64_e32 v[4:5], v[2:3], v[4:5]
	v_add_nc_u64_e32 v[4:5], -1, v[4:5]
; %bb.5198:                             ;   in Loop: Header=BB6_4623 Depth=2
	s_or_b32 exec_lo, exec_lo, s43
	v_add_nc_u32_e32 v3, 0xffffff81, v27
	v_lshrrev_b32_e32 v5, 23, v2
	s_mov_b32 s11, exec_lo
	s_delay_alu instid0(VALU_DEP_2) | instskip(NEXT) | instid1(VALU_DEP_1)
	v_cndmask_b32_e64 v3, v3, 0xffffff82, vcc_lo
	v_add3_u32 v5, v30, v3, v5
	v_and_b32_e32 v3, 0x1fffff, v4
                                        ; implicit-def: $vgpr4
	s_delay_alu instid0(VALU_DEP_1) | instskip(SKIP_1) | instid1(VALU_DEP_2)
	v_dual_add_nc_u32 v27, 14, v5 :: v_dual_add_nc_u32 v2, v3, v2
	v_mov_b32_e32 v3, v1
	v_cmpx_ne_u32_e32 0, v27
	s_xor_b32 s11, exec_lo, s11
; %bb.5199:                             ;   in Loop: Header=BB6_4623 Depth=2
	s_delay_alu instid0(VALU_DEP_2) | instskip(SKIP_2) | instid1(VALU_DEP_2)
	v_cmp_lt_u64_e32 vcc_lo, 0xffffff, v[2:3]
	v_add_nc_u32_e32 v4, 15, v5
	v_cndmask_b32_e64 v5, 0, 1, vcc_lo
	v_cndmask_b32_e32 v4, v27, v4, vcc_lo
	s_delay_alu instid0(VALU_DEP_2)
	v_lshrrev_b64 v[2:3], v5, v[2:3]
; %bb.5200:                             ;   in Loop: Header=BB6_4623 Depth=2
	s_and_not1_saveexec_b32 s11, s11
; %bb.5201:                             ;   in Loop: Header=BB6_4623 Depth=2
	s_delay_alu instid0(VALU_DEP_1)
	v_bfe_u32 v4, v2, 23, 1
; %bb.5202:                             ;   in Loop: Header=BB6_4623 Depth=2
	s_or_b32 exec_lo, exec_lo, s11
	s_delay_alu instid0(VALU_DEP_2) | instskip(NEXT) | instid1(VALU_DEP_2)
	v_lshrrev_b64 v[2:3], 21, v[2:3]
	v_cmp_gt_i32_e32 vcc_lo, 32, v4
	v_min_i32_e32 v5, 31, v4
	v_cmp_eq_u32_e64 s11, 0, v4
	s_delay_alu instid0(VALU_DEP_2) | instskip(SKIP_1) | instid1(VALU_DEP_2)
	v_dual_cndmask_b32 v3, 0, v3, vcc_lo :: v_dual_lshlrev_b32 v5, 2, v5
	v_cndmask_b32_e32 v2, 3, v2, vcc_lo
	v_and_b32_e32 v5, 0xfc, v5
	s_delay_alu instid0(VALU_DEP_2) | instskip(NEXT) | instid1(VALU_DEP_2)
	v_cmp_eq_u64_e32 vcc_lo, 0, v[2:3]
	v_and_or_b32 v2, v2, 3, v5
	s_and_b32 s11, s11, vcc_lo
	s_delay_alu instid0(VALU_DEP_1) | instid1(SALU_CYCLE_1)
	v_cndmask_b32_e64 v2, v2, 0, s11
	s_delay_alu instid0(VALU_DEP_1)
	v_or_b32_e32 v27, v2, v7
.LBB6_5203:                             ;   in Loop: Header=BB6_4623 Depth=2
	s_or_b32 exec_lo, exec_lo, s42
                                        ; implicit-def: $vgpr7
.LBB6_5204:                             ;   in Loop: Header=BB6_4623 Depth=2
	s_and_not1_saveexec_b32 s11, s41
; %bb.5205:                             ;   in Loop: Header=BB6_4623 Depth=2
	v_or_b32_e32 v27, 0x7b, v7
; %bb.5206:                             ;   in Loop: Header=BB6_4623 Depth=2
	s_or_b32 exec_lo, exec_lo, s11
                                        ; implicit-def: $vgpr4
                                        ; implicit-def: $vgpr2_vgpr3
                                        ; implicit-def: $vgpr5
.LBB6_5207:                             ;   in Loop: Header=BB6_4623 Depth=2
	s_and_not1_saveexec_b32 s11, s40
	s_cbranch_execz .LBB6_5213
; %bb.5208:                             ;   in Loop: Header=BB6_4623 Depth=2
	s_mov_b32 s40, exec_lo
                                        ; implicit-def: $vgpr27
	v_cmpx_ne_u64_e32 0, v[2:3]
	s_xor_b32 s40, exec_lo, s40
; %bb.5209:                             ;   in Loop: Header=BB6_4623 Depth=2
	v_or_b32_e32 v27, 0x7f, v5
                                        ; implicit-def: $vgpr4
; %bb.5210:                             ;   in Loop: Header=BB6_4623 Depth=2
	s_and_not1_saveexec_b32 s40, s40
; %bb.5211:                             ;   in Loop: Header=BB6_4623 Depth=2
	v_cmp_lt_i32_e32 vcc_lo, -1, v4
	v_mov_b32_e32 v2, 0x7c
	s_delay_alu instid0(VALU_DEP_1)
	v_cndmask_b32_e32 v27, 0xfc, v2, vcc_lo
; %bb.5212:                             ;   in Loop: Header=BB6_4623 Depth=2
	s_or_b32 exec_lo, exec_lo, s40
.LBB6_5213:                             ;   in Loop: Header=BB6_4623 Depth=2
	s_delay_alu instid0(SALU_CYCLE_1)
	s_or_b32 exec_lo, exec_lo, s11
	v_mov_b32_e32 v3, 0
	s_mov_b32 s11, exec_lo
	v_cmpx_lt_u32_e32 0xffffff, v0
	s_cbranch_execz .LBB6_5223
; %bb.5214:                             ;   in Loop: Header=BB6_4623 Depth=2
	v_lshrrev_b32_e32 v2, 24, v0
	v_bfrev_b32_e32 v3, 1
	s_mov_b32 s40, exec_lo
	s_delay_alu instid0(VALU_DEP_2)
	v_cmpx_ne_u32_e32 0x80, v2
	s_cbranch_execz .LBB6_5222
; %bb.5215:                             ;   in Loop: Header=BB6_4623 Depth=2
	v_and_b32_e32 v3, 0x7c000000, v0
	v_bfe_u32 v4, v0, 24, 2
	s_delay_alu instid0(VALU_DEP_2) | instskip(SKIP_1) | instid1(SALU_CYCLE_1)
	v_cmp_ne_u32_e32 vcc_lo, 0x7c000000, v3
                                        ; implicit-def: $vgpr3
	s_and_saveexec_b32 s41, vcc_lo
	s_xor_b32 s41, exec_lo, s41
	s_cbranch_execz .LBB6_5219
; %bb.5216:                             ;   in Loop: Header=BB6_4623 Depth=2
	v_bfe_u32 v3, v0, 26, 5
	s_mov_b32 s42, exec_lo
	s_delay_alu instid0(VALU_DEP_1)
	v_cmpx_eq_u32_e32 0, v3
; %bb.5217:                             ;   in Loop: Header=BB6_4623 Depth=2
	v_clz_i32_u32_e32 v3, v4
	s_delay_alu instid0(VALU_DEP_1) | instskip(NEXT) | instid1(VALU_DEP_1)
	v_min_u32_e32 v4, 32, v3
	v_subrev_nc_u32_e32 v3, 29, v4
	s_delay_alu instid0(VALU_DEP_1) | instskip(NEXT) | instid1(VALU_DEP_1)
	v_lshlrev_b64_e32 v[2:3], v3, v[2:3]
	v_dual_sub_nc_u32 v3, 30, v4 :: v_dual_bitop2_b32 v4, 3, v2 bitop3:0x40
; %bb.5218:                             ;   in Loop: Header=BB6_4623 Depth=2
	s_or_b32 exec_lo, exec_lo, s42
	v_and_b32_e32 v0, 0x80000000, v0
	s_delay_alu instid0(VALU_DEP_1) | instskip(NEXT) | instid1(VALU_DEP_1)
	v_lshl_add_u32 v0, v3, 23, v0
	v_lshl_or_b32 v0, v4, 21, v0
                                        ; implicit-def: $vgpr4
	s_delay_alu instid0(VALU_DEP_1)
	v_add_nc_u32_e32 v3, 0x38000000, v0
.LBB6_5219:                             ;   in Loop: Header=BB6_4623 Depth=2
	s_and_not1_saveexec_b32 s41, s41
; %bb.5220:                             ;   in Loop: Header=BB6_4623 Depth=2
	v_cmp_lt_i32_e32 vcc_lo, -1, v0
	v_mov_b32_e32 v0, 0x7f800000
	s_delay_alu instid0(VALU_DEP_1) | instskip(SKIP_1) | instid1(VALU_DEP_2)
	v_cndmask_b32_e32 v0, 0xff800000, v0, vcc_lo
	v_cmp_eq_u32_e32 vcc_lo, 0, v4
	v_cndmask_b32_e32 v3, 0x7f800001, v0, vcc_lo
; %bb.5221:                             ;   in Loop: Header=BB6_4623 Depth=2
	s_or_b32 exec_lo, exec_lo, s41
.LBB6_5222:                             ;   in Loop: Header=BB6_4623 Depth=2
	s_delay_alu instid0(SALU_CYCLE_1)
	s_or_b32 exec_lo, exec_lo, s40
.LBB6_5223:                             ;   in Loop: Header=BB6_4623 Depth=2
	s_delay_alu instid0(SALU_CYCLE_1) | instskip(SKIP_3) | instid1(VALU_DEP_2)
	s_or_b32 exec_lo, exec_lo, s11
	v_bfe_u32 v2, v10, 24, 2
	v_bfe_u32 v30, v10, 26, 5
	s_mov_b32 s11, exec_lo
	v_clz_i32_u32_e32 v0, v2
	s_delay_alu instid0(VALU_DEP_2) | instskip(NEXT) | instid1(VALU_DEP_2)
	v_cmp_eq_u32_e32 vcc_lo, 0, v30
	v_min_u32_e32 v7, 32, v0
	v_lshrrev_b32_e32 v0, 24, v10
	s_delay_alu instid0(VALU_DEP_2) | instskip(NEXT) | instid1(VALU_DEP_1)
	v_subrev_nc_u32_e32 v4, 29, v7
	v_lshlrev_b64_e32 v[4:5], v4, v[0:1]
	v_sub_nc_u32_e32 v5, 30, v7
	v_and_b32_e32 v7, 0x80000000, v10
	s_delay_alu instid0(VALU_DEP_2) | instskip(NEXT) | instid1(VALU_DEP_1)
	v_dual_cndmask_b32 v5, v30, v5, vcc_lo :: v_dual_bitop2_b32 v4, 3, v4 bitop3:0x40
                                        ; implicit-def: $vgpr30
	v_lshl_add_u32 v5, v5, 23, v7
	s_delay_alu instid0(VALU_DEP_2) | instskip(SKIP_1) | instid1(VALU_DEP_2)
	v_dual_cndmask_b32 v4, v2, v4 :: v_dual_mov_b32 v7, 0x7f800000
	v_cmp_lt_i32_e32 vcc_lo, -1, v10
	v_lshl_or_b32 v4, v4, 21, v5
	v_and_b32_e32 v5, 0x7c000000, v10
	s_delay_alu instid0(VALU_DEP_4) | instskip(SKIP_1) | instid1(VALU_DEP_4)
	v_cndmask_b32_e32 v7, 0xff800000, v7, vcc_lo
	v_cmp_eq_u32_e32 vcc_lo, 0, v2
	v_add_nc_u32_e32 v4, 0x38000000, v4
	s_delay_alu instid0(VALU_DEP_3) | instskip(SKIP_1) | instid1(VALU_DEP_2)
	v_cndmask_b32_e32 v2, 0x7f800001, v7, vcc_lo
	v_cmp_eq_u32_e32 vcc_lo, 0x7c000000, v5
	v_dual_mov_b32 v5, v1 :: v_dual_cndmask_b32 v2, v4, v2
	v_cmp_ne_u32_e32 vcc_lo, 0x80, v0
	s_delay_alu instid0(VALU_DEP_2) | instskip(SKIP_1) | instid1(VALU_DEP_2)
	v_cndmask_b32_e32 v0, 0x80000000, v2, vcc_lo
	v_cmp_lt_u32_e32 vcc_lo, 0xffffff, v10
	v_cndmask_b32_e32 v0, 0, v0, vcc_lo
	s_delay_alu instid0(VALU_DEP_1) | instskip(NEXT) | instid1(VALU_DEP_1)
	v_add_f32_e32 v2, v0, v3
	v_and_b32_e32 v4, 0x7f800000, v2
	v_and_b32_e32 v0, 0x7fffff, v2
	v_lshrrev_b32_e32 v3, 24, v2
	s_delay_alu instid0(VALU_DEP_3)
	v_cmpx_ne_u64_e32 0x7f800000, v[4:5]
	s_xor_b32 s40, exec_lo, s11
	s_cbranch_execz .LBB6_5237
; %bb.5224:                             ;   in Loop: Header=BB6_4623 Depth=2
	v_and_b32_e32 v4, 0x7fffffff, v2
	v_mov_b32_e32 v5, v1
	v_and_b32_e32 v7, 0x80, v3
                                        ; implicit-def: $vgpr30
	s_mov_b32 s11, exec_lo
	s_delay_alu instid0(VALU_DEP_2)
	v_cmpx_gt_u64_e32 0x47600001, v[4:5]
	s_xor_b32 s41, exec_lo, s11
	s_cbranch_execz .LBB6_5234
; %bb.5225:                             ;   in Loop: Header=BB6_4623 Depth=2
	v_mov_b32_e32 v30, 0
	s_mov_b32 s42, exec_lo
	v_cmpx_ne_u32_e32 0, v2
	s_cbranch_execz .LBB6_5233
; %bb.5226:                             ;   in Loop: Header=BB6_4623 Depth=2
	v_bfe_u32 v30, v2, 23, 8
	v_or_b32_e32 v4, 0x800000, v0
	s_mov_b32 s43, exec_lo
	s_delay_alu instid0(VALU_DEP_2) | instskip(SKIP_1) | instid1(VALU_DEP_2)
	v_dual_mov_b32 v5, v1 :: v_dual_sub_nc_u32 v2, 0x71, v30
	v_cmp_gt_u32_e32 vcc_lo, 0x72, v30
	v_cndmask_b32_e32 v2, 0, v2, vcc_lo
	v_cmp_eq_u32_e32 vcc_lo, 0, v30
	s_delay_alu instid0(VALU_DEP_2) | instskip(NEXT) | instid1(VALU_DEP_1)
	v_cndmask_b32_e64 v37, v2, 0x70, vcc_lo
	v_dual_cndmask_b32 v4, v4, v0, vcc_lo :: v_dual_add_nc_u32 v2, 21, v37
	v_add_nc_u32_e32 v38, 20, v37
	s_delay_alu instid0(VALU_DEP_2) | instskip(NEXT) | instid1(VALU_DEP_2)
	v_lshlrev_b64_e64 v[2:3], v2, -1
	v_lshlrev_b64_e64 v[38:39], v38, 1
	s_delay_alu instid0(VALU_DEP_2) | instskip(NEXT) | instid1(VALU_DEP_3)
	v_bfi_b32 v49, v3, 0, 0
	v_bfi_b32 v48, v2, 0, v4
	v_lshrrev_b64 v[2:3], v37, v[4:5]
	s_delay_alu instid0(VALU_DEP_1) | instskip(NEXT) | instid1(VALU_DEP_3)
	v_mov_b64_e32 v[4:5], v[2:3]
	v_cmpx_eq_u64_e64 v[48:49], v[38:39]
; %bb.5227:                             ;   in Loop: Header=BB6_4623 Depth=2
	v_bfe_u32 v4, v2, 21, 1
	v_mov_b32_e32 v5, v1
	s_delay_alu instid0(VALU_DEP_1) | instskip(NEXT) | instid1(VALU_DEP_1)
	v_add_nc_u64_e32 v[4:5], v[2:3], v[4:5]
	v_add_nc_u64_e32 v[4:5], -1, v[4:5]
; %bb.5228:                             ;   in Loop: Header=BB6_4623 Depth=2
	s_or_b32 exec_lo, exec_lo, s43
	v_add_nc_u32_e32 v0, 0xffffff81, v30
	s_delay_alu instid0(VALU_DEP_2) | instskip(SKIP_2) | instid1(VALU_DEP_3)
	v_and_b32_e32 v4, 0x1fffff, v4
	v_lshrrev_b32_e32 v3, 23, v2
	s_mov_b32 s11, exec_lo
	v_cndmask_b32_e64 v0, v0, 0xffffff82, vcc_lo
	s_delay_alu instid0(VALU_DEP_1) | instskip(SKIP_1) | instid1(VALU_DEP_2)
	v_add3_u32 v5, v37, v0, v3
	v_add_nc_u32_e32 v0, v4, v2
                                        ; implicit-def: $vgpr2_vgpr3
                                        ; implicit-def: $vgpr4
	v_add_nc_u32_e32 v30, 14, v5
	s_delay_alu instid0(VALU_DEP_1)
	v_cmpx_ne_u32_e32 0, v30
	s_xor_b32 s11, exec_lo, s11
; %bb.5229:                             ;   in Loop: Header=BB6_4623 Depth=2
	s_delay_alu instid0(VALU_DEP_3) | instskip(SKIP_1) | instid1(VALU_DEP_1)
	v_cmp_lt_u64_e32 vcc_lo, 0xffffff, v[0:1]
	v_add_nc_u32_e32 v2, 15, v5
	v_cndmask_b32_e32 v4, v30, v2, vcc_lo
	v_cndmask_b32_e64 v2, 0, 1, vcc_lo
	s_delay_alu instid0(VALU_DEP_1)
	v_lshrrev_b64 v[2:3], v2, v[0:1]
; %bb.5230:                             ;   in Loop: Header=BB6_4623 Depth=2
	s_and_not1_saveexec_b32 s11, s11
; %bb.5231:                             ;   in Loop: Header=BB6_4623 Depth=2
	v_mov_b64_e32 v[2:3], v[0:1]
	v_bfe_u32 v4, v0, 23, 1
; %bb.5232:                             ;   in Loop: Header=BB6_4623 Depth=2
	s_or_b32 exec_lo, exec_lo, s11
	s_delay_alu instid0(VALU_DEP_2) | instskip(NEXT) | instid1(VALU_DEP_2)
	v_lshrrev_b64 v[2:3], 21, v[2:3]
	v_cmp_gt_i32_e32 vcc_lo, 32, v4
	v_min_i32_e32 v0, 31, v4
	v_cmp_eq_u32_e64 s11, 0, v4
	s_delay_alu instid0(VALU_DEP_2) | instskip(SKIP_1) | instid1(VALU_DEP_2)
	v_dual_cndmask_b32 v3, 0, v3 :: v_dual_lshlrev_b32 v0, 2, v0
	v_cndmask_b32_e32 v2, 3, v2, vcc_lo
	v_and_b32_e32 v0, 0xfc, v0
	s_delay_alu instid0(VALU_DEP_2) | instskip(NEXT) | instid1(VALU_DEP_2)
	v_cmp_eq_u64_e32 vcc_lo, 0, v[2:3]
	v_and_or_b32 v0, v2, 3, v0
	s_and_b32 s11, s11, vcc_lo
	s_delay_alu instid0(VALU_DEP_1) | instid1(SALU_CYCLE_1)
	v_cndmask_b32_e64 v0, v0, 0, s11
	s_delay_alu instid0(VALU_DEP_1)
	v_or_b32_e32 v30, v0, v7
.LBB6_5233:                             ;   in Loop: Header=BB6_4623 Depth=2
	s_or_b32 exec_lo, exec_lo, s42
                                        ; implicit-def: $vgpr7
.LBB6_5234:                             ;   in Loop: Header=BB6_4623 Depth=2
	s_and_not1_saveexec_b32 s11, s41
; %bb.5235:                             ;   in Loop: Header=BB6_4623 Depth=2
	v_or_b32_e32 v30, 0x7b, v7
; %bb.5236:                             ;   in Loop: Header=BB6_4623 Depth=2
	s_or_b32 exec_lo, exec_lo, s11
                                        ; implicit-def: $vgpr2
                                        ; implicit-def: $vgpr3
.LBB6_5237:                             ;   in Loop: Header=BB6_4623 Depth=2
	s_and_not1_saveexec_b32 s11, s40
	s_cbranch_execz .LBB6_5243
; %bb.5238:                             ;   in Loop: Header=BB6_4623 Depth=2
	s_mov_b32 s40, exec_lo
                                        ; implicit-def: $vgpr30
	v_cmpx_ne_u64_e32 0, v[0:1]
	s_xor_b32 s40, exec_lo, s40
; %bb.5239:                             ;   in Loop: Header=BB6_4623 Depth=2
	v_or_b32_e32 v30, 0x7f, v3
                                        ; implicit-def: $vgpr2
; %bb.5240:                             ;   in Loop: Header=BB6_4623 Depth=2
	s_and_not1_saveexec_b32 s40, s40
; %bb.5241:                             ;   in Loop: Header=BB6_4623 Depth=2
	v_cmp_lt_i32_e32 vcc_lo, -1, v2
	v_mov_b32_e32 v0, 0x7c
	s_delay_alu instid0(VALU_DEP_1)
	v_cndmask_b32_e32 v30, 0xfc, v0, vcc_lo
; %bb.5242:                             ;   in Loop: Header=BB6_4623 Depth=2
	s_or_b32 exec_lo, exec_lo, s40
.LBB6_5243:                             ;   in Loop: Header=BB6_4623 Depth=2
	s_delay_alu instid0(SALU_CYCLE_1) | instskip(SKIP_4) | instid1(VALU_DEP_2)
	s_or_b32 exec_lo, exec_lo, s11
	v_lshl_or_b32 v37, v33, 8, v6
	v_dual_lshlrev_b32 v0, 16, v35 :: v_dual_lshlrev_b32 v2, 24, v36
	v_mov_b32_e32 v4, 0
	s_mov_b32 s11, exec_lo
	v_or3_b32 v0, v0, v2, v37
	v_cmpx_ne_u32_e32 0, v6
	s_cbranch_execz .LBB6_5253
; %bb.5244:                             ;   in Loop: Header=BB6_4623 Depth=2
	v_bfrev_b32_e32 v4, 1
	s_mov_b32 s40, exec_lo
	v_cmpx_ne_u32_e32 0x80, v6
	s_cbranch_execz .LBB6_5252
; %bb.5245:                             ;   in Loop: Header=BB6_4623 Depth=2
	v_and_b32_e32 v3, 0x7c, v6
	v_and_b32_e32 v2, 3, v6
	s_mov_b32 s41, exec_lo
                                        ; implicit-def: $vgpr4
	s_delay_alu instid0(VALU_DEP_2)
	v_cmpx_ne_u32_e32 0x7c, v3
	s_xor_b32 s41, exec_lo, s41
	s_cbranch_execz .LBB6_5249
; %bb.5246:                             ;   in Loop: Header=BB6_4623 Depth=2
	v_bfe_u32 v3, v6, 2, 5
	s_mov_b32 s42, exec_lo
	s_delay_alu instid0(VALU_DEP_1)
	v_cmpx_eq_u32_e32 0, v3
; %bb.5247:                             ;   in Loop: Header=BB6_4623 Depth=2
	v_clz_i32_u32_e32 v2, v2
	s_delay_alu instid0(VALU_DEP_1) | instskip(NEXT) | instid1(VALU_DEP_1)
	v_min_u32_e32 v4, 32, v2
	v_subrev_nc_u32_e32 v2, 29, v4
	s_delay_alu instid0(VALU_DEP_1) | instskip(NEXT) | instid1(VALU_DEP_1)
	v_lshlrev_b64_e32 v[2:3], v2, v[0:1]
	v_dual_sub_nc_u32 v3, 30, v4 :: v_dual_bitop2_b32 v2, 3, v2 bitop3:0x40
; %bb.5248:                             ;   in Loop: Header=BB6_4623 Depth=2
	s_or_b32 exec_lo, exec_lo, s42
	v_lshlrev_b32_e32 v4, 24, v6
                                        ; implicit-def: $vgpr6
	s_delay_alu instid0(VALU_DEP_1) | instskip(NEXT) | instid1(VALU_DEP_1)
	v_and_b32_e32 v4, 0x80000000, v4
	v_lshl_add_u32 v3, v3, 23, v4
	s_delay_alu instid0(VALU_DEP_1) | instskip(NEXT) | instid1(VALU_DEP_1)
	v_lshl_or_b32 v2, v2, 21, v3
	v_add_nc_u32_e32 v4, 0x38000000, v2
                                        ; implicit-def: $vgpr2
.LBB6_5249:                             ;   in Loop: Header=BB6_4623 Depth=2
	s_and_not1_saveexec_b32 s41, s41
; %bb.5250:                             ;   in Loop: Header=BB6_4623 Depth=2
	v_and_b32_e32 v3, 0x80, v6
	s_delay_alu instid0(VALU_DEP_1) | instskip(SKIP_1) | instid1(VALU_DEP_1)
	v_cmp_eq_u32_e32 vcc_lo, 0, v3
	v_mov_b32_e32 v3, 0x7f800000
	v_cndmask_b32_e32 v3, 0xff800000, v3, vcc_lo
	v_cmp_eq_u32_e32 vcc_lo, 0, v2
	s_delay_alu instid0(VALU_DEP_2)
	v_cndmask_b32_e32 v4, 0x7f800001, v3, vcc_lo
; %bb.5251:                             ;   in Loop: Header=BB6_4623 Depth=2
	s_or_b32 exec_lo, exec_lo, s41
.LBB6_5252:                             ;   in Loop: Header=BB6_4623 Depth=2
	s_delay_alu instid0(SALU_CYCLE_1)
	s_or_b32 exec_lo, exec_lo, s40
.LBB6_5253:                             ;   in Loop: Header=BB6_4623 Depth=2
	s_delay_alu instid0(SALU_CYCLE_1) | instskip(SKIP_4) | instid1(VALU_DEP_2)
	s_or_b32 exec_lo, exec_lo, s11
	v_and_b32_e32 v3, 0xff, v11
	v_mov_b32_e32 v2, v11
	s_mov_b32 s40, 0
	s_mov_b32 s11, exec_lo
	v_cmpx_lt_i16_e32 0x7f, v3
	s_xor_b32 s11, exec_lo, s11
	s_cbranch_execnz .LBB6_5650
; %bb.5254:                             ;   in Loop: Header=BB6_4623 Depth=2
	s_or_saveexec_b32 s11, s11
	v_bfrev_b32_e32 v5, 1
	s_xor_b32 exec_lo, exec_lo, s11
	s_cbranch_execnz .LBB6_5653
.LBB6_5255:                             ;   in Loop: Header=BB6_4623 Depth=2
	s_or_b32 exec_lo, exec_lo, s11
	v_mov_b32_e32 v3, v1
	s_and_saveexec_b32 s11, s40
	s_cbranch_execz .LBB6_5257
.LBB6_5256:                             ;   in Loop: Header=BB6_4623 Depth=2
	v_and_b32_e32 v5, 3, v11
	s_delay_alu instid0(VALU_DEP_1) | instskip(NEXT) | instid1(VALU_DEP_1)
	v_clz_i32_u32_e32 v6, v5
	v_min_u32_e32 v33, 32, v6
	s_delay_alu instid0(VALU_DEP_1) | instskip(NEXT) | instid1(VALU_DEP_1)
	v_subrev_nc_u32_e32 v6, 29, v33
	v_lshlrev_b64_e32 v[6:7], v6, v[2:3]
	v_bfe_u32 v7, v11, 2, 5
	v_dual_lshlrev_b32 v3, 24, v11 :: v_dual_sub_nc_u32 v33, 30, v33
	s_delay_alu instid0(VALU_DEP_2) | instskip(NEXT) | instid1(VALU_DEP_2)
	v_cmp_eq_u32_e32 vcc_lo, 0, v7
	v_and_b32_e32 v3, 0x80000000, v3
	s_delay_alu instid0(VALU_DEP_3) | instskip(SKIP_1) | instid1(VALU_DEP_2)
	v_dual_cndmask_b32 v7, v7, v33, vcc_lo :: v_dual_bitop2_b32 v6, 3, v6 bitop3:0x40
	v_bfe_i32 v33, v11, 0, 8
	v_cndmask_b32_e32 v6, v5, v6, vcc_lo
	s_delay_alu instid0(VALU_DEP_3) | instskip(NEXT) | instid1(VALU_DEP_3)
	v_lshl_add_u32 v3, v7, 23, v3
	v_cmp_lt_i16_e32 vcc_lo, -1, v33
	v_mov_b32_e32 v7, 0x7f800000
	s_delay_alu instid0(VALU_DEP_3) | instskip(SKIP_1) | instid1(VALU_DEP_3)
	v_lshl_or_b32 v3, v6, 21, v3
	v_and_b32_e32 v6, 0x7c, v11
	v_cndmask_b32_e32 v7, 0xff800000, v7, vcc_lo
	v_cmp_eq_u32_e32 vcc_lo, 0, v5
	s_delay_alu instid0(VALU_DEP_4) | instskip(NEXT) | instid1(VALU_DEP_3)
	v_add_nc_u32_e32 v3, 0x38000000, v3
	v_cndmask_b32_e32 v5, 0x7f800001, v7, vcc_lo
	v_cmp_eq_u32_e32 vcc_lo, 0x7c, v6
	s_delay_alu instid0(VALU_DEP_2)
	v_cndmask_b32_e32 v5, v3, v5, vcc_lo
.LBB6_5257:                             ;   in Loop: Header=BB6_4623 Depth=2
	s_or_b32 exec_lo, exec_lo, s11
	s_delay_alu instid0(VALU_DEP_1) | instskip(SKIP_2) | instid1(VALU_DEP_2)
	v_dual_add_f32 v6, v4, v5 :: v_dual_mov_b32 v39, v1
	v_mov_b32_e32 v5, v1
                                        ; implicit-def: $vgpr33
	s_mov_b32 s11, exec_lo
	v_and_b32_e32 v38, 0x7f800000, v6
	v_and_b32_e32 v4, 0x7fffff, v6
	v_lshrrev_b32_e32 v3, 24, v6
	s_delay_alu instid0(VALU_DEP_3)
	v_cmpx_ne_u64_e32 0x7f800000, v[38:39]
	s_xor_b32 s40, exec_lo, s11
	s_cbranch_execz .LBB6_5271
; %bb.5258:                             ;   in Loop: Header=BB6_4623 Depth=2
	v_and_b32_e32 v38, 0x7fffffff, v6
	v_mov_b32_e32 v39, v1
	v_and_b32_e32 v3, 0x80, v3
                                        ; implicit-def: $vgpr33
	s_mov_b32 s11, exec_lo
	s_delay_alu instid0(VALU_DEP_2)
	v_cmpx_gt_u64_e32 0x47600001, v[38:39]
	s_xor_b32 s41, exec_lo, s11
	s_cbranch_execz .LBB6_5268
; %bb.5259:                             ;   in Loop: Header=BB6_4623 Depth=2
	v_mov_b32_e32 v33, 0
	s_mov_b32 s42, exec_lo
	v_cmpx_ne_u32_e32 0, v6
	s_cbranch_execz .LBB6_5267
; %bb.5260:                             ;   in Loop: Header=BB6_4623 Depth=2
	v_bfe_u32 v33, v6, 23, 8
	v_or_b32_e32 v36, 0x800000, v4
	s_delay_alu instid0(VALU_DEP_2) | instskip(SKIP_1) | instid1(VALU_DEP_2)
	v_sub_nc_u32_e32 v6, 0x71, v33
	v_cmp_gt_u32_e32 vcc_lo, 0x72, v33
	v_cndmask_b32_e32 v6, 0, v6, vcc_lo
	v_cmp_eq_u32_e32 vcc_lo, 0, v33
	s_delay_alu instid0(VALU_DEP_2) | instskip(NEXT) | instid1(VALU_DEP_1)
	v_cndmask_b32_e64 v35, v6, 0x70, vcc_lo
	v_dual_cndmask_b32 v4, v36, v4, vcc_lo :: v_dual_add_nc_u32 v6, 21, v35
	v_add_nc_u32_e32 v38, 20, v35
	s_delay_alu instid0(VALU_DEP_2) | instskip(NEXT) | instid1(VALU_DEP_2)
	v_lshlrev_b64_e64 v[6:7], v6, -1
	v_lshlrev_b64_e64 v[38:39], v38, 1
	s_delay_alu instid0(VALU_DEP_2) | instskip(SKIP_1) | instid1(VALU_DEP_4)
	v_bfi_b32 v6, v6, 0, v4
	v_lshrrev_b64 v[4:5], v35, v[4:5]
	v_bfi_b32 v7, v7, 0, 0
	s_delay_alu instid0(VALU_DEP_1) | instskip(NEXT) | instid1(VALU_DEP_3)
	v_cmp_eq_u64_e64 s11, v[6:7], v[38:39]
	v_mov_b64_e32 v[6:7], v[4:5]
	s_and_saveexec_b32 s43, s11
; %bb.5261:                             ;   in Loop: Header=BB6_4623 Depth=2
	v_bfe_u32 v6, v4, 21, 1
	v_mov_b32_e32 v7, v1
	s_delay_alu instid0(VALU_DEP_1) | instskip(NEXT) | instid1(VALU_DEP_1)
	v_add_nc_u64_e32 v[6:7], v[4:5], v[6:7]
	v_add_nc_u64_e32 v[6:7], -1, v[6:7]
; %bb.5262:                             ;   in Loop: Header=BB6_4623 Depth=2
	s_or_b32 exec_lo, exec_lo, s43
	v_add_nc_u32_e32 v5, 0xffffff81, v33
	v_lshrrev_b32_e32 v7, 23, v4
	s_mov_b32 s11, exec_lo
	s_delay_alu instid0(VALU_DEP_2) | instskip(NEXT) | instid1(VALU_DEP_1)
	v_cndmask_b32_e64 v5, v5, 0xffffff82, vcc_lo
	v_add3_u32 v7, v35, v5, v7
	v_and_b32_e32 v5, 0x1fffff, v6
                                        ; implicit-def: $vgpr6
	s_delay_alu instid0(VALU_DEP_1) | instskip(SKIP_1) | instid1(VALU_DEP_2)
	v_dual_add_nc_u32 v33, 14, v7 :: v_dual_add_nc_u32 v4, v5, v4
	v_mov_b32_e32 v5, v1
	v_cmpx_ne_u32_e32 0, v33
	s_xor_b32 s11, exec_lo, s11
; %bb.5263:                             ;   in Loop: Header=BB6_4623 Depth=2
	s_delay_alu instid0(VALU_DEP_2) | instskip(SKIP_2) | instid1(VALU_DEP_2)
	v_cmp_lt_u64_e32 vcc_lo, 0xffffff, v[4:5]
	v_add_nc_u32_e32 v6, 15, v7
	v_cndmask_b32_e64 v7, 0, 1, vcc_lo
	v_cndmask_b32_e32 v6, v33, v6, vcc_lo
	s_delay_alu instid0(VALU_DEP_2)
	v_lshrrev_b64 v[4:5], v7, v[4:5]
; %bb.5264:                             ;   in Loop: Header=BB6_4623 Depth=2
	s_and_not1_saveexec_b32 s11, s11
; %bb.5265:                             ;   in Loop: Header=BB6_4623 Depth=2
	s_delay_alu instid0(VALU_DEP_1)
	v_bfe_u32 v6, v4, 23, 1
; %bb.5266:                             ;   in Loop: Header=BB6_4623 Depth=2
	s_or_b32 exec_lo, exec_lo, s11
	s_delay_alu instid0(VALU_DEP_2) | instskip(NEXT) | instid1(VALU_DEP_2)
	v_lshrrev_b64 v[4:5], 21, v[4:5]
	v_cmp_gt_i32_e32 vcc_lo, 32, v6
	v_min_i32_e32 v7, 31, v6
	v_cmp_eq_u32_e64 s11, 0, v6
	s_delay_alu instid0(VALU_DEP_2) | instskip(SKIP_1) | instid1(VALU_DEP_2)
	v_dual_cndmask_b32 v5, 0, v5, vcc_lo :: v_dual_lshlrev_b32 v7, 2, v7
	v_cndmask_b32_e32 v4, 3, v4, vcc_lo
	v_and_b32_e32 v7, 0xfc, v7
	s_delay_alu instid0(VALU_DEP_2) | instskip(NEXT) | instid1(VALU_DEP_2)
	v_cmp_eq_u64_e32 vcc_lo, 0, v[4:5]
	v_and_or_b32 v4, v4, 3, v7
	s_and_b32 s11, s11, vcc_lo
	s_delay_alu instid0(VALU_DEP_1) | instid1(SALU_CYCLE_1)
	v_cndmask_b32_e64 v4, v4, 0, s11
	s_delay_alu instid0(VALU_DEP_1)
	v_or_b32_e32 v33, v4, v3
.LBB6_5267:                             ;   in Loop: Header=BB6_4623 Depth=2
	s_or_b32 exec_lo, exec_lo, s42
                                        ; implicit-def: $vgpr3
.LBB6_5268:                             ;   in Loop: Header=BB6_4623 Depth=2
	s_and_not1_saveexec_b32 s11, s41
; %bb.5269:                             ;   in Loop: Header=BB6_4623 Depth=2
	v_or_b32_e32 v33, 0x7b, v3
; %bb.5270:                             ;   in Loop: Header=BB6_4623 Depth=2
	s_or_b32 exec_lo, exec_lo, s11
                                        ; implicit-def: $vgpr6
                                        ; implicit-def: $vgpr4_vgpr5
                                        ; implicit-def: $vgpr3
.LBB6_5271:                             ;   in Loop: Header=BB6_4623 Depth=2
	s_and_not1_saveexec_b32 s11, s40
	s_cbranch_execz .LBB6_5277
; %bb.5272:                             ;   in Loop: Header=BB6_4623 Depth=2
	s_mov_b32 s40, exec_lo
                                        ; implicit-def: $vgpr33
	v_cmpx_ne_u64_e32 0, v[4:5]
	s_xor_b32 s40, exec_lo, s40
; %bb.5273:                             ;   in Loop: Header=BB6_4623 Depth=2
	v_or_b32_e32 v33, 0x7f, v3
                                        ; implicit-def: $vgpr6
; %bb.5274:                             ;   in Loop: Header=BB6_4623 Depth=2
	s_and_not1_saveexec_b32 s40, s40
; %bb.5275:                             ;   in Loop: Header=BB6_4623 Depth=2
	v_cmp_lt_i32_e32 vcc_lo, -1, v6
	v_mov_b32_e32 v3, 0x7c
	s_delay_alu instid0(VALU_DEP_1)
	v_cndmask_b32_e32 v33, 0xfc, v3, vcc_lo
; %bb.5276:                             ;   in Loop: Header=BB6_4623 Depth=2
	s_or_b32 exec_lo, exec_lo, s40
.LBB6_5277:                             ;   in Loop: Header=BB6_4623 Depth=2
	s_delay_alu instid0(SALU_CYCLE_1) | instskip(SKIP_3) | instid1(VALU_DEP_2)
	s_or_b32 exec_lo, exec_lo, s11
	v_lshrrev_b16 v4, 8, v37
	v_mov_b32_e32 v3, 0
	s_mov_b32 s11, exec_lo
	v_cmpx_ne_u16_e32 0, v4
	s_cbranch_execz .LBB6_5287
; %bb.5278:                             ;   in Loop: Header=BB6_4623 Depth=2
	v_bfrev_b32_e32 v3, 1
	s_mov_b32 s40, exec_lo
	v_cmpx_ne_u16_e32 0x80, v4
	s_cbranch_execz .LBB6_5286
; %bb.5279:                             ;   in Loop: Header=BB6_4623 Depth=2
	v_and_b32_e32 v6, 0xffff, v4
	s_delay_alu instid0(VALU_DEP_1) | instskip(SKIP_1) | instid1(VALU_DEP_2)
	v_and_b32_e32 v3, 0x7c, v6
	v_and_b32_e32 v5, 3, v6
	v_cmp_ne_u32_e32 vcc_lo, 0x7c, v3
                                        ; implicit-def: $vgpr3
	s_and_saveexec_b32 s41, vcc_lo
	s_delay_alu instid0(SALU_CYCLE_1)
	s_xor_b32 s41, exec_lo, s41
	s_cbranch_execz .LBB6_5283
; %bb.5280:                             ;   in Loop: Header=BB6_4623 Depth=2
	v_bfe_u32 v3, v6, 2, 5
	s_mov_b32 s42, exec_lo
	s_delay_alu instid0(VALU_DEP_1)
	v_cmpx_eq_u32_e32 0, v3
	s_cbranch_execz .LBB6_5282
; %bb.5281:                             ;   in Loop: Header=BB6_4623 Depth=2
	v_clz_i32_u32_e32 v3, v5
	s_delay_alu instid0(VALU_DEP_1) | instskip(SKIP_1) | instid1(VALU_DEP_2)
	v_min_u32_e32 v3, 32, v3
	v_mov_b32_e32 v5, v1
	v_subrev_nc_u32_e32 v6, 29, v3
	v_sub_nc_u32_e32 v3, 30, v3
	s_delay_alu instid0(VALU_DEP_2) | instskip(NEXT) | instid1(VALU_DEP_1)
	v_lshlrev_b64_e32 v[4:5], v6, v[4:5]
	v_and_b32_e32 v5, 3, v4
.LBB6_5282:                             ;   in Loop: Header=BB6_4623 Depth=2
	s_or_b32 exec_lo, exec_lo, s42
	v_lshlrev_b32_e32 v4, 16, v37
                                        ; implicit-def: $vgpr37
	s_delay_alu instid0(VALU_DEP_1) | instskip(NEXT) | instid1(VALU_DEP_1)
	v_and_b32_e32 v4, 0x80000000, v4
	v_lshl_add_u32 v3, v3, 23, v4
	s_delay_alu instid0(VALU_DEP_1) | instskip(NEXT) | instid1(VALU_DEP_1)
	v_lshl_or_b32 v3, v5, 21, v3
                                        ; implicit-def: $vgpr5
	v_add_nc_u32_e32 v3, 0x38000000, v3
.LBB6_5283:                             ;   in Loop: Header=BB6_4623 Depth=2
	s_and_not1_saveexec_b32 s41, s41
; %bb.5284:                             ;   in Loop: Header=BB6_4623 Depth=2
	v_cmp_lt_i16_e32 vcc_lo, -1, v37
	v_mov_b32_e32 v3, 0x7f800000
	s_delay_alu instid0(VALU_DEP_1) | instskip(SKIP_1) | instid1(VALU_DEP_2)
	v_cndmask_b32_e32 v3, 0xff800000, v3, vcc_lo
	v_cmp_eq_u32_e32 vcc_lo, 0, v5
	v_cndmask_b32_e32 v3, 0x7f800001, v3, vcc_lo
; %bb.5285:                             ;   in Loop: Header=BB6_4623 Depth=2
	s_or_b32 exec_lo, exec_lo, s41
.LBB6_5286:                             ;   in Loop: Header=BB6_4623 Depth=2
	s_delay_alu instid0(SALU_CYCLE_1)
	s_or_b32 exec_lo, exec_lo, s40
.LBB6_5287:                             ;   in Loop: Header=BB6_4623 Depth=2
	s_delay_alu instid0(SALU_CYCLE_1) | instskip(SKIP_3) | instid1(VALU_DEP_1)
	s_or_b32 exec_lo, exec_lo, s11
	v_lshrrev_b16 v4, 8, v2
	s_mov_b32 s40, 0
	s_mov_b32 s11, exec_lo
	v_cmpx_lt_i16_e32 0x7f, v4
	s_xor_b32 s11, exec_lo, s11
	s_cbranch_execnz .LBB6_5654
; %bb.5288:                             ;   in Loop: Header=BB6_4623 Depth=2
	s_or_saveexec_b32 s11, s11
	v_bfrev_b32_e32 v5, 1
	s_xor_b32 exec_lo, exec_lo, s11
	s_cbranch_execnz .LBB6_5657
.LBB6_5289:                             ;   in Loop: Header=BB6_4623 Depth=2
	s_or_b32 exec_lo, exec_lo, s11
	s_and_saveexec_b32 s11, s40
	s_cbranch_execz .LBB6_5291
.LBB6_5290:                             ;   in Loop: Header=BB6_4623 Depth=2
	v_and_b32_e32 v35, 0xffff, v4
	s_delay_alu instid0(VALU_DEP_1) | instskip(NEXT) | instid1(VALU_DEP_1)
	v_and_b32_e32 v36, 3, v35
	v_clz_i32_u32_e32 v5, v36
	s_delay_alu instid0(VALU_DEP_1) | instskip(SKIP_1) | instid1(VALU_DEP_2)
	v_min_u32_e32 v37, 32, v5
	v_mov_b32_e32 v5, v1
	v_subrev_nc_u32_e32 v6, 29, v37
	s_delay_alu instid0(VALU_DEP_1) | instskip(SKIP_2) | instid1(VALU_DEP_2)
	v_lshlrev_b64_e32 v[6:7], v6, v[4:5]
	v_bfe_u32 v5, v35, 2, 5
	v_dual_lshlrev_b32 v4, 24, v4 :: v_dual_sub_nc_u32 v7, 30, v37
	v_cmp_eq_u32_e32 vcc_lo, 0, v5
	s_delay_alu instid0(VALU_DEP_2) | instskip(NEXT) | instid1(VALU_DEP_3)
	v_and_b32_e32 v4, 0x80000000, v4
	v_dual_cndmask_b32 v5, v5, v7, vcc_lo :: v_dual_bitop2_b32 v6, 3, v6 bitop3:0x40
	s_delay_alu instid0(VALU_DEP_1) | instskip(SKIP_2) | instid1(VALU_DEP_4)
	v_cndmask_b32_e32 v6, v36, v6, vcc_lo
	v_cmp_lt_i16_e32 vcc_lo, -1, v2
	v_mov_b32_e32 v2, 0x7f800000
	v_lshl_add_u32 v4, v5, 23, v4
	v_and_b32_e32 v5, 0x7c, v35
	s_delay_alu instid0(VALU_DEP_3) | instskip(NEXT) | instid1(VALU_DEP_3)
	v_cndmask_b32_e32 v2, 0xff800000, v2, vcc_lo
	v_lshl_or_b32 v4, v6, 21, v4
	v_cmp_eq_u32_e32 vcc_lo, 0, v36
	s_delay_alu instid0(VALU_DEP_2) | instskip(NEXT) | instid1(VALU_DEP_4)
	v_add_nc_u32_e32 v4, 0x38000000, v4
	v_cndmask_b32_e32 v2, 0x7f800001, v2, vcc_lo
	v_cmp_eq_u32_e32 vcc_lo, 0x7c, v5
	s_delay_alu instid0(VALU_DEP_2)
	v_cndmask_b32_e32 v5, v4, v2, vcc_lo
.LBB6_5291:                             ;   in Loop: Header=BB6_4623 Depth=2
	s_or_b32 exec_lo, exec_lo, s11
	s_delay_alu instid0(VALU_DEP_1) | instskip(SKIP_2) | instid1(VALU_DEP_2)
	v_dual_add_f32 v4, v3, v5 :: v_dual_mov_b32 v7, v1
	v_mov_b32_e32 v3, v1
                                        ; implicit-def: $vgpr35
	s_mov_b32 s11, exec_lo
	v_and_b32_e32 v6, 0x7f800000, v4
	v_and_b32_e32 v2, 0x7fffff, v4
	v_lshrrev_b32_e32 v5, 24, v4
	s_delay_alu instid0(VALU_DEP_3)
	v_cmpx_ne_u64_e32 0x7f800000, v[6:7]
	s_xor_b32 s40, exec_lo, s11
	s_cbranch_execz .LBB6_5305
; %bb.5292:                             ;   in Loop: Header=BB6_4623 Depth=2
	v_and_b32_e32 v6, 0x7fffffff, v4
	v_mov_b32_e32 v7, v1
                                        ; implicit-def: $vgpr35
	s_delay_alu instid0(VALU_DEP_1) | instskip(SKIP_2) | instid1(SALU_CYCLE_1)
	v_cmp_gt_u64_e32 vcc_lo, 0x47600001, v[6:7]
	v_and_b32_e32 v6, 0x80, v5
	s_and_saveexec_b32 s11, vcc_lo
	s_xor_b32 s41, exec_lo, s11
	s_cbranch_execz .LBB6_5302
; %bb.5293:                             ;   in Loop: Header=BB6_4623 Depth=2
	v_mov_b32_e32 v35, 0
	s_mov_b32 s42, exec_lo
	v_cmpx_ne_u32_e32 0, v4
	s_cbranch_execz .LBB6_5301
; %bb.5294:                             ;   in Loop: Header=BB6_4623 Depth=2
	v_bfe_u32 v7, v4, 23, 8
	v_or_b32_e32 v36, 0x800000, v2
	s_delay_alu instid0(VALU_DEP_2) | instskip(SKIP_1) | instid1(VALU_DEP_2)
	v_sub_nc_u32_e32 v4, 0x71, v7
	v_cmp_gt_u32_e32 vcc_lo, 0x72, v7
	v_cndmask_b32_e32 v4, 0, v4, vcc_lo
	v_cmp_eq_u32_e32 vcc_lo, 0, v7
	s_delay_alu instid0(VALU_DEP_2) | instskip(NEXT) | instid1(VALU_DEP_1)
	v_cndmask_b32_e64 v35, v4, 0x70, vcc_lo
	v_dual_cndmask_b32 v2, v36, v2, vcc_lo :: v_dual_add_nc_u32 v4, 21, v35
	v_add_nc_u32_e32 v37, 20, v35
	s_delay_alu instid0(VALU_DEP_2) | instskip(NEXT) | instid1(VALU_DEP_2)
	v_lshlrev_b64_e64 v[4:5], v4, -1
	v_lshlrev_b64_e64 v[36:37], v37, 1
	s_delay_alu instid0(VALU_DEP_2) | instskip(SKIP_1) | instid1(VALU_DEP_4)
	v_bfi_b32 v4, v4, 0, v2
	v_lshrrev_b64 v[2:3], v35, v[2:3]
	v_bfi_b32 v5, v5, 0, 0
	s_delay_alu instid0(VALU_DEP_1) | instskip(NEXT) | instid1(VALU_DEP_3)
	v_cmp_eq_u64_e64 s11, v[4:5], v[36:37]
	v_mov_b64_e32 v[4:5], v[2:3]
	s_and_saveexec_b32 s43, s11
; %bb.5295:                             ;   in Loop: Header=BB6_4623 Depth=2
	v_bfe_u32 v4, v2, 21, 1
	v_mov_b32_e32 v5, v1
	s_delay_alu instid0(VALU_DEP_1) | instskip(NEXT) | instid1(VALU_DEP_1)
	v_add_nc_u64_e32 v[4:5], v[2:3], v[4:5]
	v_add_nc_u64_e32 v[4:5], -1, v[4:5]
; %bb.5296:                             ;   in Loop: Header=BB6_4623 Depth=2
	s_or_b32 exec_lo, exec_lo, s43
	v_add_nc_u32_e32 v3, 0xffffff81, v7
	v_lshrrev_b32_e32 v5, 23, v2
	s_mov_b32 s11, exec_lo
	s_delay_alu instid0(VALU_DEP_2) | instskip(NEXT) | instid1(VALU_DEP_1)
	v_cndmask_b32_e64 v3, v3, 0xffffff82, vcc_lo
	v_add3_u32 v5, v35, v3, v5
	v_and_b32_e32 v3, 0x1fffff, v4
                                        ; implicit-def: $vgpr4
	s_delay_alu instid0(VALU_DEP_1) | instskip(SKIP_1) | instid1(VALU_DEP_2)
	v_dual_add_nc_u32 v7, 14, v5 :: v_dual_add_nc_u32 v2, v3, v2
	v_mov_b32_e32 v3, v1
	v_cmpx_ne_u32_e32 0, v7
	s_xor_b32 s11, exec_lo, s11
; %bb.5297:                             ;   in Loop: Header=BB6_4623 Depth=2
	s_delay_alu instid0(VALU_DEP_2) | instskip(SKIP_2) | instid1(VALU_DEP_2)
	v_cmp_lt_u64_e32 vcc_lo, 0xffffff, v[2:3]
	v_add_nc_u32_e32 v4, 15, v5
	v_cndmask_b32_e64 v5, 0, 1, vcc_lo
	v_cndmask_b32_e32 v4, v7, v4, vcc_lo
	s_delay_alu instid0(VALU_DEP_2)
	v_lshrrev_b64 v[2:3], v5, v[2:3]
; %bb.5298:                             ;   in Loop: Header=BB6_4623 Depth=2
	s_and_not1_saveexec_b32 s11, s11
; %bb.5299:                             ;   in Loop: Header=BB6_4623 Depth=2
	s_delay_alu instid0(VALU_DEP_1)
	v_bfe_u32 v4, v2, 23, 1
; %bb.5300:                             ;   in Loop: Header=BB6_4623 Depth=2
	s_or_b32 exec_lo, exec_lo, s11
	s_delay_alu instid0(VALU_DEP_2) | instskip(NEXT) | instid1(VALU_DEP_2)
	v_lshrrev_b64 v[2:3], 21, v[2:3]
	v_cmp_gt_i32_e32 vcc_lo, 32, v4
	v_min_i32_e32 v5, 31, v4
	v_cmp_eq_u32_e64 s11, 0, v4
	s_delay_alu instid0(VALU_DEP_2) | instskip(SKIP_1) | instid1(VALU_DEP_2)
	v_dual_cndmask_b32 v3, 0, v3, vcc_lo :: v_dual_lshlrev_b32 v5, 2, v5
	v_cndmask_b32_e32 v2, 3, v2, vcc_lo
	v_and_b32_e32 v5, 0xfc, v5
	s_delay_alu instid0(VALU_DEP_2) | instskip(NEXT) | instid1(VALU_DEP_2)
	v_cmp_eq_u64_e32 vcc_lo, 0, v[2:3]
	v_and_or_b32 v2, v2, 3, v5
	s_and_b32 s11, s11, vcc_lo
	s_delay_alu instid0(VALU_DEP_1) | instid1(SALU_CYCLE_1)
	v_cndmask_b32_e64 v2, v2, 0, s11
	s_delay_alu instid0(VALU_DEP_1)
	v_or_b32_e32 v35, v2, v6
.LBB6_5301:                             ;   in Loop: Header=BB6_4623 Depth=2
	s_or_b32 exec_lo, exec_lo, s42
                                        ; implicit-def: $vgpr6
.LBB6_5302:                             ;   in Loop: Header=BB6_4623 Depth=2
	s_and_not1_saveexec_b32 s11, s41
; %bb.5303:                             ;   in Loop: Header=BB6_4623 Depth=2
	v_or_b32_e32 v35, 0x7b, v6
; %bb.5304:                             ;   in Loop: Header=BB6_4623 Depth=2
	s_or_b32 exec_lo, exec_lo, s11
                                        ; implicit-def: $vgpr4
                                        ; implicit-def: $vgpr2_vgpr3
                                        ; implicit-def: $vgpr5
.LBB6_5305:                             ;   in Loop: Header=BB6_4623 Depth=2
	s_and_not1_saveexec_b32 s11, s40
	s_cbranch_execz .LBB6_5311
; %bb.5306:                             ;   in Loop: Header=BB6_4623 Depth=2
	s_mov_b32 s40, exec_lo
                                        ; implicit-def: $vgpr35
	v_cmpx_ne_u64_e32 0, v[2:3]
	s_xor_b32 s40, exec_lo, s40
; %bb.5307:                             ;   in Loop: Header=BB6_4623 Depth=2
	v_or_b32_e32 v35, 0x7f, v5
                                        ; implicit-def: $vgpr4
; %bb.5308:                             ;   in Loop: Header=BB6_4623 Depth=2
	s_and_not1_saveexec_b32 s40, s40
; %bb.5309:                             ;   in Loop: Header=BB6_4623 Depth=2
	v_cmp_lt_i32_e32 vcc_lo, -1, v4
	v_mov_b32_e32 v2, 0x7c
	s_delay_alu instid0(VALU_DEP_1)
	v_cndmask_b32_e32 v35, 0xfc, v2, vcc_lo
; %bb.5310:                             ;   in Loop: Header=BB6_4623 Depth=2
	s_or_b32 exec_lo, exec_lo, s40
.LBB6_5311:                             ;   in Loop: Header=BB6_4623 Depth=2
	s_delay_alu instid0(SALU_CYCLE_1) | instskip(SKIP_2) | instid1(VALU_DEP_1)
	s_or_b32 exec_lo, exec_lo, s11
	v_dual_mov_b32 v3, 0 :: v_dual_lshrrev_b32 v2, 16, v0
	s_mov_b32 s11, exec_lo
	v_and_b32_e32 v4, 0xff, v2
	s_delay_alu instid0(VALU_DEP_1)
	v_cmpx_ne_u16_e32 0, v4
	s_cbranch_execz .LBB6_5321
; %bb.5312:                             ;   in Loop: Header=BB6_4623 Depth=2
	v_bfrev_b32_e32 v3, 1
	s_mov_b32 s40, exec_lo
	v_cmpx_ne_u16_e32 0x80, v4
	s_cbranch_execz .LBB6_5320
; %bb.5313:                             ;   in Loop: Header=BB6_4623 Depth=2
	v_and_b32_e32 v3, 0x7c0000, v0
	v_bfe_u32 v4, v0, 16, 2
	s_delay_alu instid0(VALU_DEP_2) | instskip(SKIP_1) | instid1(SALU_CYCLE_1)
	v_cmp_ne_u32_e32 vcc_lo, 0x7c0000, v3
                                        ; implicit-def: $vgpr3
	s_and_saveexec_b32 s41, vcc_lo
	s_xor_b32 s41, exec_lo, s41
	s_cbranch_execz .LBB6_5317
; %bb.5314:                             ;   in Loop: Header=BB6_4623 Depth=2
	v_bfe_u32 v3, v0, 18, 5
	s_mov_b32 s42, exec_lo
	s_delay_alu instid0(VALU_DEP_1)
	v_cmpx_eq_u32_e32 0, v3
; %bb.5315:                             ;   in Loop: Header=BB6_4623 Depth=2
	v_clz_i32_u32_e32 v3, v4
	s_delay_alu instid0(VALU_DEP_1) | instskip(NEXT) | instid1(VALU_DEP_1)
	v_min_u32_e32 v3, 32, v3
	v_subrev_nc_u32_e32 v4, 29, v3
	s_delay_alu instid0(VALU_DEP_1) | instskip(NEXT) | instid1(VALU_DEP_1)
	v_lshlrev_b64_e32 v[4:5], v4, v[2:3]
	v_dual_sub_nc_u32 v3, 30, v3 :: v_dual_bitop2_b32 v4, 3, v4 bitop3:0x40
; %bb.5316:                             ;   in Loop: Header=BB6_4623 Depth=2
	s_or_b32 exec_lo, exec_lo, s42
	v_lshlrev_b32_e32 v2, 24, v2
	s_delay_alu instid0(VALU_DEP_1) | instskip(NEXT) | instid1(VALU_DEP_1)
	v_and_b32_e32 v2, 0x80000000, v2
	v_lshl_add_u32 v2, v3, 23, v2
	s_delay_alu instid0(VALU_DEP_1) | instskip(NEXT) | instid1(VALU_DEP_1)
	v_lshl_or_b32 v2, v4, 21, v2
                                        ; implicit-def: $vgpr4
	v_add_nc_u32_e32 v3, 0x38000000, v2
                                        ; implicit-def: $vgpr2
.LBB6_5317:                             ;   in Loop: Header=BB6_4623 Depth=2
	s_and_not1_saveexec_b32 s41, s41
; %bb.5318:                             ;   in Loop: Header=BB6_4623 Depth=2
	v_bfe_i32 v2, v2, 0, 8
	s_delay_alu instid0(VALU_DEP_1) | instskip(SKIP_1) | instid1(VALU_DEP_1)
	v_cmp_lt_i16_e32 vcc_lo, -1, v2
	v_mov_b32_e32 v2, 0x7f800000
	v_cndmask_b32_e32 v2, 0xff800000, v2, vcc_lo
	v_cmp_eq_u32_e32 vcc_lo, 0, v4
	s_delay_alu instid0(VALU_DEP_2)
	v_cndmask_b32_e32 v3, 0x7f800001, v2, vcc_lo
; %bb.5319:                             ;   in Loop: Header=BB6_4623 Depth=2
	s_or_b32 exec_lo, exec_lo, s41
.LBB6_5320:                             ;   in Loop: Header=BB6_4623 Depth=2
	s_delay_alu instid0(SALU_CYCLE_1)
	s_or_b32 exec_lo, exec_lo, s40
.LBB6_5321:                             ;   in Loop: Header=BB6_4623 Depth=2
	s_delay_alu instid0(SALU_CYCLE_1) | instskip(SKIP_3) | instid1(VALU_DEP_1)
	s_or_b32 exec_lo, exec_lo, s11
	v_lshrrev_b32_e32 v2, 16, v11
	s_mov_b32 s40, 0
	s_mov_b32 s11, exec_lo
	v_and_b32_e32 v5, 0xff, v2
	s_delay_alu instid0(VALU_DEP_1)
	v_cmpx_lt_i16_e32 0x7f, v5
	s_xor_b32 s11, exec_lo, s11
	s_cbranch_execnz .LBB6_5658
; %bb.5322:                             ;   in Loop: Header=BB6_4623 Depth=2
	s_or_saveexec_b32 s11, s11
	v_bfrev_b32_e32 v4, 1
	s_xor_b32 exec_lo, exec_lo, s11
	s_cbranch_execnz .LBB6_5661
.LBB6_5323:                             ;   in Loop: Header=BB6_4623 Depth=2
	s_or_b32 exec_lo, exec_lo, s11
	s_and_saveexec_b32 s11, s40
	s_cbranch_execz .LBB6_5325
.LBB6_5324:                             ;   in Loop: Header=BB6_4623 Depth=2
	v_and_b32_e32 v6, 3, v2
	v_bfe_u32 v36, v11, 18, 5
	s_delay_alu instid0(VALU_DEP_2) | instskip(NEXT) | instid1(VALU_DEP_2)
	v_clz_i32_u32_e32 v4, v6
	v_cmp_eq_u32_e32 vcc_lo, 0, v36
	s_delay_alu instid0(VALU_DEP_2) | instskip(NEXT) | instid1(VALU_DEP_1)
	v_min_u32_e32 v7, 32, v4
	v_subrev_nc_u32_e32 v4, 29, v7
	s_delay_alu instid0(VALU_DEP_1) | instskip(SKIP_2) | instid1(VALU_DEP_2)
	v_lshlrev_b64_e32 v[4:5], v4, v[2:3]
	v_dual_lshlrev_b32 v5, 24, v2 :: v_dual_sub_nc_u32 v7, 30, v7
	v_bfe_i32 v2, v2, 0, 8
	v_and_b32_e32 v5, 0x80000000, v5
	s_delay_alu instid0(VALU_DEP_3) | instskip(NEXT) | instid1(VALU_DEP_1)
	v_dual_cndmask_b32 v7, v36, v7, vcc_lo :: v_dual_bitop2_b32 v4, 3, v4 bitop3:0x40
	v_cndmask_b32_e32 v4, v6, v4, vcc_lo
	s_delay_alu instid0(VALU_DEP_2) | instskip(SKIP_2) | instid1(VALU_DEP_3)
	v_lshl_add_u32 v5, v7, 23, v5
	v_cmp_lt_i16_e32 vcc_lo, -1, v2
	v_mov_b32_e32 v2, 0x7f800000
	v_lshl_or_b32 v4, v4, 21, v5
	v_and_b32_e32 v5, 0x7c0000, v11
	s_delay_alu instid0(VALU_DEP_3) | instskip(SKIP_1) | instid1(VALU_DEP_4)
	v_cndmask_b32_e32 v2, 0xff800000, v2, vcc_lo
	v_cmp_eq_u32_e32 vcc_lo, 0, v6
	v_add_nc_u32_e32 v4, 0x38000000, v4
	s_delay_alu instid0(VALU_DEP_3) | instskip(SKIP_1) | instid1(VALU_DEP_2)
	v_cndmask_b32_e32 v2, 0x7f800001, v2, vcc_lo
	v_cmp_eq_u32_e32 vcc_lo, 0x7c0000, v5
	v_cndmask_b32_e32 v4, v4, v2, vcc_lo
.LBB6_5325:                             ;   in Loop: Header=BB6_4623 Depth=2
	s_or_b32 exec_lo, exec_lo, s11
	s_delay_alu instid0(VALU_DEP_1) | instskip(SKIP_2) | instid1(VALU_DEP_2)
	v_dual_add_f32 v4, v3, v4 :: v_dual_mov_b32 v7, v1
	v_mov_b32_e32 v3, v1
                                        ; implicit-def: $vgpr36
	s_mov_b32 s11, exec_lo
	v_and_b32_e32 v6, 0x7f800000, v4
	v_and_b32_e32 v2, 0x7fffff, v4
	v_lshrrev_b32_e32 v5, 24, v4
	s_delay_alu instid0(VALU_DEP_3)
	v_cmpx_ne_u64_e32 0x7f800000, v[6:7]
	s_xor_b32 s40, exec_lo, s11
	s_cbranch_execz .LBB6_5339
; %bb.5326:                             ;   in Loop: Header=BB6_4623 Depth=2
	v_and_b32_e32 v6, 0x7fffffff, v4
	v_mov_b32_e32 v7, v1
                                        ; implicit-def: $vgpr36
	s_delay_alu instid0(VALU_DEP_1) | instskip(SKIP_2) | instid1(SALU_CYCLE_1)
	v_cmp_gt_u64_e32 vcc_lo, 0x47600001, v[6:7]
	v_and_b32_e32 v6, 0x80, v5
	s_and_saveexec_b32 s11, vcc_lo
	s_xor_b32 s41, exec_lo, s11
	s_cbranch_execz .LBB6_5336
; %bb.5327:                             ;   in Loop: Header=BB6_4623 Depth=2
	v_mov_b32_e32 v36, 0
	s_mov_b32 s42, exec_lo
	v_cmpx_ne_u32_e32 0, v4
	s_cbranch_execz .LBB6_5335
; %bb.5328:                             ;   in Loop: Header=BB6_4623 Depth=2
	v_bfe_u32 v7, v4, 23, 8
	v_or_b32_e32 v37, 0x800000, v2
	s_delay_alu instid0(VALU_DEP_2) | instskip(SKIP_1) | instid1(VALU_DEP_2)
	v_sub_nc_u32_e32 v4, 0x71, v7
	v_cmp_gt_u32_e32 vcc_lo, 0x72, v7
	v_cndmask_b32_e32 v4, 0, v4, vcc_lo
	v_cmp_eq_u32_e32 vcc_lo, 0, v7
	v_cndmask_b32_e32 v2, v37, v2, vcc_lo
	s_delay_alu instid0(VALU_DEP_3) | instskip(NEXT) | instid1(VALU_DEP_1)
	v_cndmask_b32_e64 v36, v4, 0x70, vcc_lo
	v_dual_add_nc_u32 v4, 21, v36 :: v_dual_add_nc_u32 v38, 20, v36
	s_delay_alu instid0(VALU_DEP_1) | instskip(NEXT) | instid1(VALU_DEP_2)
	v_lshlrev_b64_e64 v[4:5], v4, -1
	v_lshlrev_b64_e64 v[38:39], v38, 1
	s_delay_alu instid0(VALU_DEP_2) | instskip(SKIP_1) | instid1(VALU_DEP_4)
	v_bfi_b32 v4, v4, 0, v2
	v_lshrrev_b64 v[2:3], v36, v[2:3]
	v_bfi_b32 v5, v5, 0, 0
	s_delay_alu instid0(VALU_DEP_1) | instskip(NEXT) | instid1(VALU_DEP_3)
	v_cmp_eq_u64_e64 s11, v[4:5], v[38:39]
	v_mov_b64_e32 v[4:5], v[2:3]
	s_and_saveexec_b32 s43, s11
; %bb.5329:                             ;   in Loop: Header=BB6_4623 Depth=2
	v_bfe_u32 v4, v2, 21, 1
	v_mov_b32_e32 v5, v1
	s_delay_alu instid0(VALU_DEP_1) | instskip(NEXT) | instid1(VALU_DEP_1)
	v_add_nc_u64_e32 v[4:5], v[2:3], v[4:5]
	v_add_nc_u64_e32 v[4:5], -1, v[4:5]
; %bb.5330:                             ;   in Loop: Header=BB6_4623 Depth=2
	s_or_b32 exec_lo, exec_lo, s43
	v_add_nc_u32_e32 v3, 0xffffff81, v7
	v_lshrrev_b32_e32 v5, 23, v2
	s_mov_b32 s11, exec_lo
	s_delay_alu instid0(VALU_DEP_2) | instskip(NEXT) | instid1(VALU_DEP_1)
	v_cndmask_b32_e64 v3, v3, 0xffffff82, vcc_lo
	v_add3_u32 v5, v36, v3, v5
	v_and_b32_e32 v3, 0x1fffff, v4
                                        ; implicit-def: $vgpr4
	s_delay_alu instid0(VALU_DEP_1) | instskip(SKIP_1) | instid1(VALU_DEP_2)
	v_dual_add_nc_u32 v7, 14, v5 :: v_dual_add_nc_u32 v2, v3, v2
	v_mov_b32_e32 v3, v1
	v_cmpx_ne_u32_e32 0, v7
	s_xor_b32 s11, exec_lo, s11
; %bb.5331:                             ;   in Loop: Header=BB6_4623 Depth=2
	s_delay_alu instid0(VALU_DEP_2) | instskip(SKIP_2) | instid1(VALU_DEP_2)
	v_cmp_lt_u64_e32 vcc_lo, 0xffffff, v[2:3]
	v_add_nc_u32_e32 v4, 15, v5
	v_cndmask_b32_e64 v5, 0, 1, vcc_lo
	v_cndmask_b32_e32 v4, v7, v4, vcc_lo
	s_delay_alu instid0(VALU_DEP_2)
	v_lshrrev_b64 v[2:3], v5, v[2:3]
; %bb.5332:                             ;   in Loop: Header=BB6_4623 Depth=2
	s_and_not1_saveexec_b32 s11, s11
; %bb.5333:                             ;   in Loop: Header=BB6_4623 Depth=2
	s_delay_alu instid0(VALU_DEP_1)
	v_bfe_u32 v4, v2, 23, 1
; %bb.5334:                             ;   in Loop: Header=BB6_4623 Depth=2
	s_or_b32 exec_lo, exec_lo, s11
	s_delay_alu instid0(VALU_DEP_2) | instskip(NEXT) | instid1(VALU_DEP_2)
	v_lshrrev_b64 v[2:3], 21, v[2:3]
	v_cmp_gt_i32_e32 vcc_lo, 32, v4
	v_min_i32_e32 v5, 31, v4
	v_cmp_eq_u32_e64 s11, 0, v4
	s_delay_alu instid0(VALU_DEP_2) | instskip(SKIP_1) | instid1(VALU_DEP_2)
	v_dual_cndmask_b32 v3, 0, v3, vcc_lo :: v_dual_lshlrev_b32 v5, 2, v5
	v_cndmask_b32_e32 v2, 3, v2, vcc_lo
	v_and_b32_e32 v5, 0xfc, v5
	s_delay_alu instid0(VALU_DEP_2) | instskip(NEXT) | instid1(VALU_DEP_2)
	v_cmp_eq_u64_e32 vcc_lo, 0, v[2:3]
	v_and_or_b32 v2, v2, 3, v5
	s_and_b32 s11, s11, vcc_lo
	s_delay_alu instid0(VALU_DEP_1) | instid1(SALU_CYCLE_1)
	v_cndmask_b32_e64 v2, v2, 0, s11
	s_delay_alu instid0(VALU_DEP_1)
	v_or_b32_e32 v36, v2, v6
.LBB6_5335:                             ;   in Loop: Header=BB6_4623 Depth=2
	s_or_b32 exec_lo, exec_lo, s42
                                        ; implicit-def: $vgpr6
.LBB6_5336:                             ;   in Loop: Header=BB6_4623 Depth=2
	s_and_not1_saveexec_b32 s11, s41
; %bb.5337:                             ;   in Loop: Header=BB6_4623 Depth=2
	v_or_b32_e32 v36, 0x7b, v6
; %bb.5338:                             ;   in Loop: Header=BB6_4623 Depth=2
	s_or_b32 exec_lo, exec_lo, s11
                                        ; implicit-def: $vgpr4
                                        ; implicit-def: $vgpr2_vgpr3
                                        ; implicit-def: $vgpr5
.LBB6_5339:                             ;   in Loop: Header=BB6_4623 Depth=2
	s_and_not1_saveexec_b32 s11, s40
	s_cbranch_execz .LBB6_5345
; %bb.5340:                             ;   in Loop: Header=BB6_4623 Depth=2
	s_mov_b32 s40, exec_lo
                                        ; implicit-def: $vgpr36
	v_cmpx_ne_u64_e32 0, v[2:3]
	s_xor_b32 s40, exec_lo, s40
; %bb.5341:                             ;   in Loop: Header=BB6_4623 Depth=2
	v_or_b32_e32 v36, 0x7f, v5
                                        ; implicit-def: $vgpr4
; %bb.5342:                             ;   in Loop: Header=BB6_4623 Depth=2
	s_and_not1_saveexec_b32 s40, s40
; %bb.5343:                             ;   in Loop: Header=BB6_4623 Depth=2
	v_cmp_lt_i32_e32 vcc_lo, -1, v4
	v_mov_b32_e32 v2, 0x7c
	s_delay_alu instid0(VALU_DEP_1)
	v_cndmask_b32_e32 v36, 0xfc, v2, vcc_lo
; %bb.5344:                             ;   in Loop: Header=BB6_4623 Depth=2
	s_or_b32 exec_lo, exec_lo, s40
.LBB6_5345:                             ;   in Loop: Header=BB6_4623 Depth=2
	s_delay_alu instid0(SALU_CYCLE_1)
	s_or_b32 exec_lo, exec_lo, s11
	v_mov_b32_e32 v3, 0
	s_mov_b32 s11, exec_lo
	v_cmpx_lt_u32_e32 0xffffff, v0
	s_cbranch_execz .LBB6_5355
; %bb.5346:                             ;   in Loop: Header=BB6_4623 Depth=2
	v_lshrrev_b32_e32 v2, 24, v0
	v_bfrev_b32_e32 v3, 1
	s_mov_b32 s40, exec_lo
	s_delay_alu instid0(VALU_DEP_2)
	v_cmpx_ne_u32_e32 0x80, v2
	s_cbranch_execz .LBB6_5354
; %bb.5347:                             ;   in Loop: Header=BB6_4623 Depth=2
	v_and_b32_e32 v3, 0x7c000000, v0
	v_bfe_u32 v4, v0, 24, 2
	s_delay_alu instid0(VALU_DEP_2) | instskip(SKIP_1) | instid1(SALU_CYCLE_1)
	v_cmp_ne_u32_e32 vcc_lo, 0x7c000000, v3
                                        ; implicit-def: $vgpr3
	s_and_saveexec_b32 s41, vcc_lo
	s_xor_b32 s41, exec_lo, s41
	s_cbranch_execz .LBB6_5351
; %bb.5348:                             ;   in Loop: Header=BB6_4623 Depth=2
	v_bfe_u32 v3, v0, 26, 5
	s_mov_b32 s42, exec_lo
	s_delay_alu instid0(VALU_DEP_1)
	v_cmpx_eq_u32_e32 0, v3
; %bb.5349:                             ;   in Loop: Header=BB6_4623 Depth=2
	v_clz_i32_u32_e32 v3, v4
	s_delay_alu instid0(VALU_DEP_1) | instskip(NEXT) | instid1(VALU_DEP_1)
	v_min_u32_e32 v4, 32, v3
	v_subrev_nc_u32_e32 v3, 29, v4
	s_delay_alu instid0(VALU_DEP_1) | instskip(NEXT) | instid1(VALU_DEP_1)
	v_lshlrev_b64_e32 v[2:3], v3, v[2:3]
	v_dual_sub_nc_u32 v3, 30, v4 :: v_dual_bitop2_b32 v4, 3, v2 bitop3:0x40
; %bb.5350:                             ;   in Loop: Header=BB6_4623 Depth=2
	s_or_b32 exec_lo, exec_lo, s42
	v_and_b32_e32 v0, 0x80000000, v0
	s_delay_alu instid0(VALU_DEP_1) | instskip(NEXT) | instid1(VALU_DEP_1)
	v_lshl_add_u32 v0, v3, 23, v0
	v_lshl_or_b32 v0, v4, 21, v0
                                        ; implicit-def: $vgpr4
	s_delay_alu instid0(VALU_DEP_1)
	v_add_nc_u32_e32 v3, 0x38000000, v0
.LBB6_5351:                             ;   in Loop: Header=BB6_4623 Depth=2
	s_and_not1_saveexec_b32 s41, s41
; %bb.5352:                             ;   in Loop: Header=BB6_4623 Depth=2
	v_cmp_lt_i32_e32 vcc_lo, -1, v0
	v_mov_b32_e32 v0, 0x7f800000
	s_delay_alu instid0(VALU_DEP_1) | instskip(SKIP_1) | instid1(VALU_DEP_2)
	v_cndmask_b32_e32 v0, 0xff800000, v0, vcc_lo
	v_cmp_eq_u32_e32 vcc_lo, 0, v4
	v_cndmask_b32_e32 v3, 0x7f800001, v0, vcc_lo
; %bb.5353:                             ;   in Loop: Header=BB6_4623 Depth=2
	s_or_b32 exec_lo, exec_lo, s41
.LBB6_5354:                             ;   in Loop: Header=BB6_4623 Depth=2
	s_delay_alu instid0(SALU_CYCLE_1)
	s_or_b32 exec_lo, exec_lo, s40
.LBB6_5355:                             ;   in Loop: Header=BB6_4623 Depth=2
	s_delay_alu instid0(SALU_CYCLE_1) | instskip(SKIP_3) | instid1(VALU_DEP_2)
	s_or_b32 exec_lo, exec_lo, s11
	v_bfe_u32 v2, v11, 24, 2
	v_bfe_u32 v7, v11, 26, 5
	s_mov_b32 s11, exec_lo
	v_clz_i32_u32_e32 v0, v2
	s_delay_alu instid0(VALU_DEP_2) | instskip(NEXT) | instid1(VALU_DEP_2)
	v_cmp_eq_u32_e32 vcc_lo, 0, v7
	v_min_u32_e32 v6, 32, v0
	v_lshrrev_b32_e32 v0, 24, v11
	s_delay_alu instid0(VALU_DEP_2) | instskip(NEXT) | instid1(VALU_DEP_1)
	v_subrev_nc_u32_e32 v4, 29, v6
	v_lshlrev_b64_e32 v[4:5], v4, v[0:1]
	v_sub_nc_u32_e32 v5, 30, v6
	v_and_b32_e32 v6, 0x80000000, v11
	s_delay_alu instid0(VALU_DEP_2) | instskip(NEXT) | instid1(VALU_DEP_1)
	v_dual_cndmask_b32 v5, v7, v5, vcc_lo :: v_dual_bitop2_b32 v4, 3, v4 bitop3:0x40
	v_lshl_add_u32 v5, v5, 23, v6
	s_delay_alu instid0(VALU_DEP_2) | instskip(SKIP_2) | instid1(VALU_DEP_3)
	v_cndmask_b32_e32 v4, v2, v4, vcc_lo
	v_cmp_lt_i64_e32 vcc_lo, -1, v[10:11]
	v_mov_b32_e32 v6, 0x7f800000
	v_lshl_or_b32 v4, v4, 21, v5
	v_and_b32_e32 v5, 0x7c000000, v11
	s_delay_alu instid0(VALU_DEP_3) | instskip(SKIP_1) | instid1(VALU_DEP_4)
	v_cndmask_b32_e32 v6, 0xff800000, v6, vcc_lo
	v_cmp_eq_u32_e32 vcc_lo, 0, v2
	v_add_nc_u32_e32 v4, 0x38000000, v4
	s_delay_alu instid0(VALU_DEP_3) | instskip(SKIP_1) | instid1(VALU_DEP_2)
	v_cndmask_b32_e32 v2, 0x7f800001, v6, vcc_lo
	v_cmp_eq_u32_e32 vcc_lo, 0x7c000000, v5
	v_dual_mov_b32 v5, v1 :: v_dual_cndmask_b32 v2, v4, v2
	v_cmp_ne_u32_e32 vcc_lo, 0x80, v0
	s_delay_alu instid0(VALU_DEP_2) | instskip(SKIP_1) | instid1(VALU_DEP_2)
	v_cndmask_b32_e32 v0, 0x80000000, v2, vcc_lo
	v_cmp_lt_u64_e32 vcc_lo, s[12:13], v[10:11]
                                        ; implicit-def: $vgpr10
	v_cndmask_b32_e32 v0, 0, v0, vcc_lo
	s_delay_alu instid0(VALU_DEP_1) | instskip(NEXT) | instid1(VALU_DEP_1)
	v_add_f32_e32 v2, v0, v3
	v_and_b32_e32 v4, 0x7f800000, v2
	v_and_b32_e32 v0, 0x7fffff, v2
	v_lshrrev_b32_e32 v3, 24, v2
	s_delay_alu instid0(VALU_DEP_3)
	v_cmpx_ne_u64_e32 0x7f800000, v[4:5]
	s_xor_b32 s40, exec_lo, s11
	s_cbranch_execz .LBB6_5369
; %bb.5356:                             ;   in Loop: Header=BB6_4623 Depth=2
	v_and_b32_e32 v4, 0x7fffffff, v2
	v_mov_b32_e32 v5, v1
	v_and_b32_e32 v6, 0x80, v3
                                        ; implicit-def: $vgpr10
	s_mov_b32 s11, exec_lo
	s_delay_alu instid0(VALU_DEP_2)
	v_cmpx_gt_u64_e32 0x47600001, v[4:5]
	s_xor_b32 s41, exec_lo, s11
	s_cbranch_execz .LBB6_5366
; %bb.5357:                             ;   in Loop: Header=BB6_4623 Depth=2
	v_mov_b32_e32 v10, 0
	s_mov_b32 s42, exec_lo
	v_cmpx_ne_u32_e32 0, v2
	s_cbranch_execz .LBB6_5365
; %bb.5358:                             ;   in Loop: Header=BB6_4623 Depth=2
	v_bfe_u32 v7, v2, 23, 8
	v_or_b32_e32 v4, 0x800000, v0
	s_mov_b32 s43, exec_lo
	s_delay_alu instid0(VALU_DEP_2) | instskip(SKIP_1) | instid1(VALU_DEP_2)
	v_dual_mov_b32 v5, v1 :: v_dual_sub_nc_u32 v2, 0x71, v7
	v_cmp_gt_u32_e32 vcc_lo, 0x72, v7
	v_cndmask_b32_e32 v2, 0, v2, vcc_lo
	v_cmp_eq_u32_e32 vcc_lo, 0, v7
	v_cndmask_b32_e32 v4, v4, v0, vcc_lo
	s_delay_alu instid0(VALU_DEP_3) | instskip(NEXT) | instid1(VALU_DEP_1)
	v_cndmask_b32_e64 v10, v2, 0x70, vcc_lo
	v_dual_add_nc_u32 v2, 21, v10 :: v_dual_add_nc_u32 v11, 20, v10
	s_delay_alu instid0(VALU_DEP_1) | instskip(NEXT) | instid1(VALU_DEP_2)
	v_lshlrev_b64_e64 v[2:3], v2, -1
	v_lshlrev_b64_e64 v[38:39], v11, 1
	s_delay_alu instid0(VALU_DEP_2) | instskip(NEXT) | instid1(VALU_DEP_3)
	v_bfi_b32 v49, v3, 0, 0
	v_bfi_b32 v48, v2, 0, v4
	v_lshrrev_b64 v[2:3], v10, v[4:5]
	s_delay_alu instid0(VALU_DEP_1) | instskip(NEXT) | instid1(VALU_DEP_3)
	v_mov_b64_e32 v[4:5], v[2:3]
	v_cmpx_eq_u64_e64 v[48:49], v[38:39]
; %bb.5359:                             ;   in Loop: Header=BB6_4623 Depth=2
	v_bfe_u32 v4, v2, 21, 1
	v_mov_b32_e32 v5, v1
	s_delay_alu instid0(VALU_DEP_1) | instskip(NEXT) | instid1(VALU_DEP_1)
	v_add_nc_u64_e32 v[4:5], v[2:3], v[4:5]
	v_add_nc_u64_e32 v[4:5], -1, v[4:5]
; %bb.5360:                             ;   in Loop: Header=BB6_4623 Depth=2
	s_or_b32 exec_lo, exec_lo, s43
	v_add_nc_u32_e32 v0, 0xffffff81, v7
	s_delay_alu instid0(VALU_DEP_2) | instskip(SKIP_2) | instid1(VALU_DEP_3)
	v_and_b32_e32 v4, 0x1fffff, v4
	v_lshrrev_b32_e32 v3, 23, v2
	s_mov_b32 s11, exec_lo
	v_cndmask_b32_e64 v0, v0, 0xffffff82, vcc_lo
	s_delay_alu instid0(VALU_DEP_1) | instskip(SKIP_1) | instid1(VALU_DEP_2)
	v_add3_u32 v5, v10, v0, v3
	v_add_nc_u32_e32 v0, v4, v2
                                        ; implicit-def: $vgpr2_vgpr3
                                        ; implicit-def: $vgpr4
	v_add_nc_u32_e32 v7, 14, v5
	s_delay_alu instid0(VALU_DEP_1)
	v_cmpx_ne_u32_e32 0, v7
	s_xor_b32 s11, exec_lo, s11
; %bb.5361:                             ;   in Loop: Header=BB6_4623 Depth=2
	s_delay_alu instid0(VALU_DEP_3) | instskip(SKIP_1) | instid1(VALU_DEP_1)
	v_cmp_lt_u64_e32 vcc_lo, 0xffffff, v[0:1]
	v_add_nc_u32_e32 v2, 15, v5
	v_cndmask_b32_e32 v4, v7, v2, vcc_lo
	v_cndmask_b32_e64 v2, 0, 1, vcc_lo
	s_delay_alu instid0(VALU_DEP_1)
	v_lshrrev_b64 v[2:3], v2, v[0:1]
; %bb.5362:                             ;   in Loop: Header=BB6_4623 Depth=2
	s_and_not1_saveexec_b32 s11, s11
; %bb.5363:                             ;   in Loop: Header=BB6_4623 Depth=2
	v_mov_b64_e32 v[2:3], v[0:1]
	v_bfe_u32 v4, v0, 23, 1
; %bb.5364:                             ;   in Loop: Header=BB6_4623 Depth=2
	s_or_b32 exec_lo, exec_lo, s11
	s_delay_alu instid0(VALU_DEP_2) | instskip(NEXT) | instid1(VALU_DEP_2)
	v_lshrrev_b64 v[2:3], 21, v[2:3]
	v_cmp_gt_i32_e32 vcc_lo, 32, v4
	v_min_i32_e32 v0, 31, v4
	v_cmp_eq_u32_e64 s11, 0, v4
	s_delay_alu instid0(VALU_DEP_2) | instskip(SKIP_1) | instid1(VALU_DEP_2)
	v_dual_cndmask_b32 v3, 0, v3 :: v_dual_lshlrev_b32 v0, 2, v0
	v_cndmask_b32_e32 v2, 3, v2, vcc_lo
	v_and_b32_e32 v0, 0xfc, v0
	s_delay_alu instid0(VALU_DEP_2) | instskip(NEXT) | instid1(VALU_DEP_2)
	v_cmp_eq_u64_e32 vcc_lo, 0, v[2:3]
	v_and_or_b32 v0, v2, 3, v0
	s_and_b32 s11, s11, vcc_lo
	s_delay_alu instid0(VALU_DEP_1) | instid1(SALU_CYCLE_1)
	v_cndmask_b32_e64 v0, v0, 0, s11
	s_delay_alu instid0(VALU_DEP_1)
	v_or_b32_e32 v10, v0, v6
.LBB6_5365:                             ;   in Loop: Header=BB6_4623 Depth=2
	s_or_b32 exec_lo, exec_lo, s42
                                        ; implicit-def: $vgpr6
.LBB6_5366:                             ;   in Loop: Header=BB6_4623 Depth=2
	s_and_not1_saveexec_b32 s11, s41
; %bb.5367:                             ;   in Loop: Header=BB6_4623 Depth=2
	v_or_b32_e32 v10, 0x7b, v6
; %bb.5368:                             ;   in Loop: Header=BB6_4623 Depth=2
	s_or_b32 exec_lo, exec_lo, s11
                                        ; implicit-def: $vgpr2
                                        ; implicit-def: $vgpr3
.LBB6_5369:                             ;   in Loop: Header=BB6_4623 Depth=2
	s_and_not1_saveexec_b32 s11, s40
	s_cbranch_execz .LBB6_5375
; %bb.5370:                             ;   in Loop: Header=BB6_4623 Depth=2
	s_mov_b32 s40, exec_lo
                                        ; implicit-def: $vgpr10
	v_cmpx_ne_u64_e32 0, v[0:1]
	s_xor_b32 s40, exec_lo, s40
; %bb.5371:                             ;   in Loop: Header=BB6_4623 Depth=2
	v_or_b32_e32 v10, 0x7f, v3
                                        ; implicit-def: $vgpr2
; %bb.5372:                             ;   in Loop: Header=BB6_4623 Depth=2
	s_and_not1_saveexec_b32 s40, s40
; %bb.5373:                             ;   in Loop: Header=BB6_4623 Depth=2
	v_cmp_lt_i32_e32 vcc_lo, -1, v2
	v_mov_b32_e32 v0, 0x7c
	s_delay_alu instid0(VALU_DEP_1)
	v_cndmask_b32_e32 v10, 0xfc, v0, vcc_lo
; %bb.5374:                             ;   in Loop: Header=BB6_4623 Depth=2
	s_or_b32 exec_lo, exec_lo, s40
.LBB6_5375:                             ;   in Loop: Header=BB6_4623 Depth=2
	s_delay_alu instid0(SALU_CYCLE_1) | instskip(SKIP_3) | instid1(VALU_DEP_1)
	s_or_b32 exec_lo, exec_lo, s11
	v_lshl_or_b32 v6, v29, 8, v25
	v_dual_lshlrev_b32 v0, 16, v32 :: v_dual_lshlrev_b32 v2, 24, v34
	s_mov_b32 s11, exec_lo
	v_or3_b32 v0, v0, v2, v6
	v_mov_b32_e32 v2, 0
	v_cmpx_ne_u32_e32 0, v25
	s_cbranch_execz .LBB6_5385
; %bb.5376:                             ;   in Loop: Header=BB6_4623 Depth=2
	v_bfrev_b32_e32 v2, 1
	s_mov_b32 s40, exec_lo
	v_cmpx_ne_u32_e32 0x80, v25
	s_cbranch_execz .LBB6_5384
; %bb.5377:                             ;   in Loop: Header=BB6_4623 Depth=2
	v_and_b32_e32 v2, 0x7c, v25
	v_and_b32_e32 v3, 3, v25
	s_delay_alu instid0(VALU_DEP_2) | instskip(SKIP_1) | instid1(SALU_CYCLE_1)
	v_cmp_ne_u32_e32 vcc_lo, 0x7c, v2
                                        ; implicit-def: $vgpr2
	s_and_saveexec_b32 s41, vcc_lo
	s_xor_b32 s41, exec_lo, s41
	s_cbranch_execz .LBB6_5381
; %bb.5378:                             ;   in Loop: Header=BB6_4623 Depth=2
	v_bfe_u32 v2, v25, 2, 5
	s_mov_b32 s42, exec_lo
	s_delay_alu instid0(VALU_DEP_1)
	v_cmpx_eq_u32_e32 0, v2
; %bb.5379:                             ;   in Loop: Header=BB6_4623 Depth=2
	v_clz_i32_u32_e32 v2, v3
	s_delay_alu instid0(VALU_DEP_1) | instskip(NEXT) | instid1(VALU_DEP_1)
	v_min_u32_e32 v2, 32, v2
	v_subrev_nc_u32_e32 v3, 29, v2
	s_delay_alu instid0(VALU_DEP_1) | instskip(NEXT) | instid1(VALU_DEP_1)
	v_lshlrev_b64_e32 v[4:5], v3, v[0:1]
	v_dual_sub_nc_u32 v2, 30, v2 :: v_dual_bitop2_b32 v3, 3, v4 bitop3:0x40
; %bb.5380:                             ;   in Loop: Header=BB6_4623 Depth=2
	s_or_b32 exec_lo, exec_lo, s42
	v_lshlrev_b32_e32 v4, 24, v25
                                        ; implicit-def: $vgpr25
	s_delay_alu instid0(VALU_DEP_1) | instskip(NEXT) | instid1(VALU_DEP_1)
	v_and_b32_e32 v4, 0x80000000, v4
	v_lshl_add_u32 v2, v2, 23, v4
	s_delay_alu instid0(VALU_DEP_1) | instskip(NEXT) | instid1(VALU_DEP_1)
	v_lshl_or_b32 v2, v3, 21, v2
                                        ; implicit-def: $vgpr3
	v_add_nc_u32_e32 v2, 0x38000000, v2
.LBB6_5381:                             ;   in Loop: Header=BB6_4623 Depth=2
	s_and_not1_saveexec_b32 s41, s41
; %bb.5382:                             ;   in Loop: Header=BB6_4623 Depth=2
	v_and_b32_e32 v2, 0x80, v25
	s_delay_alu instid0(VALU_DEP_1) | instskip(SKIP_1) | instid1(VALU_DEP_1)
	v_cmp_eq_u32_e32 vcc_lo, 0, v2
	v_mov_b32_e32 v2, 0x7f800000
	v_cndmask_b32_e32 v2, 0xff800000, v2, vcc_lo
	v_cmp_eq_u32_e32 vcc_lo, 0, v3
	s_delay_alu instid0(VALU_DEP_2)
	v_cndmask_b32_e32 v2, 0x7f800001, v2, vcc_lo
; %bb.5383:                             ;   in Loop: Header=BB6_4623 Depth=2
	s_or_b32 exec_lo, exec_lo, s41
.LBB6_5384:                             ;   in Loop: Header=BB6_4623 Depth=2
	s_delay_alu instid0(SALU_CYCLE_1)
	s_or_b32 exec_lo, exec_lo, s40
.LBB6_5385:                             ;   in Loop: Header=BB6_4623 Depth=2
	s_delay_alu instid0(SALU_CYCLE_1) | instskip(SKIP_3) | instid1(VALU_DEP_1)
	s_or_b32 exec_lo, exec_lo, s11
	v_and_b32_e32 v4, 0xff, v12
	s_mov_b32 s40, 0
	s_mov_b32 s11, exec_lo
	v_cmpx_lt_i16_e32 0x7f, v4
	s_xor_b32 s11, exec_lo, s11
	s_cbranch_execnz .LBB6_5662
; %bb.5386:                             ;   in Loop: Header=BB6_4623 Depth=2
	s_or_saveexec_b32 s11, s11
	v_bfrev_b32_e32 v3, 1
	s_xor_b32 exec_lo, exec_lo, s11
	s_cbranch_execnz .LBB6_5665
.LBB6_5387:                             ;   in Loop: Header=BB6_4623 Depth=2
	s_or_b32 exec_lo, exec_lo, s11
	s_and_saveexec_b32 s11, s40
	s_cbranch_execz .LBB6_5389
.LBB6_5388:                             ;   in Loop: Header=BB6_4623 Depth=2
	v_and_b32_e32 v3, 3, v12
	v_bfe_u32 v11, v12, 2, 5
	s_delay_alu instid0(VALU_DEP_2) | instskip(NEXT) | instid1(VALU_DEP_2)
	v_clz_i32_u32_e32 v4, v3
	v_cmp_eq_u32_e32 vcc_lo, 0, v11
	s_delay_alu instid0(VALU_DEP_2) | instskip(NEXT) | instid1(VALU_DEP_1)
	v_min_u32_e32 v7, 32, v4
	v_subrev_nc_u32_e32 v4, 29, v7
	s_delay_alu instid0(VALU_DEP_1) | instskip(SKIP_1) | instid1(VALU_DEP_1)
	v_lshlrev_b64_e32 v[4:5], v4, v[12:13]
	v_dual_lshlrev_b32 v5, 24, v12 :: v_dual_sub_nc_u32 v7, 30, v7
	v_and_b32_e32 v5, 0x80000000, v5
	s_delay_alu instid0(VALU_DEP_2) | instskip(SKIP_1) | instid1(VALU_DEP_2)
	v_dual_cndmask_b32 v7, v11, v7, vcc_lo :: v_dual_bitop2_b32 v4, 3, v4 bitop3:0x40
	v_bfe_i32 v11, v12, 0, 8
	v_cndmask_b32_e32 v4, v3, v4, vcc_lo
	s_delay_alu instid0(VALU_DEP_3) | instskip(NEXT) | instid1(VALU_DEP_3)
	v_lshl_add_u32 v5, v7, 23, v5
	v_cmp_lt_i16_e32 vcc_lo, -1, v11
	v_mov_b32_e32 v7, 0x7f800000
	s_delay_alu instid0(VALU_DEP_3) | instskip(SKIP_1) | instid1(VALU_DEP_3)
	v_lshl_or_b32 v4, v4, 21, v5
	v_and_b32_e32 v5, 0x7c, v12
	v_cndmask_b32_e32 v7, 0xff800000, v7, vcc_lo
	v_cmp_eq_u32_e32 vcc_lo, 0, v3
	s_delay_alu instid0(VALU_DEP_4) | instskip(NEXT) | instid1(VALU_DEP_3)
	v_add_nc_u32_e32 v4, 0x38000000, v4
	v_cndmask_b32_e32 v3, 0x7f800001, v7, vcc_lo
	v_cmp_eq_u32_e32 vcc_lo, 0x7c, v5
	s_delay_alu instid0(VALU_DEP_2)
	v_cndmask_b32_e32 v3, v4, v3, vcc_lo
.LBB6_5389:                             ;   in Loop: Header=BB6_4623 Depth=2
	s_or_b32 exec_lo, exec_lo, s11
	s_delay_alu instid0(VALU_DEP_1) | instskip(SKIP_2) | instid1(VALU_DEP_2)
	v_dual_add_f32 v4, v2, v3 :: v_dual_mov_b32 v39, v1
	v_mov_b32_e32 v3, v1
                                        ; implicit-def: $vgpr11
	s_mov_b32 s11, exec_lo
	v_and_b32_e32 v38, 0x7f800000, v4
	v_and_b32_e32 v2, 0x7fffff, v4
	v_lshrrev_b32_e32 v5, 24, v4
	s_delay_alu instid0(VALU_DEP_3)
	v_cmpx_ne_u64_e32 0x7f800000, v[38:39]
	s_xor_b32 s40, exec_lo, s11
	s_cbranch_execz .LBB6_5403
; %bb.5390:                             ;   in Loop: Header=BB6_4623 Depth=2
	v_and_b32_e32 v38, 0x7fffffff, v4
	v_mov_b32_e32 v39, v1
	v_and_b32_e32 v7, 0x80, v5
                                        ; implicit-def: $vgpr11
	s_mov_b32 s11, exec_lo
	s_delay_alu instid0(VALU_DEP_2)
	v_cmpx_gt_u64_e32 0x47600001, v[38:39]
	s_xor_b32 s41, exec_lo, s11
	s_cbranch_execz .LBB6_5400
; %bb.5391:                             ;   in Loop: Header=BB6_4623 Depth=2
	v_mov_b32_e32 v11, 0
	s_mov_b32 s42, exec_lo
	v_cmpx_ne_u32_e32 0, v4
	s_cbranch_execz .LBB6_5399
; %bb.5392:                             ;   in Loop: Header=BB6_4623 Depth=2
	v_bfe_u32 v11, v4, 23, 8
	v_or_b32_e32 v29, 0x800000, v2
	s_delay_alu instid0(VALU_DEP_2) | instskip(SKIP_1) | instid1(VALU_DEP_2)
	v_sub_nc_u32_e32 v4, 0x71, v11
	v_cmp_gt_u32_e32 vcc_lo, 0x72, v11
	v_cndmask_b32_e32 v4, 0, v4, vcc_lo
	v_cmp_eq_u32_e32 vcc_lo, 0, v11
	s_delay_alu instid0(VALU_DEP_2) | instskip(NEXT) | instid1(VALU_DEP_1)
	v_cndmask_b32_e64 v25, v4, 0x70, vcc_lo
	v_dual_cndmask_b32 v2, v29, v2, vcc_lo :: v_dual_add_nc_u32 v4, 21, v25
	v_add_nc_u32_e32 v32, 20, v25
	s_delay_alu instid0(VALU_DEP_2) | instskip(NEXT) | instid1(VALU_DEP_2)
	v_lshlrev_b64_e64 v[4:5], v4, -1
	v_lshlrev_b64_e64 v[38:39], v32, 1
	s_delay_alu instid0(VALU_DEP_2) | instskip(SKIP_1) | instid1(VALU_DEP_4)
	v_bfi_b32 v4, v4, 0, v2
	v_lshrrev_b64 v[2:3], v25, v[2:3]
	v_bfi_b32 v5, v5, 0, 0
	s_delay_alu instid0(VALU_DEP_1) | instskip(NEXT) | instid1(VALU_DEP_3)
	v_cmp_eq_u64_e64 s11, v[4:5], v[38:39]
	v_mov_b64_e32 v[4:5], v[2:3]
	s_and_saveexec_b32 s43, s11
; %bb.5393:                             ;   in Loop: Header=BB6_4623 Depth=2
	v_bfe_u32 v4, v2, 21, 1
	v_mov_b32_e32 v5, v1
	s_delay_alu instid0(VALU_DEP_1) | instskip(NEXT) | instid1(VALU_DEP_1)
	v_add_nc_u64_e32 v[4:5], v[2:3], v[4:5]
	v_add_nc_u64_e32 v[4:5], -1, v[4:5]
; %bb.5394:                             ;   in Loop: Header=BB6_4623 Depth=2
	s_or_b32 exec_lo, exec_lo, s43
	v_add_nc_u32_e32 v3, 0xffffff81, v11
	v_lshrrev_b32_e32 v5, 23, v2
	s_mov_b32 s11, exec_lo
	s_delay_alu instid0(VALU_DEP_2) | instskip(NEXT) | instid1(VALU_DEP_1)
	v_cndmask_b32_e64 v3, v3, 0xffffff82, vcc_lo
	v_add3_u32 v5, v25, v3, v5
	v_and_b32_e32 v3, 0x1fffff, v4
                                        ; implicit-def: $vgpr4
	s_delay_alu instid0(VALU_DEP_1) | instskip(SKIP_1) | instid1(VALU_DEP_2)
	v_dual_add_nc_u32 v11, 14, v5 :: v_dual_add_nc_u32 v2, v3, v2
	v_mov_b32_e32 v3, v1
	v_cmpx_ne_u32_e32 0, v11
	s_xor_b32 s11, exec_lo, s11
; %bb.5395:                             ;   in Loop: Header=BB6_4623 Depth=2
	s_delay_alu instid0(VALU_DEP_2) | instskip(SKIP_2) | instid1(VALU_DEP_2)
	v_cmp_lt_u64_e32 vcc_lo, 0xffffff, v[2:3]
	v_add_nc_u32_e32 v4, 15, v5
	v_cndmask_b32_e64 v5, 0, 1, vcc_lo
	v_cndmask_b32_e32 v4, v11, v4, vcc_lo
	s_delay_alu instid0(VALU_DEP_2)
	v_lshrrev_b64 v[2:3], v5, v[2:3]
; %bb.5396:                             ;   in Loop: Header=BB6_4623 Depth=2
	s_and_not1_saveexec_b32 s11, s11
; %bb.5397:                             ;   in Loop: Header=BB6_4623 Depth=2
	s_delay_alu instid0(VALU_DEP_1)
	v_bfe_u32 v4, v2, 23, 1
; %bb.5398:                             ;   in Loop: Header=BB6_4623 Depth=2
	s_or_b32 exec_lo, exec_lo, s11
	s_delay_alu instid0(VALU_DEP_2) | instskip(NEXT) | instid1(VALU_DEP_2)
	v_lshrrev_b64 v[2:3], 21, v[2:3]
	v_cmp_gt_i32_e32 vcc_lo, 32, v4
	v_min_i32_e32 v5, 31, v4
	v_cmp_eq_u32_e64 s11, 0, v4
	s_delay_alu instid0(VALU_DEP_2) | instskip(SKIP_1) | instid1(VALU_DEP_2)
	v_dual_cndmask_b32 v3, 0, v3, vcc_lo :: v_dual_lshlrev_b32 v5, 2, v5
	v_cndmask_b32_e32 v2, 3, v2, vcc_lo
	v_and_b32_e32 v5, 0xfc, v5
	s_delay_alu instid0(VALU_DEP_2) | instskip(NEXT) | instid1(VALU_DEP_2)
	v_cmp_eq_u64_e32 vcc_lo, 0, v[2:3]
	v_and_or_b32 v2, v2, 3, v5
	s_and_b32 s11, s11, vcc_lo
	s_delay_alu instid0(VALU_DEP_1) | instid1(SALU_CYCLE_1)
	v_cndmask_b32_e64 v2, v2, 0, s11
	s_delay_alu instid0(VALU_DEP_1)
	v_or_b32_e32 v11, v2, v7
.LBB6_5399:                             ;   in Loop: Header=BB6_4623 Depth=2
	s_or_b32 exec_lo, exec_lo, s42
                                        ; implicit-def: $vgpr7
.LBB6_5400:                             ;   in Loop: Header=BB6_4623 Depth=2
	s_and_not1_saveexec_b32 s11, s41
; %bb.5401:                             ;   in Loop: Header=BB6_4623 Depth=2
	v_or_b32_e32 v11, 0x7b, v7
; %bb.5402:                             ;   in Loop: Header=BB6_4623 Depth=2
	s_or_b32 exec_lo, exec_lo, s11
                                        ; implicit-def: $vgpr4
                                        ; implicit-def: $vgpr2_vgpr3
                                        ; implicit-def: $vgpr5
.LBB6_5403:                             ;   in Loop: Header=BB6_4623 Depth=2
	s_and_not1_saveexec_b32 s11, s40
	s_cbranch_execz .LBB6_5409
; %bb.5404:                             ;   in Loop: Header=BB6_4623 Depth=2
	s_mov_b32 s40, exec_lo
                                        ; implicit-def: $vgpr11
	v_cmpx_ne_u64_e32 0, v[2:3]
	s_xor_b32 s40, exec_lo, s40
; %bb.5405:                             ;   in Loop: Header=BB6_4623 Depth=2
	v_or_b32_e32 v11, 0x7f, v5
                                        ; implicit-def: $vgpr4
; %bb.5406:                             ;   in Loop: Header=BB6_4623 Depth=2
	s_and_not1_saveexec_b32 s40, s40
; %bb.5407:                             ;   in Loop: Header=BB6_4623 Depth=2
	v_cmp_lt_i32_e32 vcc_lo, -1, v4
	v_mov_b32_e32 v2, 0x7c
	s_delay_alu instid0(VALU_DEP_1)
	v_cndmask_b32_e32 v11, 0xfc, v2, vcc_lo
; %bb.5408:                             ;   in Loop: Header=BB6_4623 Depth=2
	s_or_b32 exec_lo, exec_lo, s40
.LBB6_5409:                             ;   in Loop: Header=BB6_4623 Depth=2
	s_delay_alu instid0(SALU_CYCLE_1) | instskip(SKIP_3) | instid1(VALU_DEP_2)
	s_or_b32 exec_lo, exec_lo, s11
	v_lshrrev_b16 v2, 8, v6
	v_mov_b32_e32 v4, 0
	s_mov_b32 s11, exec_lo
	v_cmpx_ne_u16_e32 0, v2
	s_cbranch_execz .LBB6_5419
; %bb.5410:                             ;   in Loop: Header=BB6_4623 Depth=2
	v_bfrev_b32_e32 v4, 1
	s_mov_b32 s40, exec_lo
	v_cmpx_ne_u16_e32 0x80, v2
	s_cbranch_execz .LBB6_5418
; %bb.5411:                             ;   in Loop: Header=BB6_4623 Depth=2
	v_and_b32_e32 v5, 0xffff, v2
	s_delay_alu instid0(VALU_DEP_1) | instskip(SKIP_1) | instid1(VALU_DEP_2)
	v_and_b32_e32 v4, 0x7c, v5
	v_and_b32_e32 v3, 3, v5
	v_cmp_ne_u32_e32 vcc_lo, 0x7c, v4
                                        ; implicit-def: $vgpr4
	s_and_saveexec_b32 s41, vcc_lo
	s_delay_alu instid0(SALU_CYCLE_1)
	s_xor_b32 s41, exec_lo, s41
	s_cbranch_execz .LBB6_5415
; %bb.5412:                             ;   in Loop: Header=BB6_4623 Depth=2
	v_bfe_u32 v4, v5, 2, 5
	s_mov_b32 s42, exec_lo
	s_delay_alu instid0(VALU_DEP_1)
	v_cmpx_eq_u32_e32 0, v4
	s_cbranch_execz .LBB6_5414
; %bb.5413:                             ;   in Loop: Header=BB6_4623 Depth=2
	v_clz_i32_u32_e32 v3, v3
	s_delay_alu instid0(VALU_DEP_1) | instskip(SKIP_1) | instid1(VALU_DEP_2)
	v_min_u32_e32 v4, 32, v3
	v_mov_b32_e32 v3, v1
	v_subrev_nc_u32_e32 v5, 29, v4
	v_sub_nc_u32_e32 v4, 30, v4
	s_delay_alu instid0(VALU_DEP_2) | instskip(NEXT) | instid1(VALU_DEP_1)
	v_lshlrev_b64_e32 v[2:3], v5, v[2:3]
	v_and_b32_e32 v3, 3, v2
.LBB6_5414:                             ;   in Loop: Header=BB6_4623 Depth=2
	s_or_b32 exec_lo, exec_lo, s42
	v_lshlrev_b32_e32 v2, 16, v6
                                        ; implicit-def: $vgpr6
	s_delay_alu instid0(VALU_DEP_1) | instskip(NEXT) | instid1(VALU_DEP_1)
	v_and_b32_e32 v2, 0x80000000, v2
	v_lshl_add_u32 v2, v4, 23, v2
	s_delay_alu instid0(VALU_DEP_1) | instskip(NEXT) | instid1(VALU_DEP_1)
	v_lshl_or_b32 v2, v3, 21, v2
                                        ; implicit-def: $vgpr3
	v_add_nc_u32_e32 v4, 0x38000000, v2
.LBB6_5415:                             ;   in Loop: Header=BB6_4623 Depth=2
	s_and_not1_saveexec_b32 s41, s41
; %bb.5416:                             ;   in Loop: Header=BB6_4623 Depth=2
	v_cmp_lt_i16_e32 vcc_lo, -1, v6
	v_mov_b32_e32 v2, 0x7f800000
	s_delay_alu instid0(VALU_DEP_1) | instskip(SKIP_1) | instid1(VALU_DEP_2)
	v_cndmask_b32_e32 v2, 0xff800000, v2, vcc_lo
	v_cmp_eq_u32_e32 vcc_lo, 0, v3
	v_cndmask_b32_e32 v4, 0x7f800001, v2, vcc_lo
; %bb.5417:                             ;   in Loop: Header=BB6_4623 Depth=2
	s_or_b32 exec_lo, exec_lo, s41
.LBB6_5418:                             ;   in Loop: Header=BB6_4623 Depth=2
	s_delay_alu instid0(SALU_CYCLE_1)
	s_or_b32 exec_lo, exec_lo, s40
.LBB6_5419:                             ;   in Loop: Header=BB6_4623 Depth=2
	s_delay_alu instid0(SALU_CYCLE_1) | instskip(SKIP_3) | instid1(VALU_DEP_1)
	s_or_b32 exec_lo, exec_lo, s11
	v_lshrrev_b16 v2, 8, v12
	s_mov_b32 s40, 0
	s_mov_b32 s11, exec_lo
	v_cmpx_lt_i16_e32 0x7f, v2
	s_xor_b32 s11, exec_lo, s11
	s_cbranch_execnz .LBB6_5666
; %bb.5420:                             ;   in Loop: Header=BB6_4623 Depth=2
	s_or_saveexec_b32 s11, s11
	v_bfrev_b32_e32 v3, 1
	s_xor_b32 exec_lo, exec_lo, s11
	s_cbranch_execnz .LBB6_5669
.LBB6_5421:                             ;   in Loop: Header=BB6_4623 Depth=2
	s_or_b32 exec_lo, exec_lo, s11
	s_and_saveexec_b32 s11, s40
	s_cbranch_execz .LBB6_5423
.LBB6_5422:                             ;   in Loop: Header=BB6_4623 Depth=2
	v_and_b32_e32 v5, 0xffff, v2
	s_delay_alu instid0(VALU_DEP_1) | instskip(NEXT) | instid1(VALU_DEP_1)
	v_and_b32_e32 v25, 3, v5
	v_clz_i32_u32_e32 v3, v25
	s_delay_alu instid0(VALU_DEP_1) | instskip(SKIP_1) | instid1(VALU_DEP_2)
	v_min_u32_e32 v29, 32, v3
	v_mov_b32_e32 v3, v1
	v_subrev_nc_u32_e32 v6, 29, v29
	s_delay_alu instid0(VALU_DEP_1) | instskip(SKIP_3) | instid1(VALU_DEP_3)
	v_lshlrev_b64_e32 v[6:7], v6, v[2:3]
	v_bfe_u32 v3, v5, 2, 5
	v_dual_lshlrev_b32 v2, 24, v2 :: v_dual_sub_nc_u32 v7, 30, v29
	v_and_b32_e32 v5, 0x7c, v5
	v_cmp_eq_u32_e32 vcc_lo, 0, v3
	s_delay_alu instid0(VALU_DEP_3) | instskip(NEXT) | instid1(VALU_DEP_4)
	v_and_b32_e32 v2, 0x80000000, v2
	v_dual_cndmask_b32 v3, v3, v7, vcc_lo :: v_dual_bitop2_b32 v6, 3, v6 bitop3:0x40
	s_delay_alu instid0(VALU_DEP_1) | instskip(SKIP_1) | instid1(VALU_DEP_3)
	v_cndmask_b32_e32 v6, v25, v6, vcc_lo
	v_cmp_lt_i16_e32 vcc_lo, -1, v12
	v_lshl_add_u32 v2, v3, 23, v2
	v_mov_b32_e32 v3, 0x7f800000
	s_delay_alu instid0(VALU_DEP_2) | instskip(NEXT) | instid1(VALU_DEP_2)
	v_lshl_or_b32 v2, v6, 21, v2
	v_cndmask_b32_e32 v3, 0xff800000, v3, vcc_lo
	v_cmp_eq_u32_e32 vcc_lo, 0, v25
	s_delay_alu instid0(VALU_DEP_3) | instskip(NEXT) | instid1(VALU_DEP_3)
	v_add_nc_u32_e32 v2, 0x38000000, v2
	v_cndmask_b32_e32 v3, 0x7f800001, v3, vcc_lo
	v_cmp_eq_u32_e32 vcc_lo, 0x7c, v5
	s_delay_alu instid0(VALU_DEP_2)
	v_cndmask_b32_e32 v3, v2, v3, vcc_lo
.LBB6_5423:                             ;   in Loop: Header=BB6_4623 Depth=2
	s_or_b32 exec_lo, exec_lo, s11
	s_delay_alu instid0(VALU_DEP_1) | instskip(SKIP_2) | instid1(VALU_DEP_2)
	v_dual_add_f32 v4, v4, v3 :: v_dual_mov_b32 v7, v1
	v_mov_b32_e32 v3, v1
                                        ; implicit-def: $vgpr25
	s_mov_b32 s11, exec_lo
	v_and_b32_e32 v6, 0x7f800000, v4
	v_and_b32_e32 v2, 0x7fffff, v4
	v_lshrrev_b32_e32 v5, 24, v4
	s_delay_alu instid0(VALU_DEP_3)
	v_cmpx_ne_u64_e32 0x7f800000, v[6:7]
	s_xor_b32 s40, exec_lo, s11
	s_cbranch_execz .LBB6_5437
; %bb.5424:                             ;   in Loop: Header=BB6_4623 Depth=2
	v_and_b32_e32 v6, 0x7fffffff, v4
	v_mov_b32_e32 v7, v1
                                        ; implicit-def: $vgpr25
	s_delay_alu instid0(VALU_DEP_1) | instskip(SKIP_2) | instid1(SALU_CYCLE_1)
	v_cmp_gt_u64_e32 vcc_lo, 0x47600001, v[6:7]
	v_and_b32_e32 v6, 0x80, v5
	s_and_saveexec_b32 s11, vcc_lo
	s_xor_b32 s41, exec_lo, s11
	s_cbranch_execz .LBB6_5434
; %bb.5425:                             ;   in Loop: Header=BB6_4623 Depth=2
	v_mov_b32_e32 v25, 0
	s_mov_b32 s42, exec_lo
	v_cmpx_ne_u32_e32 0, v4
	s_cbranch_execz .LBB6_5433
; %bb.5426:                             ;   in Loop: Header=BB6_4623 Depth=2
	v_bfe_u32 v7, v4, 23, 8
	v_or_b32_e32 v29, 0x800000, v2
	s_delay_alu instid0(VALU_DEP_2) | instskip(SKIP_1) | instid1(VALU_DEP_2)
	v_sub_nc_u32_e32 v4, 0x71, v7
	v_cmp_gt_u32_e32 vcc_lo, 0x72, v7
	v_cndmask_b32_e32 v4, 0, v4, vcc_lo
	v_cmp_eq_u32_e32 vcc_lo, 0, v7
	s_delay_alu instid0(VALU_DEP_2) | instskip(NEXT) | instid1(VALU_DEP_1)
	v_cndmask_b32_e64 v25, v4, 0x70, vcc_lo
	v_dual_cndmask_b32 v2, v29, v2, vcc_lo :: v_dual_add_nc_u32 v4, 21, v25
	v_add_nc_u32_e32 v32, 20, v25
	s_delay_alu instid0(VALU_DEP_2) | instskip(NEXT) | instid1(VALU_DEP_2)
	v_lshlrev_b64_e64 v[4:5], v4, -1
	v_lshlrev_b64_e64 v[38:39], v32, 1
	s_delay_alu instid0(VALU_DEP_2) | instskip(SKIP_1) | instid1(VALU_DEP_4)
	v_bfi_b32 v4, v4, 0, v2
	v_lshrrev_b64 v[2:3], v25, v[2:3]
	v_bfi_b32 v5, v5, 0, 0
	s_delay_alu instid0(VALU_DEP_1) | instskip(NEXT) | instid1(VALU_DEP_3)
	v_cmp_eq_u64_e64 s11, v[4:5], v[38:39]
	v_mov_b64_e32 v[4:5], v[2:3]
	s_and_saveexec_b32 s43, s11
; %bb.5427:                             ;   in Loop: Header=BB6_4623 Depth=2
	v_bfe_u32 v4, v2, 21, 1
	v_mov_b32_e32 v5, v1
	s_delay_alu instid0(VALU_DEP_1) | instskip(NEXT) | instid1(VALU_DEP_1)
	v_add_nc_u64_e32 v[4:5], v[2:3], v[4:5]
	v_add_nc_u64_e32 v[4:5], -1, v[4:5]
; %bb.5428:                             ;   in Loop: Header=BB6_4623 Depth=2
	s_or_b32 exec_lo, exec_lo, s43
	v_add_nc_u32_e32 v3, 0xffffff81, v7
	v_lshrrev_b32_e32 v5, 23, v2
	s_mov_b32 s11, exec_lo
	s_delay_alu instid0(VALU_DEP_2) | instskip(NEXT) | instid1(VALU_DEP_1)
	v_cndmask_b32_e64 v3, v3, 0xffffff82, vcc_lo
	v_add3_u32 v5, v25, v3, v5
	v_and_b32_e32 v3, 0x1fffff, v4
                                        ; implicit-def: $vgpr4
	s_delay_alu instid0(VALU_DEP_1) | instskip(SKIP_1) | instid1(VALU_DEP_2)
	v_dual_add_nc_u32 v7, 14, v5 :: v_dual_add_nc_u32 v2, v3, v2
	v_mov_b32_e32 v3, v1
	v_cmpx_ne_u32_e32 0, v7
	s_xor_b32 s11, exec_lo, s11
; %bb.5429:                             ;   in Loop: Header=BB6_4623 Depth=2
	s_delay_alu instid0(VALU_DEP_2) | instskip(SKIP_2) | instid1(VALU_DEP_2)
	v_cmp_lt_u64_e32 vcc_lo, 0xffffff, v[2:3]
	v_add_nc_u32_e32 v4, 15, v5
	v_cndmask_b32_e64 v5, 0, 1, vcc_lo
	v_cndmask_b32_e32 v4, v7, v4, vcc_lo
	s_delay_alu instid0(VALU_DEP_2)
	v_lshrrev_b64 v[2:3], v5, v[2:3]
; %bb.5430:                             ;   in Loop: Header=BB6_4623 Depth=2
	s_and_not1_saveexec_b32 s11, s11
; %bb.5431:                             ;   in Loop: Header=BB6_4623 Depth=2
	s_delay_alu instid0(VALU_DEP_1)
	v_bfe_u32 v4, v2, 23, 1
; %bb.5432:                             ;   in Loop: Header=BB6_4623 Depth=2
	s_or_b32 exec_lo, exec_lo, s11
	s_delay_alu instid0(VALU_DEP_2) | instskip(NEXT) | instid1(VALU_DEP_2)
	v_lshrrev_b64 v[2:3], 21, v[2:3]
	v_cmp_gt_i32_e32 vcc_lo, 32, v4
	v_min_i32_e32 v5, 31, v4
	v_cmp_eq_u32_e64 s11, 0, v4
	s_delay_alu instid0(VALU_DEP_2) | instskip(SKIP_1) | instid1(VALU_DEP_2)
	v_dual_cndmask_b32 v3, 0, v3, vcc_lo :: v_dual_lshlrev_b32 v5, 2, v5
	v_cndmask_b32_e32 v2, 3, v2, vcc_lo
	v_and_b32_e32 v5, 0xfc, v5
	s_delay_alu instid0(VALU_DEP_2) | instskip(NEXT) | instid1(VALU_DEP_2)
	v_cmp_eq_u64_e32 vcc_lo, 0, v[2:3]
	v_and_or_b32 v2, v2, 3, v5
	s_and_b32 s11, s11, vcc_lo
	s_delay_alu instid0(VALU_DEP_1) | instid1(SALU_CYCLE_1)
	v_cndmask_b32_e64 v2, v2, 0, s11
	s_delay_alu instid0(VALU_DEP_1)
	v_or_b32_e32 v25, v2, v6
.LBB6_5433:                             ;   in Loop: Header=BB6_4623 Depth=2
	s_or_b32 exec_lo, exec_lo, s42
                                        ; implicit-def: $vgpr6
.LBB6_5434:                             ;   in Loop: Header=BB6_4623 Depth=2
	s_and_not1_saveexec_b32 s11, s41
; %bb.5435:                             ;   in Loop: Header=BB6_4623 Depth=2
	v_or_b32_e32 v25, 0x7b, v6
; %bb.5436:                             ;   in Loop: Header=BB6_4623 Depth=2
	s_or_b32 exec_lo, exec_lo, s11
                                        ; implicit-def: $vgpr4
                                        ; implicit-def: $vgpr2_vgpr3
                                        ; implicit-def: $vgpr5
.LBB6_5437:                             ;   in Loop: Header=BB6_4623 Depth=2
	s_and_not1_saveexec_b32 s11, s40
	s_cbranch_execz .LBB6_5443
; %bb.5438:                             ;   in Loop: Header=BB6_4623 Depth=2
	s_mov_b32 s40, exec_lo
                                        ; implicit-def: $vgpr25
	v_cmpx_ne_u64_e32 0, v[2:3]
	s_xor_b32 s40, exec_lo, s40
; %bb.5439:                             ;   in Loop: Header=BB6_4623 Depth=2
	v_or_b32_e32 v25, 0x7f, v5
                                        ; implicit-def: $vgpr4
; %bb.5440:                             ;   in Loop: Header=BB6_4623 Depth=2
	s_and_not1_saveexec_b32 s40, s40
; %bb.5441:                             ;   in Loop: Header=BB6_4623 Depth=2
	v_cmp_lt_i32_e32 vcc_lo, -1, v4
	v_mov_b32_e32 v2, 0x7c
	s_delay_alu instid0(VALU_DEP_1)
	v_cndmask_b32_e32 v25, 0xfc, v2, vcc_lo
; %bb.5442:                             ;   in Loop: Header=BB6_4623 Depth=2
	s_or_b32 exec_lo, exec_lo, s40
.LBB6_5443:                             ;   in Loop: Header=BB6_4623 Depth=2
	s_delay_alu instid0(SALU_CYCLE_1) | instskip(SKIP_2) | instid1(VALU_DEP_1)
	s_or_b32 exec_lo, exec_lo, s11
	v_dual_mov_b32 v3, 0 :: v_dual_lshrrev_b32 v2, 16, v0
	s_mov_b32 s11, exec_lo
	v_and_b32_e32 v4, 0xff, v2
	s_delay_alu instid0(VALU_DEP_1)
	v_cmpx_ne_u16_e32 0, v4
	s_cbranch_execz .LBB6_5453
; %bb.5444:                             ;   in Loop: Header=BB6_4623 Depth=2
	v_bfrev_b32_e32 v3, 1
	s_mov_b32 s40, exec_lo
	v_cmpx_ne_u16_e32 0x80, v4
	s_cbranch_execz .LBB6_5452
; %bb.5445:                             ;   in Loop: Header=BB6_4623 Depth=2
	v_and_b32_e32 v3, 0x7c0000, v0
	v_bfe_u32 v4, v0, 16, 2
	s_delay_alu instid0(VALU_DEP_2) | instskip(SKIP_1) | instid1(SALU_CYCLE_1)
	v_cmp_ne_u32_e32 vcc_lo, 0x7c0000, v3
                                        ; implicit-def: $vgpr3
	s_and_saveexec_b32 s41, vcc_lo
	s_xor_b32 s41, exec_lo, s41
	s_cbranch_execz .LBB6_5449
; %bb.5446:                             ;   in Loop: Header=BB6_4623 Depth=2
	v_bfe_u32 v3, v0, 18, 5
	s_mov_b32 s42, exec_lo
	s_delay_alu instid0(VALU_DEP_1)
	v_cmpx_eq_u32_e32 0, v3
; %bb.5447:                             ;   in Loop: Header=BB6_4623 Depth=2
	v_clz_i32_u32_e32 v3, v4
	s_delay_alu instid0(VALU_DEP_1) | instskip(NEXT) | instid1(VALU_DEP_1)
	v_min_u32_e32 v3, 32, v3
	v_subrev_nc_u32_e32 v4, 29, v3
	s_delay_alu instid0(VALU_DEP_1) | instskip(NEXT) | instid1(VALU_DEP_1)
	v_lshlrev_b64_e32 v[4:5], v4, v[2:3]
	v_dual_sub_nc_u32 v3, 30, v3 :: v_dual_bitop2_b32 v4, 3, v4 bitop3:0x40
; %bb.5448:                             ;   in Loop: Header=BB6_4623 Depth=2
	s_or_b32 exec_lo, exec_lo, s42
	v_lshlrev_b32_e32 v2, 24, v2
	s_delay_alu instid0(VALU_DEP_1) | instskip(NEXT) | instid1(VALU_DEP_1)
	v_and_b32_e32 v2, 0x80000000, v2
	v_lshl_add_u32 v2, v3, 23, v2
	s_delay_alu instid0(VALU_DEP_1) | instskip(NEXT) | instid1(VALU_DEP_1)
	v_lshl_or_b32 v2, v4, 21, v2
                                        ; implicit-def: $vgpr4
	v_add_nc_u32_e32 v3, 0x38000000, v2
                                        ; implicit-def: $vgpr2
.LBB6_5449:                             ;   in Loop: Header=BB6_4623 Depth=2
	s_and_not1_saveexec_b32 s41, s41
; %bb.5450:                             ;   in Loop: Header=BB6_4623 Depth=2
	v_bfe_i32 v2, v2, 0, 8
	s_delay_alu instid0(VALU_DEP_1) | instskip(SKIP_1) | instid1(VALU_DEP_1)
	v_cmp_lt_i16_e32 vcc_lo, -1, v2
	v_mov_b32_e32 v2, 0x7f800000
	v_cndmask_b32_e32 v2, 0xff800000, v2, vcc_lo
	v_cmp_eq_u32_e32 vcc_lo, 0, v4
	s_delay_alu instid0(VALU_DEP_2)
	v_cndmask_b32_e32 v3, 0x7f800001, v2, vcc_lo
; %bb.5451:                             ;   in Loop: Header=BB6_4623 Depth=2
	s_or_b32 exec_lo, exec_lo, s41
.LBB6_5452:                             ;   in Loop: Header=BB6_4623 Depth=2
	s_delay_alu instid0(SALU_CYCLE_1)
	s_or_b32 exec_lo, exec_lo, s40
.LBB6_5453:                             ;   in Loop: Header=BB6_4623 Depth=2
	s_delay_alu instid0(SALU_CYCLE_1) | instskip(SKIP_3) | instid1(VALU_DEP_1)
	s_or_b32 exec_lo, exec_lo, s11
	v_lshrrev_b32_e32 v2, 16, v12
	s_mov_b32 s40, 0
	s_mov_b32 s11, exec_lo
	v_and_b32_e32 v5, 0xff, v2
	s_delay_alu instid0(VALU_DEP_1)
	v_cmpx_lt_i16_e32 0x7f, v5
	s_xor_b32 s11, exec_lo, s11
	s_cbranch_execnz .LBB6_5670
; %bb.5454:                             ;   in Loop: Header=BB6_4623 Depth=2
	s_or_saveexec_b32 s11, s11
	v_bfrev_b32_e32 v4, 1
	s_xor_b32 exec_lo, exec_lo, s11
	s_cbranch_execnz .LBB6_5673
.LBB6_5455:                             ;   in Loop: Header=BB6_4623 Depth=2
	s_or_b32 exec_lo, exec_lo, s11
	s_and_saveexec_b32 s11, s40
	s_cbranch_execz .LBB6_5457
.LBB6_5456:                             ;   in Loop: Header=BB6_4623 Depth=2
	v_and_b32_e32 v6, 3, v2
	v_bfe_u32 v29, v12, 18, 5
	s_delay_alu instid0(VALU_DEP_2) | instskip(NEXT) | instid1(VALU_DEP_2)
	v_clz_i32_u32_e32 v4, v6
	v_cmp_eq_u32_e32 vcc_lo, 0, v29
	s_delay_alu instid0(VALU_DEP_2) | instskip(NEXT) | instid1(VALU_DEP_1)
	v_min_u32_e32 v7, 32, v4
	v_subrev_nc_u32_e32 v4, 29, v7
	s_delay_alu instid0(VALU_DEP_1) | instskip(SKIP_2) | instid1(VALU_DEP_2)
	v_lshlrev_b64_e32 v[4:5], v4, v[2:3]
	v_dual_lshlrev_b32 v5, 24, v2 :: v_dual_sub_nc_u32 v7, 30, v7
	v_bfe_i32 v2, v2, 0, 8
	v_and_b32_e32 v5, 0x80000000, v5
	s_delay_alu instid0(VALU_DEP_3) | instskip(NEXT) | instid1(VALU_DEP_1)
	v_dual_cndmask_b32 v7, v29, v7, vcc_lo :: v_dual_bitop2_b32 v4, 3, v4 bitop3:0x40
	v_cndmask_b32_e32 v4, v6, v4, vcc_lo
	s_delay_alu instid0(VALU_DEP_2) | instskip(SKIP_2) | instid1(VALU_DEP_3)
	v_lshl_add_u32 v5, v7, 23, v5
	v_cmp_lt_i16_e32 vcc_lo, -1, v2
	v_mov_b32_e32 v2, 0x7f800000
	v_lshl_or_b32 v4, v4, 21, v5
	v_and_b32_e32 v5, 0x7c0000, v12
	s_delay_alu instid0(VALU_DEP_3) | instskip(SKIP_1) | instid1(VALU_DEP_4)
	v_cndmask_b32_e32 v2, 0xff800000, v2, vcc_lo
	v_cmp_eq_u32_e32 vcc_lo, 0, v6
	v_add_nc_u32_e32 v4, 0x38000000, v4
	s_delay_alu instid0(VALU_DEP_3) | instskip(SKIP_1) | instid1(VALU_DEP_2)
	v_cndmask_b32_e32 v2, 0x7f800001, v2, vcc_lo
	v_cmp_eq_u32_e32 vcc_lo, 0x7c0000, v5
	v_cndmask_b32_e32 v4, v4, v2, vcc_lo
.LBB6_5457:                             ;   in Loop: Header=BB6_4623 Depth=2
	s_or_b32 exec_lo, exec_lo, s11
	s_delay_alu instid0(VALU_DEP_1) | instskip(SKIP_2) | instid1(VALU_DEP_2)
	v_dual_add_f32 v4, v3, v4 :: v_dual_mov_b32 v7, v1
	v_mov_b32_e32 v3, v1
                                        ; implicit-def: $vgpr29
	s_mov_b32 s11, exec_lo
	v_and_b32_e32 v6, 0x7f800000, v4
	v_and_b32_e32 v2, 0x7fffff, v4
	v_lshrrev_b32_e32 v5, 24, v4
	s_delay_alu instid0(VALU_DEP_3)
	v_cmpx_ne_u64_e32 0x7f800000, v[6:7]
	s_xor_b32 s40, exec_lo, s11
	s_cbranch_execz .LBB6_5471
; %bb.5458:                             ;   in Loop: Header=BB6_4623 Depth=2
	v_and_b32_e32 v6, 0x7fffffff, v4
	v_mov_b32_e32 v7, v1
                                        ; implicit-def: $vgpr29
	s_delay_alu instid0(VALU_DEP_1) | instskip(SKIP_2) | instid1(SALU_CYCLE_1)
	v_cmp_gt_u64_e32 vcc_lo, 0x47600001, v[6:7]
	v_and_b32_e32 v6, 0x80, v5
	s_and_saveexec_b32 s11, vcc_lo
	s_xor_b32 s41, exec_lo, s11
	s_cbranch_execz .LBB6_5468
; %bb.5459:                             ;   in Loop: Header=BB6_4623 Depth=2
	v_mov_b32_e32 v29, 0
	s_mov_b32 s42, exec_lo
	v_cmpx_ne_u32_e32 0, v4
	s_cbranch_execz .LBB6_5467
; %bb.5460:                             ;   in Loop: Header=BB6_4623 Depth=2
	v_bfe_u32 v7, v4, 23, 8
	v_or_b32_e32 v32, 0x800000, v2
	s_delay_alu instid0(VALU_DEP_2) | instskip(SKIP_1) | instid1(VALU_DEP_2)
	v_sub_nc_u32_e32 v4, 0x71, v7
	v_cmp_gt_u32_e32 vcc_lo, 0x72, v7
	v_cndmask_b32_e32 v4, 0, v4, vcc_lo
	v_cmp_eq_u32_e32 vcc_lo, 0, v7
	s_delay_alu instid0(VALU_DEP_2) | instskip(NEXT) | instid1(VALU_DEP_1)
	v_cndmask_b32_e64 v29, v4, 0x70, vcc_lo
	v_dual_cndmask_b32 v2, v32, v2, vcc_lo :: v_dual_add_nc_u32 v4, 21, v29
	v_add_nc_u32_e32 v34, 20, v29
	s_delay_alu instid0(VALU_DEP_2) | instskip(NEXT) | instid1(VALU_DEP_2)
	v_lshlrev_b64_e64 v[4:5], v4, -1
	v_lshlrev_b64_e64 v[38:39], v34, 1
	s_delay_alu instid0(VALU_DEP_2) | instskip(SKIP_1) | instid1(VALU_DEP_4)
	v_bfi_b32 v4, v4, 0, v2
	v_lshrrev_b64 v[2:3], v29, v[2:3]
	v_bfi_b32 v5, v5, 0, 0
	s_delay_alu instid0(VALU_DEP_1) | instskip(NEXT) | instid1(VALU_DEP_3)
	v_cmp_eq_u64_e64 s11, v[4:5], v[38:39]
	v_mov_b64_e32 v[4:5], v[2:3]
	s_and_saveexec_b32 s43, s11
; %bb.5461:                             ;   in Loop: Header=BB6_4623 Depth=2
	v_bfe_u32 v4, v2, 21, 1
	v_mov_b32_e32 v5, v1
	s_delay_alu instid0(VALU_DEP_1) | instskip(NEXT) | instid1(VALU_DEP_1)
	v_add_nc_u64_e32 v[4:5], v[2:3], v[4:5]
	v_add_nc_u64_e32 v[4:5], -1, v[4:5]
; %bb.5462:                             ;   in Loop: Header=BB6_4623 Depth=2
	s_or_b32 exec_lo, exec_lo, s43
	v_add_nc_u32_e32 v3, 0xffffff81, v7
	v_lshrrev_b32_e32 v5, 23, v2
	s_mov_b32 s11, exec_lo
	s_delay_alu instid0(VALU_DEP_2) | instskip(NEXT) | instid1(VALU_DEP_1)
	v_cndmask_b32_e64 v3, v3, 0xffffff82, vcc_lo
	v_add3_u32 v5, v29, v3, v5
	v_and_b32_e32 v3, 0x1fffff, v4
                                        ; implicit-def: $vgpr4
	s_delay_alu instid0(VALU_DEP_1) | instskip(SKIP_1) | instid1(VALU_DEP_2)
	v_dual_add_nc_u32 v7, 14, v5 :: v_dual_add_nc_u32 v2, v3, v2
	v_mov_b32_e32 v3, v1
	v_cmpx_ne_u32_e32 0, v7
	s_xor_b32 s11, exec_lo, s11
; %bb.5463:                             ;   in Loop: Header=BB6_4623 Depth=2
	s_delay_alu instid0(VALU_DEP_2) | instskip(SKIP_2) | instid1(VALU_DEP_2)
	v_cmp_lt_u64_e32 vcc_lo, 0xffffff, v[2:3]
	v_add_nc_u32_e32 v4, 15, v5
	v_cndmask_b32_e64 v5, 0, 1, vcc_lo
	v_cndmask_b32_e32 v4, v7, v4, vcc_lo
	s_delay_alu instid0(VALU_DEP_2)
	v_lshrrev_b64 v[2:3], v5, v[2:3]
; %bb.5464:                             ;   in Loop: Header=BB6_4623 Depth=2
	s_and_not1_saveexec_b32 s11, s11
; %bb.5465:                             ;   in Loop: Header=BB6_4623 Depth=2
	s_delay_alu instid0(VALU_DEP_1)
	v_bfe_u32 v4, v2, 23, 1
; %bb.5466:                             ;   in Loop: Header=BB6_4623 Depth=2
	s_or_b32 exec_lo, exec_lo, s11
	s_delay_alu instid0(VALU_DEP_2) | instskip(NEXT) | instid1(VALU_DEP_2)
	v_lshrrev_b64 v[2:3], 21, v[2:3]
	v_cmp_gt_i32_e32 vcc_lo, 32, v4
	v_min_i32_e32 v5, 31, v4
	v_cmp_eq_u32_e64 s11, 0, v4
	s_delay_alu instid0(VALU_DEP_2) | instskip(SKIP_1) | instid1(VALU_DEP_2)
	v_dual_cndmask_b32 v3, 0, v3, vcc_lo :: v_dual_lshlrev_b32 v5, 2, v5
	v_cndmask_b32_e32 v2, 3, v2, vcc_lo
	v_and_b32_e32 v5, 0xfc, v5
	s_delay_alu instid0(VALU_DEP_2) | instskip(NEXT) | instid1(VALU_DEP_2)
	v_cmp_eq_u64_e32 vcc_lo, 0, v[2:3]
	v_and_or_b32 v2, v2, 3, v5
	s_and_b32 s11, s11, vcc_lo
	s_delay_alu instid0(VALU_DEP_1) | instid1(SALU_CYCLE_1)
	v_cndmask_b32_e64 v2, v2, 0, s11
	s_delay_alu instid0(VALU_DEP_1)
	v_or_b32_e32 v29, v2, v6
.LBB6_5467:                             ;   in Loop: Header=BB6_4623 Depth=2
	s_or_b32 exec_lo, exec_lo, s42
                                        ; implicit-def: $vgpr6
.LBB6_5468:                             ;   in Loop: Header=BB6_4623 Depth=2
	s_and_not1_saveexec_b32 s11, s41
; %bb.5469:                             ;   in Loop: Header=BB6_4623 Depth=2
	v_or_b32_e32 v29, 0x7b, v6
; %bb.5470:                             ;   in Loop: Header=BB6_4623 Depth=2
	s_or_b32 exec_lo, exec_lo, s11
                                        ; implicit-def: $vgpr4
                                        ; implicit-def: $vgpr2_vgpr3
                                        ; implicit-def: $vgpr5
.LBB6_5471:                             ;   in Loop: Header=BB6_4623 Depth=2
	s_and_not1_saveexec_b32 s11, s40
	s_cbranch_execz .LBB6_5477
; %bb.5472:                             ;   in Loop: Header=BB6_4623 Depth=2
	s_mov_b32 s40, exec_lo
                                        ; implicit-def: $vgpr29
	v_cmpx_ne_u64_e32 0, v[2:3]
	s_xor_b32 s40, exec_lo, s40
; %bb.5473:                             ;   in Loop: Header=BB6_4623 Depth=2
	v_or_b32_e32 v29, 0x7f, v5
                                        ; implicit-def: $vgpr4
; %bb.5474:                             ;   in Loop: Header=BB6_4623 Depth=2
	s_and_not1_saveexec_b32 s40, s40
; %bb.5475:                             ;   in Loop: Header=BB6_4623 Depth=2
	v_cmp_lt_i32_e32 vcc_lo, -1, v4
	v_mov_b32_e32 v2, 0x7c
	s_delay_alu instid0(VALU_DEP_1)
	v_cndmask_b32_e32 v29, 0xfc, v2, vcc_lo
; %bb.5476:                             ;   in Loop: Header=BB6_4623 Depth=2
	s_or_b32 exec_lo, exec_lo, s40
.LBB6_5477:                             ;   in Loop: Header=BB6_4623 Depth=2
	s_delay_alu instid0(SALU_CYCLE_1)
	s_or_b32 exec_lo, exec_lo, s11
	v_mov_b32_e32 v3, 0
	s_mov_b32 s11, exec_lo
	v_cmpx_lt_u32_e32 0xffffff, v0
	s_cbranch_execz .LBB6_5487
; %bb.5478:                             ;   in Loop: Header=BB6_4623 Depth=2
	v_lshrrev_b32_e32 v2, 24, v0
	v_bfrev_b32_e32 v3, 1
	s_mov_b32 s40, exec_lo
	s_delay_alu instid0(VALU_DEP_2)
	v_cmpx_ne_u32_e32 0x80, v2
	s_cbranch_execz .LBB6_5486
; %bb.5479:                             ;   in Loop: Header=BB6_4623 Depth=2
	v_and_b32_e32 v3, 0x7c000000, v0
	v_bfe_u32 v4, v0, 24, 2
	s_delay_alu instid0(VALU_DEP_2) | instskip(SKIP_1) | instid1(SALU_CYCLE_1)
	v_cmp_ne_u32_e32 vcc_lo, 0x7c000000, v3
                                        ; implicit-def: $vgpr3
	s_and_saveexec_b32 s41, vcc_lo
	s_xor_b32 s41, exec_lo, s41
	s_cbranch_execz .LBB6_5483
; %bb.5480:                             ;   in Loop: Header=BB6_4623 Depth=2
	v_bfe_u32 v3, v0, 26, 5
	s_mov_b32 s42, exec_lo
	s_delay_alu instid0(VALU_DEP_1)
	v_cmpx_eq_u32_e32 0, v3
; %bb.5481:                             ;   in Loop: Header=BB6_4623 Depth=2
	v_clz_i32_u32_e32 v3, v4
	s_delay_alu instid0(VALU_DEP_1) | instskip(NEXT) | instid1(VALU_DEP_1)
	v_min_u32_e32 v4, 32, v3
	v_subrev_nc_u32_e32 v3, 29, v4
	s_delay_alu instid0(VALU_DEP_1) | instskip(NEXT) | instid1(VALU_DEP_1)
	v_lshlrev_b64_e32 v[2:3], v3, v[2:3]
	v_dual_sub_nc_u32 v3, 30, v4 :: v_dual_bitop2_b32 v4, 3, v2 bitop3:0x40
; %bb.5482:                             ;   in Loop: Header=BB6_4623 Depth=2
	s_or_b32 exec_lo, exec_lo, s42
	v_and_b32_e32 v0, 0x80000000, v0
	s_delay_alu instid0(VALU_DEP_1) | instskip(NEXT) | instid1(VALU_DEP_1)
	v_lshl_add_u32 v0, v3, 23, v0
	v_lshl_or_b32 v0, v4, 21, v0
                                        ; implicit-def: $vgpr4
	s_delay_alu instid0(VALU_DEP_1)
	v_add_nc_u32_e32 v3, 0x38000000, v0
.LBB6_5483:                             ;   in Loop: Header=BB6_4623 Depth=2
	s_and_not1_saveexec_b32 s41, s41
; %bb.5484:                             ;   in Loop: Header=BB6_4623 Depth=2
	v_cmp_lt_i32_e32 vcc_lo, -1, v0
	v_mov_b32_e32 v0, 0x7f800000
	s_delay_alu instid0(VALU_DEP_1) | instskip(SKIP_1) | instid1(VALU_DEP_2)
	v_cndmask_b32_e32 v0, 0xff800000, v0, vcc_lo
	v_cmp_eq_u32_e32 vcc_lo, 0, v4
	v_cndmask_b32_e32 v3, 0x7f800001, v0, vcc_lo
; %bb.5485:                             ;   in Loop: Header=BB6_4623 Depth=2
	s_or_b32 exec_lo, exec_lo, s41
.LBB6_5486:                             ;   in Loop: Header=BB6_4623 Depth=2
	s_delay_alu instid0(SALU_CYCLE_1)
	s_or_b32 exec_lo, exec_lo, s40
.LBB6_5487:                             ;   in Loop: Header=BB6_4623 Depth=2
	s_delay_alu instid0(SALU_CYCLE_1) | instskip(SKIP_3) | instid1(VALU_DEP_2)
	s_or_b32 exec_lo, exec_lo, s11
	v_bfe_u32 v2, v12, 24, 2
	v_bfe_u32 v7, v12, 26, 5
                                        ; implicit-def: $vgpr32
	s_mov_b32 s11, exec_lo
	v_clz_i32_u32_e32 v0, v2
	s_delay_alu instid0(VALU_DEP_2) | instskip(NEXT) | instid1(VALU_DEP_2)
	v_cmp_eq_u32_e32 vcc_lo, 0, v7
	v_min_u32_e32 v6, 32, v0
	v_lshrrev_b32_e32 v0, 24, v12
	s_delay_alu instid0(VALU_DEP_2) | instskip(NEXT) | instid1(VALU_DEP_1)
	v_subrev_nc_u32_e32 v4, 29, v6
	v_lshlrev_b64_e32 v[4:5], v4, v[0:1]
	v_sub_nc_u32_e32 v5, 30, v6
	v_and_b32_e32 v6, 0x80000000, v12
	s_delay_alu instid0(VALU_DEP_2) | instskip(NEXT) | instid1(VALU_DEP_1)
	v_dual_cndmask_b32 v5, v7, v5, vcc_lo :: v_dual_bitop2_b32 v4, 3, v4 bitop3:0x40
	v_lshl_add_u32 v5, v5, 23, v6
	s_delay_alu instid0(VALU_DEP_2) | instskip(SKIP_2) | instid1(VALU_DEP_3)
	v_cndmask_b32_e32 v4, v2, v4, vcc_lo
	v_cmp_lt_i32_e32 vcc_lo, -1, v12
	v_mov_b32_e32 v6, 0x7f800000
	v_lshl_or_b32 v4, v4, 21, v5
	v_and_b32_e32 v5, 0x7c000000, v12
	s_delay_alu instid0(VALU_DEP_3) | instskip(SKIP_1) | instid1(VALU_DEP_4)
	v_cndmask_b32_e32 v6, 0xff800000, v6, vcc_lo
	v_cmp_eq_u32_e32 vcc_lo, 0, v2
	v_add_nc_u32_e32 v4, 0x38000000, v4
	s_delay_alu instid0(VALU_DEP_3) | instskip(SKIP_1) | instid1(VALU_DEP_2)
	v_cndmask_b32_e32 v2, 0x7f800001, v6, vcc_lo
	v_cmp_eq_u32_e32 vcc_lo, 0x7c000000, v5
	v_dual_mov_b32 v5, v1 :: v_dual_cndmask_b32 v2, v4, v2
	v_cmp_ne_u32_e32 vcc_lo, 0x80, v0
	s_delay_alu instid0(VALU_DEP_2) | instskip(SKIP_1) | instid1(VALU_DEP_2)
	v_cndmask_b32_e32 v0, 0x80000000, v2, vcc_lo
	v_cmp_lt_u32_e32 vcc_lo, 0xffffff, v12
	v_cndmask_b32_e32 v0, 0, v0, vcc_lo
	s_delay_alu instid0(VALU_DEP_1) | instskip(NEXT) | instid1(VALU_DEP_1)
	v_add_f32_e32 v2, v0, v3
	v_and_b32_e32 v4, 0x7f800000, v2
	v_and_b32_e32 v0, 0x7fffff, v2
	v_lshrrev_b32_e32 v3, 24, v2
	s_delay_alu instid0(VALU_DEP_3)
	v_cmpx_ne_u64_e32 0x7f800000, v[4:5]
	s_xor_b32 s40, exec_lo, s11
	s_cbranch_execz .LBB6_5501
; %bb.5488:                             ;   in Loop: Header=BB6_4623 Depth=2
	v_and_b32_e32 v4, 0x7fffffff, v2
	v_mov_b32_e32 v5, v1
	v_and_b32_e32 v6, 0x80, v3
                                        ; implicit-def: $vgpr32
	s_mov_b32 s11, exec_lo
	s_delay_alu instid0(VALU_DEP_2)
	v_cmpx_gt_u64_e32 0x47600001, v[4:5]
	s_xor_b32 s41, exec_lo, s11
	s_cbranch_execz .LBB6_5498
; %bb.5489:                             ;   in Loop: Header=BB6_4623 Depth=2
	v_mov_b32_e32 v32, 0
	s_mov_b32 s42, exec_lo
	v_cmpx_ne_u32_e32 0, v2
	s_cbranch_execz .LBB6_5497
; %bb.5490:                             ;   in Loop: Header=BB6_4623 Depth=2
	v_bfe_u32 v7, v2, 23, 8
	v_or_b32_e32 v4, 0x800000, v0
	s_mov_b32 s43, exec_lo
	s_delay_alu instid0(VALU_DEP_2) | instskip(SKIP_1) | instid1(VALU_DEP_2)
	v_dual_mov_b32 v5, v1 :: v_dual_sub_nc_u32 v2, 0x71, v7
	v_cmp_gt_u32_e32 vcc_lo, 0x72, v7
	v_cndmask_b32_e32 v2, 0, v2, vcc_lo
	v_cmp_eq_u32_e32 vcc_lo, 0, v7
	s_delay_alu instid0(VALU_DEP_2) | instskip(SKIP_1) | instid1(VALU_DEP_2)
	v_cndmask_b32_e64 v32, v2, 0x70, vcc_lo
	v_cndmask_b32_e32 v4, v4, v0, vcc_lo
	v_dual_add_nc_u32 v2, 21, v32 :: v_dual_add_nc_u32 v34, 20, v32
	s_delay_alu instid0(VALU_DEP_1) | instskip(NEXT) | instid1(VALU_DEP_2)
	v_lshlrev_b64_e64 v[2:3], v2, -1
	v_lshlrev_b64_e64 v[38:39], v34, 1
	s_delay_alu instid0(VALU_DEP_2) | instskip(NEXT) | instid1(VALU_DEP_3)
	v_bfi_b32 v49, v3, 0, 0
	v_bfi_b32 v48, v2, 0, v4
	v_lshrrev_b64 v[2:3], v32, v[4:5]
	s_delay_alu instid0(VALU_DEP_1) | instskip(NEXT) | instid1(VALU_DEP_3)
	v_mov_b64_e32 v[4:5], v[2:3]
	v_cmpx_eq_u64_e64 v[48:49], v[38:39]
; %bb.5491:                             ;   in Loop: Header=BB6_4623 Depth=2
	v_bfe_u32 v4, v2, 21, 1
	v_mov_b32_e32 v5, v1
	s_delay_alu instid0(VALU_DEP_1) | instskip(NEXT) | instid1(VALU_DEP_1)
	v_add_nc_u64_e32 v[4:5], v[2:3], v[4:5]
	v_add_nc_u64_e32 v[4:5], -1, v[4:5]
; %bb.5492:                             ;   in Loop: Header=BB6_4623 Depth=2
	s_or_b32 exec_lo, exec_lo, s43
	v_add_nc_u32_e32 v0, 0xffffff81, v7
	s_delay_alu instid0(VALU_DEP_2) | instskip(SKIP_2) | instid1(VALU_DEP_3)
	v_and_b32_e32 v4, 0x1fffff, v4
	v_lshrrev_b32_e32 v3, 23, v2
	s_mov_b32 s11, exec_lo
	v_cndmask_b32_e64 v0, v0, 0xffffff82, vcc_lo
	s_delay_alu instid0(VALU_DEP_1) | instskip(SKIP_1) | instid1(VALU_DEP_2)
	v_add3_u32 v5, v32, v0, v3
	v_add_nc_u32_e32 v0, v4, v2
                                        ; implicit-def: $vgpr2_vgpr3
                                        ; implicit-def: $vgpr4
	v_add_nc_u32_e32 v7, 14, v5
	s_delay_alu instid0(VALU_DEP_1)
	v_cmpx_ne_u32_e32 0, v7
	s_xor_b32 s11, exec_lo, s11
; %bb.5493:                             ;   in Loop: Header=BB6_4623 Depth=2
	s_delay_alu instid0(VALU_DEP_3) | instskip(SKIP_1) | instid1(VALU_DEP_1)
	v_cmp_lt_u64_e32 vcc_lo, 0xffffff, v[0:1]
	v_add_nc_u32_e32 v2, 15, v5
	v_cndmask_b32_e32 v4, v7, v2, vcc_lo
	v_cndmask_b32_e64 v2, 0, 1, vcc_lo
	s_delay_alu instid0(VALU_DEP_1)
	v_lshrrev_b64 v[2:3], v2, v[0:1]
; %bb.5494:                             ;   in Loop: Header=BB6_4623 Depth=2
	s_and_not1_saveexec_b32 s11, s11
; %bb.5495:                             ;   in Loop: Header=BB6_4623 Depth=2
	v_mov_b64_e32 v[2:3], v[0:1]
	v_bfe_u32 v4, v0, 23, 1
; %bb.5496:                             ;   in Loop: Header=BB6_4623 Depth=2
	s_or_b32 exec_lo, exec_lo, s11
	s_delay_alu instid0(VALU_DEP_2) | instskip(NEXT) | instid1(VALU_DEP_2)
	v_lshrrev_b64 v[2:3], 21, v[2:3]
	v_cmp_gt_i32_e32 vcc_lo, 32, v4
	v_min_i32_e32 v0, 31, v4
	v_cmp_eq_u32_e64 s11, 0, v4
	s_delay_alu instid0(VALU_DEP_2) | instskip(SKIP_1) | instid1(VALU_DEP_2)
	v_dual_cndmask_b32 v3, 0, v3 :: v_dual_lshlrev_b32 v0, 2, v0
	v_cndmask_b32_e32 v2, 3, v2, vcc_lo
	v_and_b32_e32 v0, 0xfc, v0
	s_delay_alu instid0(VALU_DEP_2) | instskip(NEXT) | instid1(VALU_DEP_2)
	v_cmp_eq_u64_e32 vcc_lo, 0, v[2:3]
	v_and_or_b32 v0, v2, 3, v0
	s_and_b32 s11, s11, vcc_lo
	s_delay_alu instid0(VALU_DEP_1) | instid1(SALU_CYCLE_1)
	v_cndmask_b32_e64 v0, v0, 0, s11
	s_delay_alu instid0(VALU_DEP_1)
	v_or_b32_e32 v32, v0, v6
.LBB6_5497:                             ;   in Loop: Header=BB6_4623 Depth=2
	s_or_b32 exec_lo, exec_lo, s42
                                        ; implicit-def: $vgpr6
.LBB6_5498:                             ;   in Loop: Header=BB6_4623 Depth=2
	s_and_not1_saveexec_b32 s11, s41
; %bb.5499:                             ;   in Loop: Header=BB6_4623 Depth=2
	v_or_b32_e32 v32, 0x7b, v6
; %bb.5500:                             ;   in Loop: Header=BB6_4623 Depth=2
	s_or_b32 exec_lo, exec_lo, s11
                                        ; implicit-def: $vgpr2
                                        ; implicit-def: $vgpr3
.LBB6_5501:                             ;   in Loop: Header=BB6_4623 Depth=2
	s_and_not1_saveexec_b32 s11, s40
	s_cbranch_execz .LBB6_5507
; %bb.5502:                             ;   in Loop: Header=BB6_4623 Depth=2
	s_mov_b32 s40, exec_lo
                                        ; implicit-def: $vgpr32
	v_cmpx_ne_u64_e32 0, v[0:1]
	s_xor_b32 s40, exec_lo, s40
; %bb.5503:                             ;   in Loop: Header=BB6_4623 Depth=2
	v_or_b32_e32 v32, 0x7f, v3
                                        ; implicit-def: $vgpr2
; %bb.5504:                             ;   in Loop: Header=BB6_4623 Depth=2
	s_and_not1_saveexec_b32 s40, s40
; %bb.5505:                             ;   in Loop: Header=BB6_4623 Depth=2
	v_cmp_lt_i32_e32 vcc_lo, -1, v2
	v_mov_b32_e32 v0, 0x7c
	s_delay_alu instid0(VALU_DEP_1)
	v_cndmask_b32_e32 v32, 0xfc, v0, vcc_lo
; %bb.5506:                             ;   in Loop: Header=BB6_4623 Depth=2
	s_or_b32 exec_lo, exec_lo, s40
.LBB6_5507:                             ;   in Loop: Header=BB6_4623 Depth=2
	s_delay_alu instid0(SALU_CYCLE_1) | instskip(SKIP_4) | instid1(VALU_DEP_2)
	s_or_b32 exec_lo, exec_lo, s11
	v_dual_lshlrev_b32 v0, 24, v31 :: v_dual_lshlrev_b32 v2, 16, v28
	v_lshl_or_b32 v26, v26, 8, v23
	v_mov_b32_e32 v4, 0
	s_mov_b32 s11, exec_lo
	v_or3_b32 v0, v2, v0, v26
	v_cmpx_ne_u32_e32 0, v23
	s_cbranch_execz .LBB6_5517
; %bb.5508:                             ;   in Loop: Header=BB6_4623 Depth=2
	v_bfrev_b32_e32 v4, 1
	s_mov_b32 s40, exec_lo
	v_cmpx_ne_u32_e32 0x80, v23
	s_cbranch_execz .LBB6_5516
; %bb.5509:                             ;   in Loop: Header=BB6_4623 Depth=2
	v_and_b32_e32 v3, 0x7c, v23
	v_and_b32_e32 v2, 3, v23
	s_mov_b32 s41, exec_lo
                                        ; implicit-def: $vgpr4
	s_delay_alu instid0(VALU_DEP_2)
	v_cmpx_ne_u32_e32 0x7c, v3
	s_xor_b32 s41, exec_lo, s41
	s_cbranch_execz .LBB6_5513
; %bb.5510:                             ;   in Loop: Header=BB6_4623 Depth=2
	v_bfe_u32 v3, v23, 2, 5
	s_mov_b32 s42, exec_lo
	s_delay_alu instid0(VALU_DEP_1)
	v_cmpx_eq_u32_e32 0, v3
; %bb.5511:                             ;   in Loop: Header=BB6_4623 Depth=2
	v_clz_i32_u32_e32 v2, v2
	s_delay_alu instid0(VALU_DEP_1) | instskip(NEXT) | instid1(VALU_DEP_1)
	v_min_u32_e32 v4, 32, v2
	v_subrev_nc_u32_e32 v2, 29, v4
	s_delay_alu instid0(VALU_DEP_1) | instskip(NEXT) | instid1(VALU_DEP_1)
	v_lshlrev_b64_e32 v[2:3], v2, v[0:1]
	v_dual_sub_nc_u32 v3, 30, v4 :: v_dual_bitop2_b32 v2, 3, v2 bitop3:0x40
; %bb.5512:                             ;   in Loop: Header=BB6_4623 Depth=2
	s_or_b32 exec_lo, exec_lo, s42
	v_lshlrev_b32_e32 v4, 24, v23
                                        ; implicit-def: $vgpr23
	s_delay_alu instid0(VALU_DEP_1) | instskip(NEXT) | instid1(VALU_DEP_1)
	v_and_b32_e32 v4, 0x80000000, v4
	v_lshl_add_u32 v3, v3, 23, v4
	s_delay_alu instid0(VALU_DEP_1) | instskip(NEXT) | instid1(VALU_DEP_1)
	v_lshl_or_b32 v2, v2, 21, v3
	v_add_nc_u32_e32 v4, 0x38000000, v2
                                        ; implicit-def: $vgpr2
.LBB6_5513:                             ;   in Loop: Header=BB6_4623 Depth=2
	s_and_not1_saveexec_b32 s41, s41
; %bb.5514:                             ;   in Loop: Header=BB6_4623 Depth=2
	v_and_b32_e32 v3, 0x80, v23
	s_delay_alu instid0(VALU_DEP_1) | instskip(SKIP_1) | instid1(VALU_DEP_1)
	v_cmp_eq_u32_e32 vcc_lo, 0, v3
	v_mov_b32_e32 v3, 0x7f800000
	v_cndmask_b32_e32 v3, 0xff800000, v3, vcc_lo
	v_cmp_eq_u32_e32 vcc_lo, 0, v2
	s_delay_alu instid0(VALU_DEP_2)
	v_cndmask_b32_e32 v4, 0x7f800001, v3, vcc_lo
; %bb.5515:                             ;   in Loop: Header=BB6_4623 Depth=2
	s_or_b32 exec_lo, exec_lo, s41
.LBB6_5516:                             ;   in Loop: Header=BB6_4623 Depth=2
	s_delay_alu instid0(SALU_CYCLE_1)
	s_or_b32 exec_lo, exec_lo, s40
.LBB6_5517:                             ;   in Loop: Header=BB6_4623 Depth=2
	s_delay_alu instid0(SALU_CYCLE_1) | instskip(SKIP_4) | instid1(VALU_DEP_2)
	s_or_b32 exec_lo, exec_lo, s11
	v_and_b32_e32 v3, 0xff, v13
	v_mov_b32_e32 v2, v13
	s_mov_b32 s40, 0
	s_mov_b32 s11, exec_lo
	v_cmpx_lt_i16_e32 0x7f, v3
	s_xor_b32 s11, exec_lo, s11
	s_cbranch_execnz .LBB6_5674
; %bb.5518:                             ;   in Loop: Header=BB6_4623 Depth=2
	s_or_saveexec_b32 s11, s11
	v_bfrev_b32_e32 v5, 1
	s_xor_b32 exec_lo, exec_lo, s11
	s_cbranch_execnz .LBB6_5677
.LBB6_5519:                             ;   in Loop: Header=BB6_4623 Depth=2
	s_or_b32 exec_lo, exec_lo, s11
	v_mov_b32_e32 v3, v1
	s_and_saveexec_b32 s11, s40
	s_cbranch_execz .LBB6_5521
.LBB6_5520:                             ;   in Loop: Header=BB6_4623 Depth=2
	v_and_b32_e32 v5, 3, v13
	s_delay_alu instid0(VALU_DEP_1) | instskip(NEXT) | instid1(VALU_DEP_1)
	v_clz_i32_u32_e32 v6, v5
	v_min_u32_e32 v23, 32, v6
	s_delay_alu instid0(VALU_DEP_1) | instskip(NEXT) | instid1(VALU_DEP_1)
	v_subrev_nc_u32_e32 v6, 29, v23
	v_lshlrev_b64_e32 v[6:7], v6, v[2:3]
	v_bfe_u32 v7, v13, 2, 5
	v_dual_lshlrev_b32 v3, 24, v13 :: v_dual_sub_nc_u32 v23, 30, v23
	s_delay_alu instid0(VALU_DEP_2) | instskip(NEXT) | instid1(VALU_DEP_2)
	v_cmp_eq_u32_e32 vcc_lo, 0, v7
	v_and_b32_e32 v3, 0x80000000, v3
	s_delay_alu instid0(VALU_DEP_3) | instskip(SKIP_1) | instid1(VALU_DEP_2)
	v_dual_cndmask_b32 v7, v7, v23, vcc_lo :: v_dual_bitop2_b32 v6, 3, v6 bitop3:0x40
	v_bfe_i32 v23, v13, 0, 8
	v_cndmask_b32_e32 v6, v5, v6, vcc_lo
	s_delay_alu instid0(VALU_DEP_3) | instskip(NEXT) | instid1(VALU_DEP_3)
	v_lshl_add_u32 v3, v7, 23, v3
	v_cmp_lt_i16_e32 vcc_lo, -1, v23
	v_mov_b32_e32 v7, 0x7f800000
	s_delay_alu instid0(VALU_DEP_3) | instskip(SKIP_1) | instid1(VALU_DEP_3)
	v_lshl_or_b32 v3, v6, 21, v3
	v_and_b32_e32 v6, 0x7c, v13
	v_cndmask_b32_e32 v7, 0xff800000, v7, vcc_lo
	v_cmp_eq_u32_e32 vcc_lo, 0, v5
	s_delay_alu instid0(VALU_DEP_4) | instskip(NEXT) | instid1(VALU_DEP_3)
	v_add_nc_u32_e32 v3, 0x38000000, v3
	v_cndmask_b32_e32 v5, 0x7f800001, v7, vcc_lo
	v_cmp_eq_u32_e32 vcc_lo, 0x7c, v6
	s_delay_alu instid0(VALU_DEP_2)
	v_cndmask_b32_e32 v5, v3, v5, vcc_lo
.LBB6_5521:                             ;   in Loop: Header=BB6_4623 Depth=2
	s_or_b32 exec_lo, exec_lo, s11
	s_delay_alu instid0(VALU_DEP_1) | instskip(SKIP_2) | instid1(VALU_DEP_2)
	v_dual_add_f32 v7, v4, v5 :: v_dual_mov_b32 v39, v1
	v_mov_b32_e32 v5, v1
                                        ; implicit-def: $vgpr6
	s_mov_b32 s11, exec_lo
	v_and_b32_e32 v38, 0x7f800000, v7
	v_and_b32_e32 v4, 0x7fffff, v7
	v_lshrrev_b32_e32 v3, 24, v7
	s_delay_alu instid0(VALU_DEP_3)
	v_cmpx_ne_u64_e32 0x7f800000, v[38:39]
	s_xor_b32 s40, exec_lo, s11
	s_cbranch_execz .LBB6_5535
; %bb.5522:                             ;   in Loop: Header=BB6_4623 Depth=2
	v_and_b32_e32 v38, 0x7fffffff, v7
	v_mov_b32_e32 v39, v1
	v_and_b32_e32 v3, 0x80, v3
                                        ; implicit-def: $vgpr6
	s_mov_b32 s11, exec_lo
	s_delay_alu instid0(VALU_DEP_2)
	v_cmpx_gt_u64_e32 0x47600001, v[38:39]
	s_xor_b32 s41, exec_lo, s11
	s_cbranch_execz .LBB6_5532
; %bb.5523:                             ;   in Loop: Header=BB6_4623 Depth=2
	v_mov_b32_e32 v6, 0
	s_mov_b32 s42, exec_lo
	v_cmpx_ne_u32_e32 0, v7
	s_cbranch_execz .LBB6_5531
; %bb.5524:                             ;   in Loop: Header=BB6_4623 Depth=2
	v_bfe_u32 v23, v7, 23, 8
	v_or_b32_e32 v31, 0x800000, v4
	s_delay_alu instid0(VALU_DEP_2) | instskip(SKIP_1) | instid1(VALU_DEP_2)
	v_sub_nc_u32_e32 v6, 0x71, v23
	v_cmp_gt_u32_e32 vcc_lo, 0x72, v23
	v_cndmask_b32_e32 v6, 0, v6, vcc_lo
	v_cmp_eq_u32_e32 vcc_lo, 0, v23
	s_delay_alu instid0(VALU_DEP_2) | instskip(SKIP_1) | instid1(VALU_DEP_2)
	v_cndmask_b32_e64 v28, v6, 0x70, vcc_lo
	v_cndmask_b32_e32 v4, v31, v4, vcc_lo
	v_dual_add_nc_u32 v6, 21, v28 :: v_dual_add_nc_u32 v34, 20, v28
	s_delay_alu instid0(VALU_DEP_1) | instskip(NEXT) | instid1(VALU_DEP_2)
	v_lshlrev_b64_e64 v[6:7], v6, -1
	v_lshlrev_b64_e64 v[38:39], v34, 1
	s_delay_alu instid0(VALU_DEP_2) | instskip(SKIP_1) | instid1(VALU_DEP_4)
	v_bfi_b32 v6, v6, 0, v4
	v_lshrrev_b64 v[4:5], v28, v[4:5]
	v_bfi_b32 v7, v7, 0, 0
	s_delay_alu instid0(VALU_DEP_1) | instskip(NEXT) | instid1(VALU_DEP_3)
	v_cmp_eq_u64_e64 s11, v[6:7], v[38:39]
	v_mov_b64_e32 v[6:7], v[4:5]
	s_and_saveexec_b32 s43, s11
; %bb.5525:                             ;   in Loop: Header=BB6_4623 Depth=2
	v_bfe_u32 v6, v4, 21, 1
	v_mov_b32_e32 v7, v1
	s_delay_alu instid0(VALU_DEP_1) | instskip(NEXT) | instid1(VALU_DEP_1)
	v_add_nc_u64_e32 v[6:7], v[4:5], v[6:7]
	v_add_nc_u64_e32 v[6:7], -1, v[6:7]
; %bb.5526:                             ;   in Loop: Header=BB6_4623 Depth=2
	s_or_b32 exec_lo, exec_lo, s43
	v_add_nc_u32_e32 v5, 0xffffff81, v23
	v_lshrrev_b32_e32 v7, 23, v4
	s_mov_b32 s11, exec_lo
	s_delay_alu instid0(VALU_DEP_2) | instskip(NEXT) | instid1(VALU_DEP_1)
	v_cndmask_b32_e64 v5, v5, 0xffffff82, vcc_lo
	v_add3_u32 v7, v28, v5, v7
	v_and_b32_e32 v5, 0x1fffff, v6
                                        ; implicit-def: $vgpr6
	s_delay_alu instid0(VALU_DEP_1) | instskip(SKIP_1) | instid1(VALU_DEP_2)
	v_dual_add_nc_u32 v23, 14, v7 :: v_dual_add_nc_u32 v4, v5, v4
	v_mov_b32_e32 v5, v1
	v_cmpx_ne_u32_e32 0, v23
	s_xor_b32 s11, exec_lo, s11
; %bb.5527:                             ;   in Loop: Header=BB6_4623 Depth=2
	s_delay_alu instid0(VALU_DEP_2) | instskip(SKIP_2) | instid1(VALU_DEP_2)
	v_cmp_lt_u64_e32 vcc_lo, 0xffffff, v[4:5]
	v_add_nc_u32_e32 v6, 15, v7
	v_cndmask_b32_e64 v7, 0, 1, vcc_lo
	v_cndmask_b32_e32 v6, v23, v6, vcc_lo
	s_delay_alu instid0(VALU_DEP_2)
	v_lshrrev_b64 v[4:5], v7, v[4:5]
; %bb.5528:                             ;   in Loop: Header=BB6_4623 Depth=2
	s_and_not1_saveexec_b32 s11, s11
; %bb.5529:                             ;   in Loop: Header=BB6_4623 Depth=2
	s_delay_alu instid0(VALU_DEP_1)
	v_bfe_u32 v6, v4, 23, 1
; %bb.5530:                             ;   in Loop: Header=BB6_4623 Depth=2
	s_or_b32 exec_lo, exec_lo, s11
	s_delay_alu instid0(VALU_DEP_2) | instskip(NEXT) | instid1(VALU_DEP_2)
	v_lshrrev_b64 v[4:5], 21, v[4:5]
	v_cmp_gt_i32_e32 vcc_lo, 32, v6
	v_min_i32_e32 v7, 31, v6
	v_cmp_eq_u32_e64 s11, 0, v6
	s_delay_alu instid0(VALU_DEP_2) | instskip(SKIP_1) | instid1(VALU_DEP_2)
	v_dual_cndmask_b32 v5, 0, v5, vcc_lo :: v_dual_lshlrev_b32 v7, 2, v7
	v_cndmask_b32_e32 v4, 3, v4, vcc_lo
	v_and_b32_e32 v7, 0xfc, v7
	s_delay_alu instid0(VALU_DEP_2) | instskip(NEXT) | instid1(VALU_DEP_2)
	v_cmp_eq_u64_e32 vcc_lo, 0, v[4:5]
	v_and_or_b32 v4, v4, 3, v7
	s_and_b32 s11, s11, vcc_lo
	s_delay_alu instid0(VALU_DEP_1) | instid1(SALU_CYCLE_1)
	v_cndmask_b32_e64 v4, v4, 0, s11
	s_delay_alu instid0(VALU_DEP_1)
	v_or_b32_e32 v6, v4, v3
.LBB6_5531:                             ;   in Loop: Header=BB6_4623 Depth=2
	s_or_b32 exec_lo, exec_lo, s42
                                        ; implicit-def: $vgpr3
.LBB6_5532:                             ;   in Loop: Header=BB6_4623 Depth=2
	s_and_not1_saveexec_b32 s11, s41
; %bb.5533:                             ;   in Loop: Header=BB6_4623 Depth=2
	v_or_b32_e32 v6, 0x7b, v3
; %bb.5534:                             ;   in Loop: Header=BB6_4623 Depth=2
	s_or_b32 exec_lo, exec_lo, s11
                                        ; implicit-def: $vgpr7
                                        ; implicit-def: $vgpr4_vgpr5
                                        ; implicit-def: $vgpr3
.LBB6_5535:                             ;   in Loop: Header=BB6_4623 Depth=2
	s_and_not1_saveexec_b32 s11, s40
	s_cbranch_execz .LBB6_5541
; %bb.5536:                             ;   in Loop: Header=BB6_4623 Depth=2
	s_mov_b32 s40, exec_lo
                                        ; implicit-def: $vgpr6
	v_cmpx_ne_u64_e32 0, v[4:5]
	s_xor_b32 s40, exec_lo, s40
; %bb.5537:                             ;   in Loop: Header=BB6_4623 Depth=2
	v_or_b32_e32 v6, 0x7f, v3
                                        ; implicit-def: $vgpr7
; %bb.5538:                             ;   in Loop: Header=BB6_4623 Depth=2
	s_and_not1_saveexec_b32 s40, s40
; %bb.5539:                             ;   in Loop: Header=BB6_4623 Depth=2
	v_cmp_lt_i32_e32 vcc_lo, -1, v7
	v_mov_b32_e32 v3, 0x7c
	s_delay_alu instid0(VALU_DEP_1)
	v_cndmask_b32_e32 v6, 0xfc, v3, vcc_lo
; %bb.5540:                             ;   in Loop: Header=BB6_4623 Depth=2
	s_or_b32 exec_lo, exec_lo, s40
.LBB6_5541:                             ;   in Loop: Header=BB6_4623 Depth=2
	s_delay_alu instid0(SALU_CYCLE_1) | instskip(SKIP_3) | instid1(VALU_DEP_2)
	s_or_b32 exec_lo, exec_lo, s11
	v_lshrrev_b16 v4, 8, v26
	v_mov_b32_e32 v3, 0
	s_mov_b32 s11, exec_lo
	v_cmpx_ne_u16_e32 0, v4
	s_cbranch_execz .LBB6_5551
; %bb.5542:                             ;   in Loop: Header=BB6_4623 Depth=2
	v_bfrev_b32_e32 v3, 1
	s_mov_b32 s40, exec_lo
	v_cmpx_ne_u16_e32 0x80, v4
	s_cbranch_execz .LBB6_5550
; %bb.5543:                             ;   in Loop: Header=BB6_4623 Depth=2
	v_and_b32_e32 v7, 0xffff, v4
	s_delay_alu instid0(VALU_DEP_1) | instskip(SKIP_1) | instid1(VALU_DEP_2)
	v_and_b32_e32 v3, 0x7c, v7
	v_and_b32_e32 v5, 3, v7
	v_cmp_ne_u32_e32 vcc_lo, 0x7c, v3
                                        ; implicit-def: $vgpr3
	s_and_saveexec_b32 s41, vcc_lo
	s_delay_alu instid0(SALU_CYCLE_1)
	s_xor_b32 s41, exec_lo, s41
	s_cbranch_execz .LBB6_5547
; %bb.5544:                             ;   in Loop: Header=BB6_4623 Depth=2
	v_bfe_u32 v3, v7, 2, 5
	s_mov_b32 s42, exec_lo
	s_delay_alu instid0(VALU_DEP_1)
	v_cmpx_eq_u32_e32 0, v3
	s_cbranch_execz .LBB6_5546
; %bb.5545:                             ;   in Loop: Header=BB6_4623 Depth=2
	v_clz_i32_u32_e32 v3, v5
	s_delay_alu instid0(VALU_DEP_1) | instskip(SKIP_1) | instid1(VALU_DEP_2)
	v_min_u32_e32 v3, 32, v3
	v_mov_b32_e32 v5, v1
	v_subrev_nc_u32_e32 v7, 29, v3
	v_sub_nc_u32_e32 v3, 30, v3
	s_delay_alu instid0(VALU_DEP_2) | instskip(NEXT) | instid1(VALU_DEP_1)
	v_lshlrev_b64_e32 v[4:5], v7, v[4:5]
	v_and_b32_e32 v5, 3, v4
.LBB6_5546:                             ;   in Loop: Header=BB6_4623 Depth=2
	s_or_b32 exec_lo, exec_lo, s42
	v_lshlrev_b32_e32 v4, 16, v26
                                        ; implicit-def: $vgpr26
	s_delay_alu instid0(VALU_DEP_1) | instskip(NEXT) | instid1(VALU_DEP_1)
	v_and_b32_e32 v4, 0x80000000, v4
	v_lshl_add_u32 v3, v3, 23, v4
	s_delay_alu instid0(VALU_DEP_1) | instskip(NEXT) | instid1(VALU_DEP_1)
	v_lshl_or_b32 v3, v5, 21, v3
                                        ; implicit-def: $vgpr5
	v_add_nc_u32_e32 v3, 0x38000000, v3
.LBB6_5547:                             ;   in Loop: Header=BB6_4623 Depth=2
	s_and_not1_saveexec_b32 s41, s41
; %bb.5548:                             ;   in Loop: Header=BB6_4623 Depth=2
	v_cmp_lt_i16_e32 vcc_lo, -1, v26
	v_mov_b32_e32 v3, 0x7f800000
	s_delay_alu instid0(VALU_DEP_1) | instskip(SKIP_1) | instid1(VALU_DEP_2)
	v_cndmask_b32_e32 v3, 0xff800000, v3, vcc_lo
	v_cmp_eq_u32_e32 vcc_lo, 0, v5
	v_cndmask_b32_e32 v3, 0x7f800001, v3, vcc_lo
; %bb.5549:                             ;   in Loop: Header=BB6_4623 Depth=2
	s_or_b32 exec_lo, exec_lo, s41
.LBB6_5550:                             ;   in Loop: Header=BB6_4623 Depth=2
	s_delay_alu instid0(SALU_CYCLE_1)
	s_or_b32 exec_lo, exec_lo, s40
.LBB6_5551:                             ;   in Loop: Header=BB6_4623 Depth=2
	s_delay_alu instid0(SALU_CYCLE_1) | instskip(SKIP_3) | instid1(VALU_DEP_1)
	s_or_b32 exec_lo, exec_lo, s11
	v_lshrrev_b16 v4, 8, v2
	s_mov_b32 s40, 0
	s_mov_b32 s11, exec_lo
	v_cmpx_lt_i16_e32 0x7f, v4
	s_xor_b32 s11, exec_lo, s11
	s_cbranch_execnz .LBB6_5678
; %bb.5552:                             ;   in Loop: Header=BB6_4623 Depth=2
	s_or_saveexec_b32 s11, s11
	v_bfrev_b32_e32 v5, 1
	s_xor_b32 exec_lo, exec_lo, s11
	s_cbranch_execnz .LBB6_5681
.LBB6_5553:                             ;   in Loop: Header=BB6_4623 Depth=2
	s_or_b32 exec_lo, exec_lo, s11
	s_and_saveexec_b32 s11, s40
	s_cbranch_execz .LBB6_5555
.LBB6_5554:                             ;   in Loop: Header=BB6_4623 Depth=2
	v_and_b32_e32 v7, 0xffff, v4
	s_delay_alu instid0(VALU_DEP_1) | instskip(NEXT) | instid1(VALU_DEP_1)
	v_and_b32_e32 v23, 3, v7
	v_clz_i32_u32_e32 v5, v23
	s_delay_alu instid0(VALU_DEP_1) | instskip(SKIP_1) | instid1(VALU_DEP_2)
	v_min_u32_e32 v26, 32, v5
	v_mov_b32_e32 v5, v1
	v_subrev_nc_u32_e32 v28, 29, v26
	v_sub_nc_u32_e32 v26, 30, v26
	s_delay_alu instid0(VALU_DEP_2) | instskip(SKIP_2) | instid1(VALU_DEP_2)
	v_lshlrev_b64_e32 v[38:39], v28, v[4:5]
	v_bfe_u32 v5, v7, 2, 5
	v_lshlrev_b32_e32 v4, 24, v4
	v_cmp_eq_u32_e32 vcc_lo, 0, v5
	s_delay_alu instid0(VALU_DEP_2) | instskip(SKIP_1) | instid1(VALU_DEP_1)
	v_and_b32_e32 v4, 0x80000000, v4
	v_and_b32_e32 v28, 3, v38
	v_dual_cndmask_b32 v5, v5, v26 :: v_dual_cndmask_b32 v26, v23, v28
	v_cmp_lt_i16_e32 vcc_lo, -1, v2
	v_mov_b32_e32 v2, 0x7f800000
	s_delay_alu instid0(VALU_DEP_3) | instskip(SKIP_1) | instid1(VALU_DEP_3)
	v_lshl_add_u32 v4, v5, 23, v4
	v_and_b32_e32 v5, 0x7c, v7
	v_cndmask_b32_e32 v2, 0xff800000, v2, vcc_lo
	s_delay_alu instid0(VALU_DEP_3) | instskip(SKIP_1) | instid1(VALU_DEP_2)
	v_lshl_or_b32 v4, v26, 21, v4
	v_cmp_eq_u32_e32 vcc_lo, 0, v23
	v_add_nc_u32_e32 v4, 0x38000000, v4
	s_delay_alu instid0(VALU_DEP_4) | instskip(SKIP_1) | instid1(VALU_DEP_2)
	v_cndmask_b32_e32 v2, 0x7f800001, v2, vcc_lo
	v_cmp_eq_u32_e32 vcc_lo, 0x7c, v5
	v_cndmask_b32_e32 v5, v4, v2, vcc_lo
.LBB6_5555:                             ;   in Loop: Header=BB6_4623 Depth=2
	s_or_b32 exec_lo, exec_lo, s11
	s_delay_alu instid0(VALU_DEP_1) | instskip(SKIP_2) | instid1(VALU_DEP_2)
	v_dual_add_f32 v4, v3, v5 :: v_dual_mov_b32 v39, v1
	v_mov_b32_e32 v3, v1
                                        ; implicit-def: $vgpr7
	s_mov_b32 s11, exec_lo
	v_and_b32_e32 v38, 0x7f800000, v4
	v_and_b32_e32 v2, 0x7fffff, v4
	v_lshrrev_b32_e32 v5, 24, v4
	s_delay_alu instid0(VALU_DEP_3)
	v_cmpx_ne_u64_e32 0x7f800000, v[38:39]
	s_xor_b32 s40, exec_lo, s11
	s_cbranch_execz .LBB6_5569
; %bb.5556:                             ;   in Loop: Header=BB6_4623 Depth=2
	v_and_b32_e32 v38, 0x7fffffff, v4
	v_mov_b32_e32 v39, v1
	v_and_b32_e32 v23, 0x80, v5
                                        ; implicit-def: $vgpr7
	s_mov_b32 s11, exec_lo
	s_delay_alu instid0(VALU_DEP_2)
	v_cmpx_gt_u64_e32 0x47600001, v[38:39]
	s_xor_b32 s41, exec_lo, s11
	s_cbranch_execz .LBB6_5566
; %bb.5557:                             ;   in Loop: Header=BB6_4623 Depth=2
	v_mov_b32_e32 v7, 0
	s_mov_b32 s42, exec_lo
	v_cmpx_ne_u32_e32 0, v4
	s_cbranch_execz .LBB6_5565
; %bb.5558:                             ;   in Loop: Header=BB6_4623 Depth=2
	v_bfe_u32 v7, v4, 23, 8
	v_or_b32_e32 v28, 0x800000, v2
	s_delay_alu instid0(VALU_DEP_2) | instskip(SKIP_1) | instid1(VALU_DEP_2)
	v_sub_nc_u32_e32 v4, 0x71, v7
	v_cmp_gt_u32_e32 vcc_lo, 0x72, v7
	v_cndmask_b32_e32 v4, 0, v4, vcc_lo
	v_cmp_eq_u32_e32 vcc_lo, 0, v7
	s_delay_alu instid0(VALU_DEP_2) | instskip(SKIP_1) | instid1(VALU_DEP_2)
	v_cndmask_b32_e64 v26, v4, 0x70, vcc_lo
	v_cndmask_b32_e32 v2, v28, v2, vcc_lo
	v_dual_add_nc_u32 v4, 21, v26 :: v_dual_add_nc_u32 v31, 20, v26
	s_delay_alu instid0(VALU_DEP_1) | instskip(NEXT) | instid1(VALU_DEP_2)
	v_lshlrev_b64_e64 v[4:5], v4, -1
	v_lshlrev_b64_e64 v[38:39], v31, 1
	s_delay_alu instid0(VALU_DEP_2) | instskip(SKIP_1) | instid1(VALU_DEP_4)
	v_bfi_b32 v4, v4, 0, v2
	v_lshrrev_b64 v[2:3], v26, v[2:3]
	v_bfi_b32 v5, v5, 0, 0
	s_delay_alu instid0(VALU_DEP_1) | instskip(NEXT) | instid1(VALU_DEP_3)
	v_cmp_eq_u64_e64 s11, v[4:5], v[38:39]
	v_mov_b64_e32 v[4:5], v[2:3]
	s_and_saveexec_b32 s43, s11
; %bb.5559:                             ;   in Loop: Header=BB6_4623 Depth=2
	v_bfe_u32 v4, v2, 21, 1
	v_mov_b32_e32 v5, v1
	s_delay_alu instid0(VALU_DEP_1) | instskip(NEXT) | instid1(VALU_DEP_1)
	v_add_nc_u64_e32 v[4:5], v[2:3], v[4:5]
	v_add_nc_u64_e32 v[4:5], -1, v[4:5]
; %bb.5560:                             ;   in Loop: Header=BB6_4623 Depth=2
	s_or_b32 exec_lo, exec_lo, s43
	v_add_nc_u32_e32 v3, 0xffffff81, v7
	v_lshrrev_b32_e32 v5, 23, v2
	s_mov_b32 s11, exec_lo
	s_delay_alu instid0(VALU_DEP_2) | instskip(NEXT) | instid1(VALU_DEP_1)
	v_cndmask_b32_e64 v3, v3, 0xffffff82, vcc_lo
	v_add3_u32 v5, v26, v3, v5
	v_and_b32_e32 v3, 0x1fffff, v4
                                        ; implicit-def: $vgpr4
	s_delay_alu instid0(VALU_DEP_1) | instskip(SKIP_1) | instid1(VALU_DEP_2)
	v_dual_add_nc_u32 v7, 14, v5 :: v_dual_add_nc_u32 v2, v3, v2
	v_mov_b32_e32 v3, v1
	v_cmpx_ne_u32_e32 0, v7
	s_xor_b32 s11, exec_lo, s11
; %bb.5561:                             ;   in Loop: Header=BB6_4623 Depth=2
	s_delay_alu instid0(VALU_DEP_2) | instskip(SKIP_2) | instid1(VALU_DEP_2)
	v_cmp_lt_u64_e32 vcc_lo, 0xffffff, v[2:3]
	v_add_nc_u32_e32 v4, 15, v5
	v_cndmask_b32_e64 v5, 0, 1, vcc_lo
	v_cndmask_b32_e32 v4, v7, v4, vcc_lo
	s_delay_alu instid0(VALU_DEP_2)
	v_lshrrev_b64 v[2:3], v5, v[2:3]
; %bb.5562:                             ;   in Loop: Header=BB6_4623 Depth=2
	s_and_not1_saveexec_b32 s11, s11
; %bb.5563:                             ;   in Loop: Header=BB6_4623 Depth=2
	s_delay_alu instid0(VALU_DEP_1)
	v_bfe_u32 v4, v2, 23, 1
; %bb.5564:                             ;   in Loop: Header=BB6_4623 Depth=2
	s_or_b32 exec_lo, exec_lo, s11
	s_delay_alu instid0(VALU_DEP_2) | instskip(NEXT) | instid1(VALU_DEP_2)
	v_lshrrev_b64 v[2:3], 21, v[2:3]
	v_cmp_gt_i32_e32 vcc_lo, 32, v4
	v_min_i32_e32 v5, 31, v4
	v_cmp_eq_u32_e64 s11, 0, v4
	s_delay_alu instid0(VALU_DEP_2) | instskip(SKIP_1) | instid1(VALU_DEP_2)
	v_dual_cndmask_b32 v3, 0, v3, vcc_lo :: v_dual_lshlrev_b32 v5, 2, v5
	v_cndmask_b32_e32 v2, 3, v2, vcc_lo
	v_and_b32_e32 v5, 0xfc, v5
	s_delay_alu instid0(VALU_DEP_2) | instskip(NEXT) | instid1(VALU_DEP_2)
	v_cmp_eq_u64_e32 vcc_lo, 0, v[2:3]
	v_and_or_b32 v2, v2, 3, v5
	s_and_b32 s11, s11, vcc_lo
	s_delay_alu instid0(VALU_DEP_1) | instid1(SALU_CYCLE_1)
	v_cndmask_b32_e64 v2, v2, 0, s11
	s_delay_alu instid0(VALU_DEP_1)
	v_or_b32_e32 v7, v2, v23
.LBB6_5565:                             ;   in Loop: Header=BB6_4623 Depth=2
	s_or_b32 exec_lo, exec_lo, s42
                                        ; implicit-def: $vgpr23
.LBB6_5566:                             ;   in Loop: Header=BB6_4623 Depth=2
	s_and_not1_saveexec_b32 s11, s41
; %bb.5567:                             ;   in Loop: Header=BB6_4623 Depth=2
	v_or_b32_e32 v7, 0x7b, v23
; %bb.5568:                             ;   in Loop: Header=BB6_4623 Depth=2
	s_or_b32 exec_lo, exec_lo, s11
                                        ; implicit-def: $vgpr4
                                        ; implicit-def: $vgpr2_vgpr3
                                        ; implicit-def: $vgpr5
.LBB6_5569:                             ;   in Loop: Header=BB6_4623 Depth=2
	s_and_not1_saveexec_b32 s11, s40
	s_cbranch_execz .LBB6_5575
; %bb.5570:                             ;   in Loop: Header=BB6_4623 Depth=2
	s_mov_b32 s40, exec_lo
                                        ; implicit-def: $vgpr7
	v_cmpx_ne_u64_e32 0, v[2:3]
	s_xor_b32 s40, exec_lo, s40
; %bb.5571:                             ;   in Loop: Header=BB6_4623 Depth=2
	v_or_b32_e32 v7, 0x7f, v5
                                        ; implicit-def: $vgpr4
; %bb.5572:                             ;   in Loop: Header=BB6_4623 Depth=2
	s_and_not1_saveexec_b32 s40, s40
; %bb.5573:                             ;   in Loop: Header=BB6_4623 Depth=2
	v_cmp_lt_i32_e32 vcc_lo, -1, v4
	v_mov_b32_e32 v2, 0x7c
	s_delay_alu instid0(VALU_DEP_1)
	v_cndmask_b32_e32 v7, 0xfc, v2, vcc_lo
; %bb.5574:                             ;   in Loop: Header=BB6_4623 Depth=2
	s_or_b32 exec_lo, exec_lo, s40
.LBB6_5575:                             ;   in Loop: Header=BB6_4623 Depth=2
	s_delay_alu instid0(SALU_CYCLE_1) | instskip(SKIP_2) | instid1(VALU_DEP_1)
	s_or_b32 exec_lo, exec_lo, s11
	v_dual_mov_b32 v3, 0 :: v_dual_lshrrev_b32 v2, 16, v0
	s_mov_b32 s11, exec_lo
	v_and_b32_e32 v4, 0xff, v2
	s_delay_alu instid0(VALU_DEP_1)
	v_cmpx_ne_u16_e32 0, v4
	s_cbranch_execz .LBB6_5585
; %bb.5576:                             ;   in Loop: Header=BB6_4623 Depth=2
	v_bfrev_b32_e32 v3, 1
	s_mov_b32 s40, exec_lo
	v_cmpx_ne_u16_e32 0x80, v4
	s_cbranch_execz .LBB6_5584
; %bb.5577:                             ;   in Loop: Header=BB6_4623 Depth=2
	v_and_b32_e32 v3, 0x7c0000, v0
	v_bfe_u32 v4, v0, 16, 2
	s_delay_alu instid0(VALU_DEP_2) | instskip(SKIP_1) | instid1(SALU_CYCLE_1)
	v_cmp_ne_u32_e32 vcc_lo, 0x7c0000, v3
                                        ; implicit-def: $vgpr3
	s_and_saveexec_b32 s41, vcc_lo
	s_xor_b32 s41, exec_lo, s41
	s_cbranch_execz .LBB6_5581
; %bb.5578:                             ;   in Loop: Header=BB6_4623 Depth=2
	v_bfe_u32 v3, v0, 18, 5
	s_mov_b32 s42, exec_lo
	s_delay_alu instid0(VALU_DEP_1)
	v_cmpx_eq_u32_e32 0, v3
; %bb.5579:                             ;   in Loop: Header=BB6_4623 Depth=2
	v_clz_i32_u32_e32 v3, v4
	s_delay_alu instid0(VALU_DEP_1) | instskip(NEXT) | instid1(VALU_DEP_1)
	v_min_u32_e32 v3, 32, v3
	v_subrev_nc_u32_e32 v4, 29, v3
	s_delay_alu instid0(VALU_DEP_1) | instskip(NEXT) | instid1(VALU_DEP_1)
	v_lshlrev_b64_e32 v[4:5], v4, v[2:3]
	v_dual_sub_nc_u32 v3, 30, v3 :: v_dual_bitop2_b32 v4, 3, v4 bitop3:0x40
; %bb.5580:                             ;   in Loop: Header=BB6_4623 Depth=2
	s_or_b32 exec_lo, exec_lo, s42
	v_lshlrev_b32_e32 v2, 24, v2
	s_delay_alu instid0(VALU_DEP_1) | instskip(NEXT) | instid1(VALU_DEP_1)
	v_and_b32_e32 v2, 0x80000000, v2
	v_lshl_add_u32 v2, v3, 23, v2
	s_delay_alu instid0(VALU_DEP_1) | instskip(NEXT) | instid1(VALU_DEP_1)
	v_lshl_or_b32 v2, v4, 21, v2
                                        ; implicit-def: $vgpr4
	v_add_nc_u32_e32 v3, 0x38000000, v2
                                        ; implicit-def: $vgpr2
.LBB6_5581:                             ;   in Loop: Header=BB6_4623 Depth=2
	s_and_not1_saveexec_b32 s41, s41
; %bb.5582:                             ;   in Loop: Header=BB6_4623 Depth=2
	v_bfe_i32 v2, v2, 0, 8
	s_delay_alu instid0(VALU_DEP_1) | instskip(SKIP_1) | instid1(VALU_DEP_1)
	v_cmp_lt_i16_e32 vcc_lo, -1, v2
	v_mov_b32_e32 v2, 0x7f800000
	v_cndmask_b32_e32 v2, 0xff800000, v2, vcc_lo
	v_cmp_eq_u32_e32 vcc_lo, 0, v4
	s_delay_alu instid0(VALU_DEP_2)
	v_cndmask_b32_e32 v3, 0x7f800001, v2, vcc_lo
; %bb.5583:                             ;   in Loop: Header=BB6_4623 Depth=2
	s_or_b32 exec_lo, exec_lo, s41
.LBB6_5584:                             ;   in Loop: Header=BB6_4623 Depth=2
	s_delay_alu instid0(SALU_CYCLE_1)
	s_or_b32 exec_lo, exec_lo, s40
.LBB6_5585:                             ;   in Loop: Header=BB6_4623 Depth=2
	s_delay_alu instid0(SALU_CYCLE_1) | instskip(SKIP_3) | instid1(VALU_DEP_1)
	s_or_b32 exec_lo, exec_lo, s11
	v_lshrrev_b32_e32 v2, 16, v13
	s_mov_b32 s40, 0
	s_mov_b32 s11, exec_lo
	v_and_b32_e32 v5, 0xff, v2
	s_delay_alu instid0(VALU_DEP_1)
	v_cmpx_lt_i16_e32 0x7f, v5
	s_xor_b32 s11, exec_lo, s11
	s_cbranch_execnz .LBB6_5682
; %bb.5586:                             ;   in Loop: Header=BB6_4623 Depth=2
	s_or_saveexec_b32 s11, s11
	v_bfrev_b32_e32 v4, 1
	s_xor_b32 exec_lo, exec_lo, s11
	s_cbranch_execnz .LBB6_5685
.LBB6_5587:                             ;   in Loop: Header=BB6_4623 Depth=2
	s_or_b32 exec_lo, exec_lo, s11
	s_and_saveexec_b32 s11, s40
	s_cbranch_execz .LBB6_5589
.LBB6_5588:                             ;   in Loop: Header=BB6_4623 Depth=2
	v_and_b32_e32 v23, 3, v2
	v_bfe_u32 v28, v13, 18, 5
	s_delay_alu instid0(VALU_DEP_2) | instskip(NEXT) | instid1(VALU_DEP_2)
	v_clz_i32_u32_e32 v4, v23
	v_cmp_eq_u32_e32 vcc_lo, 0, v28
	s_delay_alu instid0(VALU_DEP_2) | instskip(NEXT) | instid1(VALU_DEP_1)
	v_min_u32_e32 v26, 32, v4
	v_subrev_nc_u32_e32 v4, 29, v26
	s_delay_alu instid0(VALU_DEP_1) | instskip(SKIP_3) | instid1(VALU_DEP_3)
	v_lshlrev_b64_e32 v[4:5], v4, v[2:3]
	v_lshlrev_b32_e32 v5, 24, v2
	v_sub_nc_u32_e32 v26, 30, v26
	v_bfe_i32 v2, v2, 0, 8
	v_and_b32_e32 v5, 0x80000000, v5
	s_delay_alu instid0(VALU_DEP_3) | instskip(NEXT) | instid1(VALU_DEP_1)
	v_dual_cndmask_b32 v26, v28, v26, vcc_lo :: v_dual_bitop2_b32 v4, 3, v4 bitop3:0x40
	v_cndmask_b32_e32 v4, v23, v4, vcc_lo
	s_delay_alu instid0(VALU_DEP_2) | instskip(SKIP_2) | instid1(VALU_DEP_3)
	v_lshl_add_u32 v5, v26, 23, v5
	v_cmp_lt_i16_e32 vcc_lo, -1, v2
	v_mov_b32_e32 v2, 0x7f800000
	v_lshl_or_b32 v4, v4, 21, v5
	v_and_b32_e32 v5, 0x7c0000, v13
	s_delay_alu instid0(VALU_DEP_3) | instskip(SKIP_1) | instid1(VALU_DEP_4)
	v_cndmask_b32_e32 v2, 0xff800000, v2, vcc_lo
	v_cmp_eq_u32_e32 vcc_lo, 0, v23
	v_add_nc_u32_e32 v4, 0x38000000, v4
	s_delay_alu instid0(VALU_DEP_3) | instskip(SKIP_1) | instid1(VALU_DEP_2)
	v_cndmask_b32_e32 v2, 0x7f800001, v2, vcc_lo
	v_cmp_eq_u32_e32 vcc_lo, 0x7c0000, v5
	v_cndmask_b32_e32 v4, v4, v2, vcc_lo
.LBB6_5589:                             ;   in Loop: Header=BB6_4623 Depth=2
	s_or_b32 exec_lo, exec_lo, s11
	s_delay_alu instid0(VALU_DEP_1) | instskip(SKIP_2) | instid1(VALU_DEP_2)
	v_dual_add_f32 v4, v3, v4 :: v_dual_mov_b32 v39, v1
	v_mov_b32_e32 v3, v1
                                        ; implicit-def: $vgpr23
	s_mov_b32 s11, exec_lo
	v_and_b32_e32 v38, 0x7f800000, v4
	v_and_b32_e32 v2, 0x7fffff, v4
	v_lshrrev_b32_e32 v5, 24, v4
	s_delay_alu instid0(VALU_DEP_3)
	v_cmpx_ne_u64_e32 0x7f800000, v[38:39]
	s_xor_b32 s40, exec_lo, s11
	s_cbranch_execz .LBB6_5603
; %bb.5590:                             ;   in Loop: Header=BB6_4623 Depth=2
	v_and_b32_e32 v38, 0x7fffffff, v4
	v_mov_b32_e32 v39, v1
	v_and_b32_e32 v26, 0x80, v5
                                        ; implicit-def: $vgpr23
	s_mov_b32 s11, exec_lo
	s_delay_alu instid0(VALU_DEP_2)
	v_cmpx_gt_u64_e32 0x47600001, v[38:39]
	s_xor_b32 s41, exec_lo, s11
	s_cbranch_execz .LBB6_5600
; %bb.5591:                             ;   in Loop: Header=BB6_4623 Depth=2
	v_mov_b32_e32 v23, 0
	s_mov_b32 s42, exec_lo
	v_cmpx_ne_u32_e32 0, v4
	s_cbranch_execz .LBB6_5599
; %bb.5592:                             ;   in Loop: Header=BB6_4623 Depth=2
	v_bfe_u32 v23, v4, 23, 8
	v_or_b32_e32 v31, 0x800000, v2
	s_delay_alu instid0(VALU_DEP_2) | instskip(SKIP_1) | instid1(VALU_DEP_2)
	v_sub_nc_u32_e32 v4, 0x71, v23
	v_cmp_gt_u32_e32 vcc_lo, 0x72, v23
	v_cndmask_b32_e32 v4, 0, v4, vcc_lo
	v_cmp_eq_u32_e32 vcc_lo, 0, v23
	v_cndmask_b32_e32 v2, v31, v2, vcc_lo
	s_delay_alu instid0(VALU_DEP_3) | instskip(NEXT) | instid1(VALU_DEP_1)
	v_cndmask_b32_e64 v28, v4, 0x70, vcc_lo
	v_dual_add_nc_u32 v4, 21, v28 :: v_dual_add_nc_u32 v34, 20, v28
	s_delay_alu instid0(VALU_DEP_1) | instskip(NEXT) | instid1(VALU_DEP_2)
	v_lshlrev_b64_e64 v[4:5], v4, -1
	v_lshlrev_b64_e64 v[38:39], v34, 1
	s_delay_alu instid0(VALU_DEP_2) | instskip(SKIP_1) | instid1(VALU_DEP_4)
	v_bfi_b32 v4, v4, 0, v2
	v_lshrrev_b64 v[2:3], v28, v[2:3]
	v_bfi_b32 v5, v5, 0, 0
	s_delay_alu instid0(VALU_DEP_1) | instskip(NEXT) | instid1(VALU_DEP_3)
	v_cmp_eq_u64_e64 s11, v[4:5], v[38:39]
	v_mov_b64_e32 v[4:5], v[2:3]
	s_and_saveexec_b32 s43, s11
; %bb.5593:                             ;   in Loop: Header=BB6_4623 Depth=2
	v_bfe_u32 v4, v2, 21, 1
	v_mov_b32_e32 v5, v1
	s_delay_alu instid0(VALU_DEP_1) | instskip(NEXT) | instid1(VALU_DEP_1)
	v_add_nc_u64_e32 v[4:5], v[2:3], v[4:5]
	v_add_nc_u64_e32 v[4:5], -1, v[4:5]
; %bb.5594:                             ;   in Loop: Header=BB6_4623 Depth=2
	s_or_b32 exec_lo, exec_lo, s43
	v_add_nc_u32_e32 v3, 0xffffff81, v23
	v_lshrrev_b32_e32 v5, 23, v2
	s_mov_b32 s11, exec_lo
	s_delay_alu instid0(VALU_DEP_2) | instskip(NEXT) | instid1(VALU_DEP_1)
	v_cndmask_b32_e64 v3, v3, 0xffffff82, vcc_lo
	v_add3_u32 v5, v28, v3, v5
	v_and_b32_e32 v3, 0x1fffff, v4
                                        ; implicit-def: $vgpr4
	s_delay_alu instid0(VALU_DEP_1) | instskip(SKIP_1) | instid1(VALU_DEP_2)
	v_dual_add_nc_u32 v23, 14, v5 :: v_dual_add_nc_u32 v2, v3, v2
	v_mov_b32_e32 v3, v1
	v_cmpx_ne_u32_e32 0, v23
	s_xor_b32 s11, exec_lo, s11
; %bb.5595:                             ;   in Loop: Header=BB6_4623 Depth=2
	s_delay_alu instid0(VALU_DEP_2) | instskip(SKIP_2) | instid1(VALU_DEP_2)
	v_cmp_lt_u64_e32 vcc_lo, 0xffffff, v[2:3]
	v_add_nc_u32_e32 v4, 15, v5
	v_cndmask_b32_e64 v5, 0, 1, vcc_lo
	v_cndmask_b32_e32 v4, v23, v4, vcc_lo
	s_delay_alu instid0(VALU_DEP_2)
	v_lshrrev_b64 v[2:3], v5, v[2:3]
; %bb.5596:                             ;   in Loop: Header=BB6_4623 Depth=2
	s_and_not1_saveexec_b32 s11, s11
; %bb.5597:                             ;   in Loop: Header=BB6_4623 Depth=2
	s_delay_alu instid0(VALU_DEP_1)
	v_bfe_u32 v4, v2, 23, 1
; %bb.5598:                             ;   in Loop: Header=BB6_4623 Depth=2
	s_or_b32 exec_lo, exec_lo, s11
	s_delay_alu instid0(VALU_DEP_2) | instskip(NEXT) | instid1(VALU_DEP_2)
	v_lshrrev_b64 v[2:3], 21, v[2:3]
	v_cmp_gt_i32_e32 vcc_lo, 32, v4
	v_min_i32_e32 v5, 31, v4
	v_cmp_eq_u32_e64 s11, 0, v4
	s_delay_alu instid0(VALU_DEP_2) | instskip(SKIP_1) | instid1(VALU_DEP_2)
	v_dual_cndmask_b32 v3, 0, v3, vcc_lo :: v_dual_lshlrev_b32 v5, 2, v5
	v_cndmask_b32_e32 v2, 3, v2, vcc_lo
	v_and_b32_e32 v5, 0xfc, v5
	s_delay_alu instid0(VALU_DEP_2) | instskip(NEXT) | instid1(VALU_DEP_2)
	v_cmp_eq_u64_e32 vcc_lo, 0, v[2:3]
	v_and_or_b32 v2, v2, 3, v5
	s_and_b32 s11, s11, vcc_lo
	s_delay_alu instid0(VALU_DEP_1) | instid1(SALU_CYCLE_1)
	v_cndmask_b32_e64 v2, v2, 0, s11
	s_delay_alu instid0(VALU_DEP_1)
	v_or_b32_e32 v23, v2, v26
.LBB6_5599:                             ;   in Loop: Header=BB6_4623 Depth=2
	s_or_b32 exec_lo, exec_lo, s42
                                        ; implicit-def: $vgpr26
.LBB6_5600:                             ;   in Loop: Header=BB6_4623 Depth=2
	s_and_not1_saveexec_b32 s11, s41
; %bb.5601:                             ;   in Loop: Header=BB6_4623 Depth=2
	v_or_b32_e32 v23, 0x7b, v26
; %bb.5602:                             ;   in Loop: Header=BB6_4623 Depth=2
	s_or_b32 exec_lo, exec_lo, s11
                                        ; implicit-def: $vgpr4
                                        ; implicit-def: $vgpr2_vgpr3
                                        ; implicit-def: $vgpr5
.LBB6_5603:                             ;   in Loop: Header=BB6_4623 Depth=2
	s_and_not1_saveexec_b32 s11, s40
	s_cbranch_execz .LBB6_5609
; %bb.5604:                             ;   in Loop: Header=BB6_4623 Depth=2
	s_mov_b32 s40, exec_lo
                                        ; implicit-def: $vgpr23
	v_cmpx_ne_u64_e32 0, v[2:3]
	s_xor_b32 s40, exec_lo, s40
; %bb.5605:                             ;   in Loop: Header=BB6_4623 Depth=2
	v_or_b32_e32 v23, 0x7f, v5
                                        ; implicit-def: $vgpr4
; %bb.5606:                             ;   in Loop: Header=BB6_4623 Depth=2
	s_and_not1_saveexec_b32 s40, s40
; %bb.5607:                             ;   in Loop: Header=BB6_4623 Depth=2
	v_cmp_lt_i32_e32 vcc_lo, -1, v4
	v_mov_b32_e32 v2, 0x7c
	s_delay_alu instid0(VALU_DEP_1)
	v_cndmask_b32_e32 v23, 0xfc, v2, vcc_lo
; %bb.5608:                             ;   in Loop: Header=BB6_4623 Depth=2
	s_or_b32 exec_lo, exec_lo, s40
.LBB6_5609:                             ;   in Loop: Header=BB6_4623 Depth=2
	s_delay_alu instid0(SALU_CYCLE_1)
	s_or_b32 exec_lo, exec_lo, s11
	v_mov_b32_e32 v3, 0
	s_mov_b32 s11, exec_lo
	v_cmpx_lt_u32_e32 0xffffff, v0
	s_cbranch_execz .LBB6_5619
; %bb.5610:                             ;   in Loop: Header=BB6_4623 Depth=2
	v_lshrrev_b32_e32 v2, 24, v0
	v_bfrev_b32_e32 v3, 1
	s_mov_b32 s40, exec_lo
	s_delay_alu instid0(VALU_DEP_2)
	v_cmpx_ne_u32_e32 0x80, v2
	s_cbranch_execz .LBB6_5618
; %bb.5611:                             ;   in Loop: Header=BB6_4623 Depth=2
	v_and_b32_e32 v3, 0x7c000000, v0
	v_bfe_u32 v4, v0, 24, 2
	s_delay_alu instid0(VALU_DEP_2) | instskip(SKIP_1) | instid1(SALU_CYCLE_1)
	v_cmp_ne_u32_e32 vcc_lo, 0x7c000000, v3
                                        ; implicit-def: $vgpr3
	s_and_saveexec_b32 s41, vcc_lo
	s_xor_b32 s41, exec_lo, s41
	s_cbranch_execz .LBB6_5615
; %bb.5612:                             ;   in Loop: Header=BB6_4623 Depth=2
	v_bfe_u32 v3, v0, 26, 5
	s_mov_b32 s42, exec_lo
	s_delay_alu instid0(VALU_DEP_1)
	v_cmpx_eq_u32_e32 0, v3
; %bb.5613:                             ;   in Loop: Header=BB6_4623 Depth=2
	v_clz_i32_u32_e32 v3, v4
	s_delay_alu instid0(VALU_DEP_1) | instskip(NEXT) | instid1(VALU_DEP_1)
	v_min_u32_e32 v4, 32, v3
	v_subrev_nc_u32_e32 v3, 29, v4
	s_delay_alu instid0(VALU_DEP_1) | instskip(NEXT) | instid1(VALU_DEP_1)
	v_lshlrev_b64_e32 v[2:3], v3, v[2:3]
	v_dual_sub_nc_u32 v3, 30, v4 :: v_dual_bitop2_b32 v4, 3, v2 bitop3:0x40
; %bb.5614:                             ;   in Loop: Header=BB6_4623 Depth=2
	s_or_b32 exec_lo, exec_lo, s42
	v_and_b32_e32 v0, 0x80000000, v0
	s_delay_alu instid0(VALU_DEP_1) | instskip(NEXT) | instid1(VALU_DEP_1)
	v_lshl_add_u32 v0, v3, 23, v0
	v_lshl_or_b32 v0, v4, 21, v0
                                        ; implicit-def: $vgpr4
	s_delay_alu instid0(VALU_DEP_1)
	v_add_nc_u32_e32 v3, 0x38000000, v0
.LBB6_5615:                             ;   in Loop: Header=BB6_4623 Depth=2
	s_and_not1_saveexec_b32 s41, s41
; %bb.5616:                             ;   in Loop: Header=BB6_4623 Depth=2
	v_cmp_lt_i32_e32 vcc_lo, -1, v0
	v_mov_b32_e32 v0, 0x7f800000
	s_delay_alu instid0(VALU_DEP_1) | instskip(SKIP_1) | instid1(VALU_DEP_2)
	v_cndmask_b32_e32 v0, 0xff800000, v0, vcc_lo
	v_cmp_eq_u32_e32 vcc_lo, 0, v4
	v_cndmask_b32_e32 v3, 0x7f800001, v0, vcc_lo
; %bb.5617:                             ;   in Loop: Header=BB6_4623 Depth=2
	s_or_b32 exec_lo, exec_lo, s41
.LBB6_5618:                             ;   in Loop: Header=BB6_4623 Depth=2
	s_delay_alu instid0(SALU_CYCLE_1)
	s_or_b32 exec_lo, exec_lo, s40
.LBB6_5619:                             ;   in Loop: Header=BB6_4623 Depth=2
	s_delay_alu instid0(SALU_CYCLE_1) | instskip(SKIP_2) | instid1(VALU_DEP_2)
	s_or_b32 exec_lo, exec_lo, s11
	v_bfe_u32 v2, v13, 24, 2
	v_bfe_u32 v28, v13, 26, 5
	v_clz_i32_u32_e32 v0, v2
	s_delay_alu instid0(VALU_DEP_2) | instskip(NEXT) | instid1(VALU_DEP_2)
	v_cmp_eq_u32_e32 vcc_lo, 0, v28
	v_min_u32_e32 v26, 32, v0
	v_lshrrev_b32_e32 v0, 24, v13
	s_delay_alu instid0(VALU_DEP_2) | instskip(NEXT) | instid1(VALU_DEP_1)
	v_subrev_nc_u32_e32 v4, 29, v26
	v_lshlrev_b64_e32 v[4:5], v4, v[0:1]
	v_sub_nc_u32_e32 v5, 30, v26
	v_and_b32_e32 v26, 0x80000000, v13
	s_delay_alu instid0(VALU_DEP_2) | instskip(NEXT) | instid1(VALU_DEP_1)
	v_dual_cndmask_b32 v5, v28, v5, vcc_lo :: v_dual_bitop2_b32 v4, 3, v4 bitop3:0x40
	v_lshl_add_u32 v5, v5, 23, v26
	s_delay_alu instid0(VALU_DEP_2) | instskip(SKIP_2) | instid1(VALU_DEP_3)
	v_cndmask_b32_e32 v4, v2, v4, vcc_lo
	v_cmp_lt_i64_e32 vcc_lo, -1, v[12:13]
	v_mov_b32_e32 v26, 0x7f800000
	v_lshl_or_b32 v4, v4, 21, v5
	v_and_b32_e32 v5, 0x7c000000, v13
	s_delay_alu instid0(VALU_DEP_3) | instskip(SKIP_1) | instid1(VALU_DEP_4)
	v_cndmask_b32_e32 v26, 0xff800000, v26, vcc_lo
	v_cmp_eq_u32_e32 vcc_lo, 0, v2
	v_add_nc_u32_e32 v4, 0x38000000, v4
	s_delay_alu instid0(VALU_DEP_3) | instskip(SKIP_1) | instid1(VALU_DEP_2)
	v_cndmask_b32_e32 v2, 0x7f800001, v26, vcc_lo
	v_cmp_eq_u32_e32 vcc_lo, 0x7c000000, v5
	v_dual_mov_b32 v5, v1 :: v_dual_cndmask_b32 v2, v4, v2
	v_cmp_ne_u32_e32 vcc_lo, 0x80, v0
	s_delay_alu instid0(VALU_DEP_2) | instskip(SKIP_1) | instid1(VALU_DEP_2)
	v_cndmask_b32_e32 v0, 0x80000000, v2, vcc_lo
	v_cmp_lt_u64_e32 vcc_lo, s[12:13], v[12:13]
                                        ; implicit-def: $vgpr2
	v_cndmask_b32_e32 v0, 0, v0, vcc_lo
	s_delay_alu instid0(VALU_DEP_1) | instskip(NEXT) | instid1(VALU_DEP_1)
	v_add_f32_e32 v3, v0, v3
	v_and_b32_e32 v4, 0x7f800000, v3
	v_and_b32_e32 v0, 0x7fffff, v3
	s_delay_alu instid0(VALU_DEP_2) | instskip(SKIP_2) | instid1(SALU_CYCLE_1)
	v_cmp_ne_u64_e32 vcc_lo, 0x7f800000, v[4:5]
	v_lshrrev_b32_e32 v4, 24, v3
	s_and_saveexec_b32 s11, vcc_lo
	s_xor_b32 s40, exec_lo, s11
	s_cbranch_execz .LBB6_5633
; %bb.5620:                             ;   in Loop: Header=BB6_4623 Depth=2
	v_and_b32_e32 v12, 0x7fffffff, v3
	v_mov_b32_e32 v13, v1
                                        ; implicit-def: $vgpr2
	s_delay_alu instid0(VALU_DEP_1) | instskip(SKIP_2) | instid1(SALU_CYCLE_1)
	v_cmp_gt_u64_e32 vcc_lo, 0x47600001, v[12:13]
	v_and_b32_e32 v12, 0x80, v4
	s_and_saveexec_b32 s11, vcc_lo
	s_xor_b32 s41, exec_lo, s11
	s_cbranch_execz .LBB6_5630
; %bb.5621:                             ;   in Loop: Header=BB6_4623 Depth=2
	v_mov_b32_e32 v2, 0
	s_mov_b32 s42, exec_lo
	v_cmpx_ne_u32_e32 0, v3
	s_cbranch_execz .LBB6_5629
; %bb.5622:                             ;   in Loop: Header=BB6_4623 Depth=2
	v_bfe_u32 v13, v3, 23, 8
	v_or_b32_e32 v4, 0x800000, v0
	s_mov_b32 s43, exec_lo
	s_delay_alu instid0(VALU_DEP_2) | instskip(SKIP_1) | instid1(VALU_DEP_2)
	v_dual_mov_b32 v5, v1 :: v_dual_sub_nc_u32 v2, 0x71, v13
	v_cmp_gt_u32_e32 vcc_lo, 0x72, v13
	v_cndmask_b32_e32 v2, 0, v2, vcc_lo
	v_cmp_eq_u32_e32 vcc_lo, 0, v13
	v_cndmask_b32_e32 v4, v4, v0, vcc_lo
	s_delay_alu instid0(VALU_DEP_3) | instskip(NEXT) | instid1(VALU_DEP_1)
	v_cndmask_b32_e64 v26, v2, 0x70, vcc_lo
	v_dual_add_nc_u32 v2, 21, v26 :: v_dual_add_nc_u32 v28, 20, v26
	s_delay_alu instid0(VALU_DEP_1) | instskip(NEXT) | instid1(VALU_DEP_2)
	v_lshlrev_b64_e64 v[2:3], v2, -1
	v_lshlrev_b64_e64 v[38:39], v28, 1
	s_delay_alu instid0(VALU_DEP_2) | instskip(NEXT) | instid1(VALU_DEP_3)
	v_bfi_b32 v49, v3, 0, 0
	v_bfi_b32 v48, v2, 0, v4
	v_lshrrev_b64 v[2:3], v26, v[4:5]
	s_delay_alu instid0(VALU_DEP_1) | instskip(NEXT) | instid1(VALU_DEP_3)
	v_mov_b64_e32 v[4:5], v[2:3]
	v_cmpx_eq_u64_e64 v[48:49], v[38:39]
; %bb.5623:                             ;   in Loop: Header=BB6_4623 Depth=2
	v_bfe_u32 v4, v2, 21, 1
	v_mov_b32_e32 v5, v1
	s_delay_alu instid0(VALU_DEP_1) | instskip(NEXT) | instid1(VALU_DEP_1)
	v_add_nc_u64_e32 v[4:5], v[2:3], v[4:5]
	v_add_nc_u64_e32 v[4:5], -1, v[4:5]
; %bb.5624:                             ;   in Loop: Header=BB6_4623 Depth=2
	s_or_b32 exec_lo, exec_lo, s43
	v_add_nc_u32_e32 v0, 0xffffff81, v13
	s_delay_alu instid0(VALU_DEP_2) | instskip(SKIP_2) | instid1(VALU_DEP_3)
	v_and_b32_e32 v4, 0x1fffff, v4
	v_lshrrev_b32_e32 v3, 23, v2
	s_mov_b32 s11, exec_lo
	v_cndmask_b32_e64 v0, v0, 0xffffff82, vcc_lo
	s_delay_alu instid0(VALU_DEP_1) | instskip(SKIP_1) | instid1(VALU_DEP_2)
	v_add3_u32 v5, v26, v0, v3
	v_add_nc_u32_e32 v0, v4, v2
                                        ; implicit-def: $vgpr2_vgpr3
                                        ; implicit-def: $vgpr4
	v_add_nc_u32_e32 v13, 14, v5
	s_delay_alu instid0(VALU_DEP_1)
	v_cmpx_ne_u32_e32 0, v13
	s_xor_b32 s11, exec_lo, s11
; %bb.5625:                             ;   in Loop: Header=BB6_4623 Depth=2
	s_delay_alu instid0(VALU_DEP_3) | instskip(SKIP_1) | instid1(VALU_DEP_1)
	v_cmp_lt_u64_e32 vcc_lo, 0xffffff, v[0:1]
	v_add_nc_u32_e32 v2, 15, v5
	v_cndmask_b32_e32 v4, v13, v2, vcc_lo
	v_cndmask_b32_e64 v2, 0, 1, vcc_lo
	s_delay_alu instid0(VALU_DEP_1)
	v_lshrrev_b64 v[2:3], v2, v[0:1]
; %bb.5626:                             ;   in Loop: Header=BB6_4623 Depth=2
	s_and_not1_saveexec_b32 s11, s11
; %bb.5627:                             ;   in Loop: Header=BB6_4623 Depth=2
	v_mov_b64_e32 v[2:3], v[0:1]
	v_bfe_u32 v4, v0, 23, 1
; %bb.5628:                             ;   in Loop: Header=BB6_4623 Depth=2
	s_or_b32 exec_lo, exec_lo, s11
	s_delay_alu instid0(VALU_DEP_2) | instskip(NEXT) | instid1(VALU_DEP_2)
	v_lshrrev_b64 v[2:3], 21, v[2:3]
	v_cmp_gt_i32_e32 vcc_lo, 32, v4
	v_min_i32_e32 v0, 31, v4
	v_cmp_eq_u32_e64 s11, 0, v4
	s_delay_alu instid0(VALU_DEP_2) | instskip(SKIP_1) | instid1(VALU_DEP_2)
	v_dual_cndmask_b32 v3, 0, v3 :: v_dual_lshlrev_b32 v0, 2, v0
	v_cndmask_b32_e32 v2, 3, v2, vcc_lo
	v_and_b32_e32 v0, 0xfc, v0
	s_delay_alu instid0(VALU_DEP_2) | instskip(NEXT) | instid1(VALU_DEP_2)
	v_cmp_eq_u64_e32 vcc_lo, 0, v[2:3]
	v_and_or_b32 v0, v2, 3, v0
	s_and_b32 s11, s11, vcc_lo
	s_delay_alu instid0(VALU_DEP_1) | instid1(SALU_CYCLE_1)
	v_cndmask_b32_e64 v0, v0, 0, s11
	s_delay_alu instid0(VALU_DEP_1)
	v_or_b32_e32 v2, v0, v12
.LBB6_5629:                             ;   in Loop: Header=BB6_4623 Depth=2
	s_or_b32 exec_lo, exec_lo, s42
                                        ; implicit-def: $vgpr12
.LBB6_5630:                             ;   in Loop: Header=BB6_4623 Depth=2
	s_and_not1_saveexec_b32 s11, s41
; %bb.5631:                             ;   in Loop: Header=BB6_4623 Depth=2
	v_or_b32_e32 v2, 0x7b, v12
; %bb.5632:                             ;   in Loop: Header=BB6_4623 Depth=2
	s_or_b32 exec_lo, exec_lo, s11
                                        ; implicit-def: $vgpr3
                                        ; implicit-def: $vgpr4
.LBB6_5633:                             ;   in Loop: Header=BB6_4623 Depth=2
	s_and_not1_saveexec_b32 s11, s40
	s_cbranch_execz .LBB6_4622
; %bb.5634:                             ;   in Loop: Header=BB6_4623 Depth=2
	s_mov_b32 s40, exec_lo
                                        ; implicit-def: $vgpr2
	v_cmpx_ne_u64_e32 0, v[0:1]
	s_xor_b32 s40, exec_lo, s40
; %bb.5635:                             ;   in Loop: Header=BB6_4623 Depth=2
	v_or_b32_e32 v2, 0x7f, v4
                                        ; implicit-def: $vgpr3
; %bb.5636:                             ;   in Loop: Header=BB6_4623 Depth=2
	s_and_not1_saveexec_b32 s40, s40
	s_cbranch_execz .LBB6_4621
; %bb.5637:                             ;   in Loop: Header=BB6_4623 Depth=2
	v_cmp_lt_i32_e32 vcc_lo, -1, v3
	v_mov_b32_e32 v0, 0x7c
	s_delay_alu instid0(VALU_DEP_1)
	v_cndmask_b32_e32 v2, 0xfc, v0, vcc_lo
	s_branch .LBB6_4621
.LBB6_5638:                             ;   in Loop: Header=BB6_4623 Depth=2
	s_mov_b32 s40, -1
	s_mov_b32 s41, exec_lo
	v_cmpx_eq_u16_e32 0x80, v4
; %bb.5639:                             ;   in Loop: Header=BB6_4623 Depth=2
	s_xor_b32 s40, exec_lo, -1
; %bb.5640:                             ;   in Loop: Header=BB6_4623 Depth=2
	s_or_b32 exec_lo, exec_lo, s41
	s_delay_alu instid0(SALU_CYCLE_1)
	s_and_b32 s40, s40, exec_lo
                                        ; implicit-def: $vgpr4
	s_or_saveexec_b32 s11, s11
	v_bfrev_b32_e32 v3, 1
	s_xor_b32 exec_lo, exec_lo, s11
	s_cbranch_execz .LBB6_5123
.LBB6_5641:                             ;   in Loop: Header=BB6_4623 Depth=2
	v_cmp_ne_u16_e32 vcc_lo, 0, v4
	v_mov_b32_e32 v3, 0
	s_and_not1_b32 s40, s40, exec_lo
	s_and_b32 s41, vcc_lo, exec_lo
	s_delay_alu instid0(SALU_CYCLE_1)
	s_or_b32 s40, s40, s41
	s_or_b32 exec_lo, exec_lo, s11
	s_and_saveexec_b32 s11, s40
	s_cbranch_execnz .LBB6_5124
	s_branch .LBB6_5125
.LBB6_5642:                             ;   in Loop: Header=BB6_4623 Depth=2
	s_mov_b32 s40, -1
	s_mov_b32 s41, exec_lo
	v_cmpx_eq_u16_e32 0x80, v2
; %bb.5643:                             ;   in Loop: Header=BB6_4623 Depth=2
	s_xor_b32 s40, exec_lo, -1
; %bb.5644:                             ;   in Loop: Header=BB6_4623 Depth=2
	s_or_b32 exec_lo, exec_lo, s41
	s_delay_alu instid0(SALU_CYCLE_1)
	s_and_b32 s40, s40, exec_lo
	s_or_saveexec_b32 s11, s11
	v_bfrev_b32_e32 v3, 1
	s_xor_b32 exec_lo, exec_lo, s11
	s_cbranch_execz .LBB6_5157
.LBB6_5645:                             ;   in Loop: Header=BB6_4623 Depth=2
	v_cmp_ne_u16_e32 vcc_lo, 0, v2
	v_mov_b32_e32 v3, 0
	s_and_not1_b32 s40, s40, exec_lo
	s_and_b32 s41, vcc_lo, exec_lo
	s_delay_alu instid0(SALU_CYCLE_1)
	s_or_b32 s40, s40, s41
	s_or_b32 exec_lo, exec_lo, s11
	s_and_saveexec_b32 s11, s40
	s_cbranch_execnz .LBB6_5158
	s_branch .LBB6_5159
.LBB6_5646:                             ;   in Loop: Header=BB6_4623 Depth=2
	s_mov_b32 s40, -1
	s_mov_b32 s41, exec_lo
	v_cmpx_eq_u16_e32 0x80, v5
; %bb.5647:                             ;   in Loop: Header=BB6_4623 Depth=2
	s_xor_b32 s40, exec_lo, -1
; %bb.5648:                             ;   in Loop: Header=BB6_4623 Depth=2
	s_or_b32 exec_lo, exec_lo, s41
	s_delay_alu instid0(SALU_CYCLE_1)
	s_and_b32 s40, s40, exec_lo
                                        ; implicit-def: $vgpr5
	s_or_saveexec_b32 s11, s11
	v_bfrev_b32_e32 v4, 1
	s_xor_b32 exec_lo, exec_lo, s11
	s_cbranch_execz .LBB6_5191
.LBB6_5649:                             ;   in Loop: Header=BB6_4623 Depth=2
	v_cmp_ne_u16_e32 vcc_lo, 0, v5
	v_mov_b32_e32 v4, 0
	s_and_not1_b32 s40, s40, exec_lo
	s_and_b32 s41, vcc_lo, exec_lo
	s_delay_alu instid0(SALU_CYCLE_1)
	s_or_b32 s40, s40, s41
	s_or_b32 exec_lo, exec_lo, s11
	s_and_saveexec_b32 s11, s40
	s_cbranch_execnz .LBB6_5192
	s_branch .LBB6_5193
.LBB6_5650:                             ;   in Loop: Header=BB6_4623 Depth=2
	s_mov_b32 s40, -1
	s_mov_b32 s41, exec_lo
	v_cmpx_eq_u16_e32 0x80, v3
; %bb.5651:                             ;   in Loop: Header=BB6_4623 Depth=2
	s_xor_b32 s40, exec_lo, -1
; %bb.5652:                             ;   in Loop: Header=BB6_4623 Depth=2
	s_or_b32 exec_lo, exec_lo, s41
	s_delay_alu instid0(SALU_CYCLE_1)
	s_and_b32 s40, s40, exec_lo
                                        ; implicit-def: $vgpr3
	s_or_saveexec_b32 s11, s11
	v_bfrev_b32_e32 v5, 1
	s_xor_b32 exec_lo, exec_lo, s11
	s_cbranch_execz .LBB6_5255
.LBB6_5653:                             ;   in Loop: Header=BB6_4623 Depth=2
	v_cmp_ne_u16_e32 vcc_lo, 0, v3
	v_mov_b32_e32 v5, 0
	s_and_not1_b32 s40, s40, exec_lo
	s_and_b32 s41, vcc_lo, exec_lo
	s_delay_alu instid0(SALU_CYCLE_1)
	s_or_b32 s40, s40, s41
	s_or_b32 exec_lo, exec_lo, s11
	v_mov_b32_e32 v3, v1
	s_and_saveexec_b32 s11, s40
	s_cbranch_execnz .LBB6_5256
	s_branch .LBB6_5257
.LBB6_5654:                             ;   in Loop: Header=BB6_4623 Depth=2
	s_mov_b32 s40, -1
	s_mov_b32 s41, exec_lo
	v_cmpx_eq_u16_e32 0x80, v4
; %bb.5655:                             ;   in Loop: Header=BB6_4623 Depth=2
	s_xor_b32 s40, exec_lo, -1
; %bb.5656:                             ;   in Loop: Header=BB6_4623 Depth=2
	s_or_b32 exec_lo, exec_lo, s41
	s_delay_alu instid0(SALU_CYCLE_1)
	s_and_b32 s40, s40, exec_lo
	s_or_saveexec_b32 s11, s11
	v_bfrev_b32_e32 v5, 1
	s_xor_b32 exec_lo, exec_lo, s11
	s_cbranch_execz .LBB6_5289
.LBB6_5657:                             ;   in Loop: Header=BB6_4623 Depth=2
	v_cmp_ne_u16_e32 vcc_lo, 0, v4
	v_mov_b32_e32 v5, 0
	s_and_not1_b32 s40, s40, exec_lo
	s_and_b32 s41, vcc_lo, exec_lo
	s_delay_alu instid0(SALU_CYCLE_1)
	s_or_b32 s40, s40, s41
	s_or_b32 exec_lo, exec_lo, s11
	s_and_saveexec_b32 s11, s40
	s_cbranch_execnz .LBB6_5290
	s_branch .LBB6_5291
.LBB6_5658:                             ;   in Loop: Header=BB6_4623 Depth=2
	s_mov_b32 s40, -1
	s_mov_b32 s41, exec_lo
	v_cmpx_eq_u16_e32 0x80, v5
; %bb.5659:                             ;   in Loop: Header=BB6_4623 Depth=2
	s_xor_b32 s40, exec_lo, -1
; %bb.5660:                             ;   in Loop: Header=BB6_4623 Depth=2
	s_or_b32 exec_lo, exec_lo, s41
	s_delay_alu instid0(SALU_CYCLE_1)
	s_and_b32 s40, s40, exec_lo
                                        ; implicit-def: $vgpr5
	s_or_saveexec_b32 s11, s11
	v_bfrev_b32_e32 v4, 1
	s_xor_b32 exec_lo, exec_lo, s11
	s_cbranch_execz .LBB6_5323
.LBB6_5661:                             ;   in Loop: Header=BB6_4623 Depth=2
	v_cmp_ne_u16_e32 vcc_lo, 0, v5
	v_mov_b32_e32 v4, 0
	s_and_not1_b32 s40, s40, exec_lo
	s_and_b32 s41, vcc_lo, exec_lo
	s_delay_alu instid0(SALU_CYCLE_1)
	s_or_b32 s40, s40, s41
	s_or_b32 exec_lo, exec_lo, s11
	s_and_saveexec_b32 s11, s40
	s_cbranch_execnz .LBB6_5324
	s_branch .LBB6_5325
.LBB6_5662:                             ;   in Loop: Header=BB6_4623 Depth=2
	s_mov_b32 s40, -1
	s_mov_b32 s41, exec_lo
	v_cmpx_eq_u16_e32 0x80, v4
; %bb.5663:                             ;   in Loop: Header=BB6_4623 Depth=2
	s_xor_b32 s40, exec_lo, -1
; %bb.5664:                             ;   in Loop: Header=BB6_4623 Depth=2
	s_or_b32 exec_lo, exec_lo, s41
	s_delay_alu instid0(SALU_CYCLE_1)
	s_and_b32 s40, s40, exec_lo
                                        ; implicit-def: $vgpr4
	s_or_saveexec_b32 s11, s11
	v_bfrev_b32_e32 v3, 1
	s_xor_b32 exec_lo, exec_lo, s11
	s_cbranch_execz .LBB6_5387
.LBB6_5665:                             ;   in Loop: Header=BB6_4623 Depth=2
	v_cmp_ne_u16_e32 vcc_lo, 0, v4
	v_mov_b32_e32 v3, 0
	s_and_not1_b32 s40, s40, exec_lo
	s_and_b32 s41, vcc_lo, exec_lo
	s_delay_alu instid0(SALU_CYCLE_1)
	s_or_b32 s40, s40, s41
	s_or_b32 exec_lo, exec_lo, s11
	s_and_saveexec_b32 s11, s40
	s_cbranch_execnz .LBB6_5388
	s_branch .LBB6_5389
.LBB6_5666:                             ;   in Loop: Header=BB6_4623 Depth=2
	s_mov_b32 s40, -1
	s_mov_b32 s41, exec_lo
	v_cmpx_eq_u16_e32 0x80, v2
; %bb.5667:                             ;   in Loop: Header=BB6_4623 Depth=2
	s_xor_b32 s40, exec_lo, -1
; %bb.5668:                             ;   in Loop: Header=BB6_4623 Depth=2
	s_or_b32 exec_lo, exec_lo, s41
	s_delay_alu instid0(SALU_CYCLE_1)
	s_and_b32 s40, s40, exec_lo
	s_or_saveexec_b32 s11, s11
	v_bfrev_b32_e32 v3, 1
	s_xor_b32 exec_lo, exec_lo, s11
	s_cbranch_execz .LBB6_5421
.LBB6_5669:                             ;   in Loop: Header=BB6_4623 Depth=2
	v_cmp_ne_u16_e32 vcc_lo, 0, v2
	v_mov_b32_e32 v3, 0
	s_and_not1_b32 s40, s40, exec_lo
	s_and_b32 s41, vcc_lo, exec_lo
	s_delay_alu instid0(SALU_CYCLE_1)
	s_or_b32 s40, s40, s41
	s_or_b32 exec_lo, exec_lo, s11
	s_and_saveexec_b32 s11, s40
	s_cbranch_execnz .LBB6_5422
	s_branch .LBB6_5423
.LBB6_5670:                             ;   in Loop: Header=BB6_4623 Depth=2
	s_mov_b32 s40, -1
	s_mov_b32 s41, exec_lo
	v_cmpx_eq_u16_e32 0x80, v5
; %bb.5671:                             ;   in Loop: Header=BB6_4623 Depth=2
	s_xor_b32 s40, exec_lo, -1
; %bb.5672:                             ;   in Loop: Header=BB6_4623 Depth=2
	s_or_b32 exec_lo, exec_lo, s41
	s_delay_alu instid0(SALU_CYCLE_1)
	s_and_b32 s40, s40, exec_lo
                                        ; implicit-def: $vgpr5
	s_or_saveexec_b32 s11, s11
	v_bfrev_b32_e32 v4, 1
	s_xor_b32 exec_lo, exec_lo, s11
	s_cbranch_execz .LBB6_5455
.LBB6_5673:                             ;   in Loop: Header=BB6_4623 Depth=2
	v_cmp_ne_u16_e32 vcc_lo, 0, v5
	v_mov_b32_e32 v4, 0
	s_and_not1_b32 s40, s40, exec_lo
	s_and_b32 s41, vcc_lo, exec_lo
	s_delay_alu instid0(SALU_CYCLE_1)
	s_or_b32 s40, s40, s41
	s_or_b32 exec_lo, exec_lo, s11
	s_and_saveexec_b32 s11, s40
	s_cbranch_execnz .LBB6_5456
	s_branch .LBB6_5457
.LBB6_5674:                             ;   in Loop: Header=BB6_4623 Depth=2
	s_mov_b32 s40, -1
	s_mov_b32 s41, exec_lo
	v_cmpx_eq_u16_e32 0x80, v3
; %bb.5675:                             ;   in Loop: Header=BB6_4623 Depth=2
	s_xor_b32 s40, exec_lo, -1
; %bb.5676:                             ;   in Loop: Header=BB6_4623 Depth=2
	s_or_b32 exec_lo, exec_lo, s41
	s_delay_alu instid0(SALU_CYCLE_1)
	s_and_b32 s40, s40, exec_lo
                                        ; implicit-def: $vgpr3
	s_or_saveexec_b32 s11, s11
	v_bfrev_b32_e32 v5, 1
	s_xor_b32 exec_lo, exec_lo, s11
	s_cbranch_execz .LBB6_5519
.LBB6_5677:                             ;   in Loop: Header=BB6_4623 Depth=2
	v_cmp_ne_u16_e32 vcc_lo, 0, v3
	v_mov_b32_e32 v5, 0
	s_and_not1_b32 s40, s40, exec_lo
	s_and_b32 s41, vcc_lo, exec_lo
	s_delay_alu instid0(SALU_CYCLE_1)
	s_or_b32 s40, s40, s41
	s_or_b32 exec_lo, exec_lo, s11
	v_mov_b32_e32 v3, v1
	s_and_saveexec_b32 s11, s40
	s_cbranch_execnz .LBB6_5520
	s_branch .LBB6_5521
.LBB6_5678:                             ;   in Loop: Header=BB6_4623 Depth=2
	s_mov_b32 s40, -1
	s_mov_b32 s41, exec_lo
	v_cmpx_eq_u16_e32 0x80, v4
; %bb.5679:                             ;   in Loop: Header=BB6_4623 Depth=2
	s_xor_b32 s40, exec_lo, -1
; %bb.5680:                             ;   in Loop: Header=BB6_4623 Depth=2
	s_or_b32 exec_lo, exec_lo, s41
	s_delay_alu instid0(SALU_CYCLE_1)
	s_and_b32 s40, s40, exec_lo
	s_or_saveexec_b32 s11, s11
	v_bfrev_b32_e32 v5, 1
	s_xor_b32 exec_lo, exec_lo, s11
	s_cbranch_execz .LBB6_5553
.LBB6_5681:                             ;   in Loop: Header=BB6_4623 Depth=2
	v_cmp_ne_u16_e32 vcc_lo, 0, v4
	v_mov_b32_e32 v5, 0
	s_and_not1_b32 s40, s40, exec_lo
	s_and_b32 s41, vcc_lo, exec_lo
	s_delay_alu instid0(SALU_CYCLE_1)
	s_or_b32 s40, s40, s41
	s_or_b32 exec_lo, exec_lo, s11
	s_and_saveexec_b32 s11, s40
	s_cbranch_execnz .LBB6_5554
	s_branch .LBB6_5555
.LBB6_5682:                             ;   in Loop: Header=BB6_4623 Depth=2
	s_mov_b32 s40, -1
	s_mov_b32 s41, exec_lo
	v_cmpx_eq_u16_e32 0x80, v5
; %bb.5683:                             ;   in Loop: Header=BB6_4623 Depth=2
	s_xor_b32 s40, exec_lo, -1
; %bb.5684:                             ;   in Loop: Header=BB6_4623 Depth=2
	s_or_b32 exec_lo, exec_lo, s41
	s_delay_alu instid0(SALU_CYCLE_1)
	s_and_b32 s40, s40, exec_lo
                                        ; implicit-def: $vgpr5
	s_or_saveexec_b32 s11, s11
	v_bfrev_b32_e32 v4, 1
	s_xor_b32 exec_lo, exec_lo, s11
	s_cbranch_execz .LBB6_5587
.LBB6_5685:                             ;   in Loop: Header=BB6_4623 Depth=2
	v_cmp_ne_u16_e32 vcc_lo, 0, v5
	v_mov_b32_e32 v4, 0
	s_and_not1_b32 s40, s40, exec_lo
	s_and_b32 s41, vcc_lo, exec_lo
	s_delay_alu instid0(SALU_CYCLE_1)
	s_or_b32 s40, s40, s41
	s_or_b32 exec_lo, exec_lo, s11
	s_and_saveexec_b32 s11, s40
	s_cbranch_execnz .LBB6_5588
	s_branch .LBB6_5589
.LBB6_5686:                             ;   in Loop: Header=BB6_49 Depth=1
	s_or_b32 exec_lo, exec_lo, s27
.LBB6_5687:                             ;   in Loop: Header=BB6_49 Depth=1
	s_delay_alu instid0(SALU_CYCLE_1)
	s_or_b32 exec_lo, exec_lo, s26
	scratch_load_b64 v[4:5], off, s33 offset:276 ; 8-byte Folded Reload
	v_cmp_lt_i32_e32 vcc_lo, 0, v20
	v_and_b32_e32 v0, 15, v115
	v_and_b32_e32 v2, 0x1f0, v115
	s_wait_loadcnt 0x0
	v_cndmask_b32_e32 v3, 0, v4, vcc_lo
	s_delay_alu instid0(VALU_DEP_2) | instskip(NEXT) | instid1(VALU_DEP_2)
	v_dual_cndmask_b32 v4, v9, v0, s10 :: v_dual_cndmask_b32 v0, 0, v2, s10
	v_sub_nc_u32_e32 v2, v3, v20
	s_delay_alu instid0(VALU_DEP_2) | instskip(NEXT) | instid1(VALU_DEP_3)
	v_cmp_ne_u32_e32 vcc_lo, 0, v4
	v_and_or_b32 v10, 0x3ffffe00, v115, v0
	s_delay_alu instid0(VALU_DEP_3)
	v_lshl_add_u32 v5, v2, 5, v8
	s_and_b32 s10, vcc_lo, exec_lo
.LBB6_5688:                             ;   in Loop: Header=BB6_49 Depth=1
	s_wait_xcnt 0x0
	s_or_b32 exec_lo, exec_lo, s25
	s_and_saveexec_b32 s25, s10
	s_cbranch_execz .LBB6_8287
.LBB6_5689:                             ;   in Loop: Header=BB6_49 Depth=1
	s_wait_loadcnt 0x0
	v_dual_ashrrev_i32 v0, 31, v5 :: v_dual_lshrrev_b32 v2, 10, v4
	s_mov_b32 s26, exec_lo
	s_delay_alu instid0(VALU_DEP_1) | instskip(NEXT) | instid1(VALU_DEP_1)
	v_lshrrev_b32_e32 v0, 27, v0
	v_add_nc_u32_e32 v0, v5, v0
	s_delay_alu instid0(VALU_DEP_1) | instskip(NEXT) | instid1(VALU_DEP_1)
	v_ashrrev_i32_e32 v6, 5, v0
	v_sub_nc_u32_e32 v126, v2, v6
	s_delay_alu instid0(VALU_DEP_1)
	v_cmpx_lt_i32_e32 0, v126
	s_cbranch_execz .LBB6_8197
; %bb.5690:                             ;   in Loop: Header=BB6_49 Depth=1
	scratch_store_b32 off, v4, s33 offset:348 ; 4-byte Folded Spill
	v_and_b32_e32 v0, 0xffffffe0, v0
	s_trap 2
	s_clause 0x2
	scratch_store_b32 off, v6, s33 offset:356
	scratch_store_b32 off, v5, s33 offset:352
	;; [unrolled: 1-line block ×3, first 2 shown]
	s_wait_xcnt 0x3
	v_lshlrev_b32_e32 v4, 10, v6
	s_wait_xcnt 0x2
	v_add_nc_u64_e32 v[6:7], 0x3e0, v[100:101]
	scratch_load_b64 v[100:101], off, s33 offset:332 ; 8-byte Folded Reload
	ds_load_b64 v[2:3], v0
	v_sub_nc_u32_e32 v0, v5, v0
	s_mov_b32 s27, 0
	s_delay_alu instid0(VALU_DEP_1) | instskip(SKIP_1) | instid1(VALU_DEP_1)
	v_add3_u32 v4, v10, v0, v4
	s_wait_xcnt 0x2
	v_ashrrev_i32_e32 v5, 31, v4
	s_wait_xcnt 0x1
	s_delay_alu instid0(VALU_DEP_1)
	v_add_nc_u64_e32 v[10:11], v[4:5], v[98:99]
	v_add_nc_u64_e32 v[14:15], v[6:7], v[4:5]
	s_wait_dscnt 0x0
	v_add_nc_u64_e32 v[12:13], v[2:3], v[4:5]
	s_branch .LBB6_5693
.LBB6_5691:                             ;   in Loop: Header=BB6_5693 Depth=2
	s_or_b32 exec_lo, exec_lo, s11
.LBB6_5692:                             ;   in Loop: Header=BB6_5693 Depth=2
	s_delay_alu instid0(SALU_CYCLE_1)
	s_or_b32 exec_lo, exec_lo, s10
	s_clause 0x17
	flat_store_b8 v[14:15], v53 offset:-992 th:TH_STORE_NT
	flat_store_b8 v[14:15], v30 offset:-960 th:TH_STORE_NT
	;; [unrolled: 1-line block ×24, first 2 shown]
	scratch_load_b64 v[4:5], off, s33 offset:276 ; 8-byte Folded Reload
	s_clause 0x7
	flat_store_b8 v[14:15], v7 offset:-224 th:TH_STORE_NT
	flat_store_b8 v[14:15], v34 offset:-192 th:TH_STORE_NT
	;; [unrolled: 1-line block ×7, first 2 shown]
	flat_store_b8 v[14:15], v3 th:TH_STORE_NT
	v_add_nc_u64_e32 v[10:11], v[10:11], v[100:101]
	v_add_nc_u64_e32 v[12:13], v[12:13], v[100:101]
	s_wait_xcnt 0x0
	v_add_nc_u64_e32 v[14:15], v[14:15], v[100:101]
	s_wait_loadcnt 0x0
	v_sub_nc_u32_e32 v126, v126, v4
	s_delay_alu instid0(VALU_DEP_1) | instskip(SKIP_1) | instid1(SALU_CYCLE_1)
	v_cmp_gt_i32_e32 vcc_lo, 1, v126
	s_or_b32 s27, vcc_lo, s27
	s_and_not1_b32 exec_lo, exec_lo, s27
	s_cbranch_execz .LBB6_8196
.LBB6_5693:                             ;   Parent Loop BB6_49 Depth=1
                                        ; =>  This Inner Loop Header: Depth=2
	s_trap 2
	ds_load_b64 v[2:3], v0
	s_mov_b32 s28, 0
	s_wait_dscnt 0x0
	v_and_b32_e32 v0, 0xff, v2
	v_readfirstlane_b32 s10, v2
	v_readfirstlane_b32 s11, v3
	s_delay_alu instid0(VALU_DEP_3)
	v_cmp_eq_u32_e32 vcc_lo, 0, v0
	s_cbranch_vccnz .LBB6_5701
; %bb.5694:                             ;   in Loop: Header=BB6_5693 Depth=2
	s_bfe_i32 s40, s10, 0x80000
	s_delay_alu instid0(SALU_CYCLE_1) | instskip(NEXT) | instid1(SALU_CYCLE_1)
	s_and_b32 s28, 0xffff, s40
	s_cmp_eq_u32 s28, 0xff80
	s_brev_b32 s28, 1
	s_cbranch_scc1 .LBB6_5701
; %bb.5695:                             ;   in Loop: Header=BB6_5693 Depth=2
	s_and_b32 s28, s10, 0x7c
	s_and_b32 s29, s10, 3
	s_mov_b32 s41, -1
	s_cmp_lg_u32 s28, 0x7c
	s_sext_i32_i16 s40, s40
                                        ; implicit-def: $sgpr28
	s_cbranch_scc0 .LBB6_5699
; %bb.5696:                             ;   in Loop: Header=BB6_5693 Depth=2
	s_bfe_u32 s28, s10, 0x50002
	s_mov_b32 s41, s29
	s_cmp_lg_u32 s28, 0
	s_cbranch_scc1 .LBB6_5698
; %bb.5697:                             ;   in Loop: Header=BB6_5693 Depth=2
	s_clz_i32_u32 s28, s29
	s_delay_alu instid0(SALU_CYCLE_1) | instskip(NEXT) | instid1(SALU_CYCLE_1)
	s_min_u32 s28, s28, 32
	s_sub_co_i32 s41, s28, 29
	s_sub_co_i32 s28, 30, s28
	s_lshl_b64 s[10:11], s[10:11], s41
	s_delay_alu instid0(SALU_CYCLE_1)
	s_and_b32 s41, s10, 3
.LBB6_5698:                             ;   in Loop: Header=BB6_5693 Depth=2
	s_and_b32 s10, s40, 0x80000000
	s_lshl_b32 s11, s28, 23
	s_lshl_b32 s28, s41, 21
	s_add_co_i32 s11, s11, s10
	s_mov_b32 s41, 0
	s_or_b32 s10, s11, s28
	s_delay_alu instid0(SALU_CYCLE_1)
	s_add_co_i32 s28, s10, 0x38000000
.LBB6_5699:                             ;   in Loop: Header=BB6_5693 Depth=2
	s_and_b32 vcc_lo, exec_lo, s41
	s_cbranch_vccz .LBB6_5701
; %bb.5700:                             ;   in Loop: Header=BB6_5693 Depth=2
	s_cmp_gt_i32 s40, -1
	s_cselect_b32 s10, s22, 0xff800000
	s_cmp_eq_u32 s29, 0
	s_cselect_b32 s28, s10, 0x7f800001
.LBB6_5701:                             ;   in Loop: Header=BB6_5693 Depth=2
	flat_load_i8 v2, v[10:11] th:TH_LOAD_NT
	v_mov_b32_e32 v3, 0
	s_mov_b32 s10, exec_lo
	s_wait_loadcnt_dscnt 0x0
	s_wait_xcnt 0x0
	v_cmpx_ne_u16_e32 0, v2
	s_cbranch_execz .LBB6_5711
; %bb.5702:                             ;   in Loop: Header=BB6_5693 Depth=2
	v_bfrev_b32_e32 v3, 1
	s_mov_b32 s11, exec_lo
	v_cmpx_ne_u16_e32 0xff80, v2
	s_cbranch_execz .LBB6_5710
; %bb.5703:                             ;   in Loop: Header=BB6_5693 Depth=2
	v_and_b32_e32 v3, 0x7c, v2
	v_and_b32_e32 v0, 3, v2
	s_delay_alu instid0(VALU_DEP_2) | instskip(SKIP_1) | instid1(SALU_CYCLE_1)
	v_cmp_ne_u32_e32 vcc_lo, 0x7c, v3
                                        ; implicit-def: $vgpr3
	s_and_saveexec_b32 s29, vcc_lo
	s_xor_b32 s29, exec_lo, s29
	s_cbranch_execz .LBB6_5707
; %bb.5704:                             ;   in Loop: Header=BB6_5693 Depth=2
	v_and_b32_e32 v3, 0xff, v2
	s_mov_b32 s40, exec_lo
	s_delay_alu instid0(VALU_DEP_1) | instskip(NEXT) | instid1(VALU_DEP_1)
	v_bfe_u32 v3, v3, 2, 5
	v_cmpx_eq_u32_e32 0, v3
	s_cbranch_execz .LBB6_5706
; %bb.5705:                             ;   in Loop: Header=BB6_5693 Depth=2
	v_clz_i32_u32_e32 v0, v0
	v_mov_b32_e32 v3, v1
	s_delay_alu instid0(VALU_DEP_2) | instskip(NEXT) | instid1(VALU_DEP_1)
	v_min_u32_e32 v0, 32, v0
	v_subrev_nc_u32_e32 v4, 29, v0
	s_delay_alu instid0(VALU_DEP_1) | instskip(SKIP_1) | instid1(VALU_DEP_2)
	v_lshlrev_b64_e32 v[4:5], v4, v[2:3]
	v_sub_nc_u32_e32 v3, 30, v0
	v_and_b32_e32 v0, 3, v4
.LBB6_5706:                             ;   in Loop: Header=BB6_5693 Depth=2
	s_or_b32 exec_lo, exec_lo, s40
	v_bfe_i32 v2, v2, 0, 16
	s_delay_alu instid0(VALU_DEP_1) | instskip(NEXT) | instid1(VALU_DEP_1)
	v_and_b32_e32 v2, 0x80000000, v2
	v_lshl_add_u32 v2, v3, 23, v2
	s_delay_alu instid0(VALU_DEP_1) | instskip(NEXT) | instid1(VALU_DEP_1)
	v_lshl_or_b32 v0, v0, 21, v2
                                        ; implicit-def: $vgpr2
	v_add_nc_u32_e32 v3, 0x38000000, v0
                                        ; implicit-def: $vgpr0
.LBB6_5707:                             ;   in Loop: Header=BB6_5693 Depth=2
	s_and_not1_saveexec_b32 s29, s29
; %bb.5708:                             ;   in Loop: Header=BB6_5693 Depth=2
	v_cmp_lt_i16_e32 vcc_lo, -1, v2
	v_mov_b32_e32 v2, 0x7f800000
	s_delay_alu instid0(VALU_DEP_1) | instskip(SKIP_1) | instid1(VALU_DEP_2)
	v_cndmask_b32_e32 v2, 0xff800000, v2, vcc_lo
	v_cmp_eq_u32_e32 vcc_lo, 0, v0
	v_cndmask_b32_e32 v3, 0x7f800001, v2, vcc_lo
; %bb.5709:                             ;   in Loop: Header=BB6_5693 Depth=2
	s_or_b32 exec_lo, exec_lo, s29
.LBB6_5710:                             ;   in Loop: Header=BB6_5693 Depth=2
	s_delay_alu instid0(SALU_CYCLE_1)
	s_or_b32 exec_lo, exec_lo, s11
.LBB6_5711:                             ;   in Loop: Header=BB6_5693 Depth=2
	s_delay_alu instid0(SALU_CYCLE_1) | instskip(NEXT) | instid1(VALU_DEP_1)
	s_or_b32 exec_lo, exec_lo, s10
	v_dual_mul_f32 v2, s28, v3 :: v_dual_mov_b32 v5, v1
                                        ; implicit-def: $vgpr52
	s_mov_b32 s10, exec_lo
	s_delay_alu instid0(VALU_DEP_1) | instskip(SKIP_1) | instid1(VALU_DEP_2)
	v_and_b32_e32 v4, 0x7f800000, v2
	v_and_b32_e32 v0, 0x7fffff, v2
	v_cmpx_ne_u64_e32 0x7f800000, v[4:5]
	s_xor_b32 s11, exec_lo, s10
	s_cbranch_execz .LBB6_5729
; %bb.5712:                             ;   in Loop: Header=BB6_5693 Depth=2
	v_dual_mov_b32 v5, v1 :: v_dual_lshrrev_b32 v3, 24, v2
	v_and_b32_e32 v4, 0x7fffffff, v2
                                        ; implicit-def: $vgpr52
	s_mov_b32 s10, exec_lo
	s_delay_alu instid0(VALU_DEP_2) | instskip(NEXT) | instid1(VALU_DEP_2)
	v_and_b32_e32 v6, 0x80, v3
	v_cmpx_gt_u64_e32 0x47600001, v[4:5]
	s_xor_b32 s29, exec_lo, s10
	s_cbranch_execz .LBB6_5726
; %bb.5713:                             ;   in Loop: Header=BB6_5693 Depth=2
	v_mov_b32_e32 v52, 0
	s_mov_b32 s40, exec_lo
	v_cmpx_ne_u32_e32 0, v2
	s_cbranch_execz .LBB6_5725
; %bb.5714:                             ;   in Loop: Header=BB6_5693 Depth=2
	v_bfe_u32 v7, v2, 23, 8
	v_or_b32_e32 v4, 0x800000, v0
	s_mov_b32 s41, exec_lo
	s_delay_alu instid0(VALU_DEP_2) | instskip(SKIP_1) | instid1(VALU_DEP_2)
	v_dual_mov_b32 v5, v1 :: v_dual_sub_nc_u32 v2, 0x71, v7
	v_cmp_gt_u32_e32 vcc_lo, 0x72, v7
	v_cndmask_b32_e32 v2, 0, v2, vcc_lo
	v_cmp_eq_u32_e32 vcc_lo, 0, v7
	s_delay_alu instid0(VALU_DEP_2) | instskip(SKIP_1) | instid1(VALU_DEP_2)
	v_cndmask_b32_e64 v8, v2, 0x70, vcc_lo
	v_cndmask_b32_e32 v4, v4, v0, vcc_lo
	v_dual_add_nc_u32 v2, 21, v8 :: v_dual_add_nc_u32 v9, 20, v8
	s_delay_alu instid0(VALU_DEP_1) | instskip(NEXT) | instid1(VALU_DEP_2)
	v_lshlrev_b64_e64 v[2:3], v2, -1
	v_lshlrev_b64_e64 v[16:17], v9, 1
	s_delay_alu instid0(VALU_DEP_2) | instskip(NEXT) | instid1(VALU_DEP_3)
	v_bfi_b32 v19, v3, 0, 0
	v_bfi_b32 v18, v2, 0, v4
	v_lshrrev_b64 v[2:3], v8, v[4:5]
	s_delay_alu instid0(VALU_DEP_1) | instskip(NEXT) | instid1(VALU_DEP_3)
	v_mov_b64_e32 v[4:5], v[2:3]
	v_cmpx_eq_u64_e64 v[18:19], v[16:17]
; %bb.5715:                             ;   in Loop: Header=BB6_5693 Depth=2
	v_bfe_u32 v4, v2, 21, 1
	v_mov_b32_e32 v5, v1
	s_delay_alu instid0(VALU_DEP_1) | instskip(NEXT) | instid1(VALU_DEP_1)
	v_add_nc_u64_e32 v[4:5], v[2:3], v[4:5]
	v_add_nc_u64_e32 v[4:5], -1, v[4:5]
; %bb.5716:                             ;   in Loop: Header=BB6_5693 Depth=2
	s_or_b32 exec_lo, exec_lo, s41
	v_add_nc_u32_e32 v0, 0xffffff81, v7
	s_delay_alu instid0(VALU_DEP_2) | instskip(SKIP_2) | instid1(VALU_DEP_3)
	v_and_b32_e32 v4, 0x1fffff, v4
	v_lshrrev_b32_e32 v3, 23, v2
	s_mov_b32 s10, exec_lo
	v_cndmask_b32_e64 v0, v0, 0xffffff82, vcc_lo
	s_delay_alu instid0(VALU_DEP_1) | instskip(SKIP_1) | instid1(VALU_DEP_2)
	v_add3_u32 v5, v8, v0, v3
	v_add_nc_u32_e32 v0, v4, v2
                                        ; implicit-def: $vgpr2_vgpr3
                                        ; implicit-def: $vgpr4
	v_add_nc_u32_e32 v7, 14, v5
	s_delay_alu instid0(VALU_DEP_1)
	v_cmpx_ne_u32_e32 0, v7
	s_xor_b32 s10, exec_lo, s10
; %bb.5717:                             ;   in Loop: Header=BB6_5693 Depth=2
	s_delay_alu instid0(VALU_DEP_3) | instskip(SKIP_1) | instid1(VALU_DEP_1)
	v_cmp_lt_u64_e32 vcc_lo, 0xffffff, v[0:1]
	v_add_nc_u32_e32 v2, 15, v5
	v_cndmask_b32_e32 v4, v7, v2, vcc_lo
	v_cndmask_b32_e64 v2, 0, 1, vcc_lo
	s_delay_alu instid0(VALU_DEP_1)
	v_lshrrev_b64 v[2:3], v2, v[0:1]
; %bb.5718:                             ;   in Loop: Header=BB6_5693 Depth=2
	s_and_not1_saveexec_b32 s10, s10
; %bb.5719:                             ;   in Loop: Header=BB6_5693 Depth=2
	v_mov_b64_e32 v[2:3], v[0:1]
	v_bfe_u32 v4, v0, 23, 1
; %bb.5720:                             ;   in Loop: Header=BB6_5693 Depth=2
	s_or_b32 exec_lo, exec_lo, s10
	s_delay_alu instid0(VALU_DEP_2) | instskip(NEXT) | instid1(VALU_DEP_2)
	v_lshrrev_b64 v[2:3], 21, v[2:3]
	v_cmp_gt_i32_e32 vcc_lo, 32, v4
	v_cmp_ne_u32_e64 s10, 0, v4
                                        ; implicit-def: $vgpr52
	s_delay_alu instid0(VALU_DEP_3) | instskip(NEXT) | instid1(VALU_DEP_1)
	v_dual_cndmask_b32 v3, 0, v3 :: v_dual_cndmask_b32 v2, 3, v2
	v_cmp_ne_u64_e32 vcc_lo, 0, v[2:3]
	s_or_b32 s10, s10, vcc_lo
	s_delay_alu instid0(SALU_CYCLE_1) | instskip(NEXT) | instid1(SALU_CYCLE_1)
	s_and_saveexec_b32 s41, s10
	s_xor_b32 s10, exec_lo, s41
; %bb.5721:                             ;   in Loop: Header=BB6_5693 Depth=2
	v_min_i32_e32 v0, 31, v4
	s_delay_alu instid0(VALU_DEP_1) | instskip(NEXT) | instid1(VALU_DEP_1)
	v_lshl_or_b32 v0, v0, 2, v6
                                        ; implicit-def: $vgpr6
	v_and_or_b32 v52, v2, 3, v0
; %bb.5722:                             ;   in Loop: Header=BB6_5693 Depth=2
	s_and_not1_saveexec_b32 s10, s10
; %bb.5723:                             ;   in Loop: Header=BB6_5693 Depth=2
	v_mov_b32_e32 v52, v6
; %bb.5724:                             ;   in Loop: Header=BB6_5693 Depth=2
	s_or_b32 exec_lo, exec_lo, s10
.LBB6_5725:                             ;   in Loop: Header=BB6_5693 Depth=2
	s_delay_alu instid0(SALU_CYCLE_1)
	s_or_b32 exec_lo, exec_lo, s40
                                        ; implicit-def: $vgpr6
.LBB6_5726:                             ;   in Loop: Header=BB6_5693 Depth=2
	s_and_not1_saveexec_b32 s10, s29
; %bb.5727:                             ;   in Loop: Header=BB6_5693 Depth=2
	v_or_b32_e32 v52, 0x7b, v6
; %bb.5728:                             ;   in Loop: Header=BB6_5693 Depth=2
	s_or_b32 exec_lo, exec_lo, s10
                                        ; implicit-def: $vgpr2
.LBB6_5729:                             ;   in Loop: Header=BB6_5693 Depth=2
	s_and_not1_saveexec_b32 s10, s11
	s_cbranch_execz .LBB6_5735
; %bb.5730:                             ;   in Loop: Header=BB6_5693 Depth=2
	s_mov_b32 s11, exec_lo
                                        ; implicit-def: $vgpr52
	v_cmpx_ne_u64_e32 0, v[0:1]
	s_xor_b32 s11, exec_lo, s11
; %bb.5731:                             ;   in Loop: Header=BB6_5693 Depth=2
	v_lshrrev_b32_e32 v0, 24, v2
                                        ; implicit-def: $vgpr2
	s_delay_alu instid0(VALU_DEP_1)
	v_or_b32_e32 v52, 0x7f, v0
; %bb.5732:                             ;   in Loop: Header=BB6_5693 Depth=2
	s_and_not1_saveexec_b32 s11, s11
; %bb.5733:                             ;   in Loop: Header=BB6_5693 Depth=2
	v_cmp_lt_i32_e32 vcc_lo, -1, v2
	v_cndmask_b32_e64 v52, -4, 0x7c, vcc_lo
; %bb.5734:                             ;   in Loop: Header=BB6_5693 Depth=2
	s_or_b32 exec_lo, exec_lo, s11
.LBB6_5735:                             ;   in Loop: Header=BB6_5693 Depth=2
	s_delay_alu instid0(SALU_CYCLE_1)
	s_or_b32 exec_lo, exec_lo, s10
	flat_load_i8 v2, v[10:11] offset:32 th:TH_LOAD_NT
	v_mov_b32_e32 v3, 0
	s_mov_b32 s10, exec_lo
	s_wait_loadcnt_dscnt 0x0
	v_cmpx_ne_u16_e32 0, v2
	s_cbranch_execz .LBB6_5745
; %bb.5736:                             ;   in Loop: Header=BB6_5693 Depth=2
	v_bfrev_b32_e32 v3, 1
	s_mov_b32 s11, exec_lo
	v_cmpx_ne_u16_e32 0xff80, v2
	s_cbranch_execz .LBB6_5744
; %bb.5737:                             ;   in Loop: Header=BB6_5693 Depth=2
	v_and_b32_e32 v3, 0x7c, v2
	v_and_b32_e32 v0, 3, v2
	s_delay_alu instid0(VALU_DEP_2) | instskip(SKIP_1) | instid1(SALU_CYCLE_1)
	v_cmp_ne_u32_e32 vcc_lo, 0x7c, v3
                                        ; implicit-def: $vgpr3
	s_and_saveexec_b32 s29, vcc_lo
	s_xor_b32 s29, exec_lo, s29
	s_cbranch_execz .LBB6_5741
; %bb.5738:                             ;   in Loop: Header=BB6_5693 Depth=2
	v_and_b32_e32 v3, 0xff, v2
	s_mov_b32 s40, exec_lo
	s_delay_alu instid0(VALU_DEP_1) | instskip(NEXT) | instid1(VALU_DEP_1)
	v_bfe_u32 v3, v3, 2, 5
	v_cmpx_eq_u32_e32 0, v3
	s_cbranch_execz .LBB6_5740
; %bb.5739:                             ;   in Loop: Header=BB6_5693 Depth=2
	v_clz_i32_u32_e32 v0, v0
	v_mov_b32_e32 v3, v1
	s_delay_alu instid0(VALU_DEP_2) | instskip(NEXT) | instid1(VALU_DEP_1)
	v_min_u32_e32 v0, 32, v0
	v_subrev_nc_u32_e32 v4, 29, v0
	s_delay_alu instid0(VALU_DEP_1) | instskip(SKIP_1) | instid1(VALU_DEP_2)
	v_lshlrev_b64_e32 v[4:5], v4, v[2:3]
	v_sub_nc_u32_e32 v3, 30, v0
	v_and_b32_e32 v0, 3, v4
.LBB6_5740:                             ;   in Loop: Header=BB6_5693 Depth=2
	s_or_b32 exec_lo, exec_lo, s40
	v_bfe_i32 v2, v2, 0, 16
	s_delay_alu instid0(VALU_DEP_1) | instskip(NEXT) | instid1(VALU_DEP_1)
	v_and_b32_e32 v2, 0x80000000, v2
	v_lshl_add_u32 v2, v3, 23, v2
	s_delay_alu instid0(VALU_DEP_1) | instskip(NEXT) | instid1(VALU_DEP_1)
	v_lshl_or_b32 v0, v0, 21, v2
                                        ; implicit-def: $vgpr2
	v_add_nc_u32_e32 v3, 0x38000000, v0
                                        ; implicit-def: $vgpr0
.LBB6_5741:                             ;   in Loop: Header=BB6_5693 Depth=2
	s_and_not1_saveexec_b32 s29, s29
; %bb.5742:                             ;   in Loop: Header=BB6_5693 Depth=2
	v_cmp_lt_i16_e32 vcc_lo, -1, v2
	v_mov_b32_e32 v2, 0x7f800000
	s_delay_alu instid0(VALU_DEP_1) | instskip(SKIP_1) | instid1(VALU_DEP_2)
	v_cndmask_b32_e32 v2, 0xff800000, v2, vcc_lo
	v_cmp_eq_u32_e32 vcc_lo, 0, v0
	v_cndmask_b32_e32 v3, 0x7f800001, v2, vcc_lo
; %bb.5743:                             ;   in Loop: Header=BB6_5693 Depth=2
	s_or_b32 exec_lo, exec_lo, s29
.LBB6_5744:                             ;   in Loop: Header=BB6_5693 Depth=2
	s_delay_alu instid0(SALU_CYCLE_1)
	s_or_b32 exec_lo, exec_lo, s11
.LBB6_5745:                             ;   in Loop: Header=BB6_5693 Depth=2
	s_delay_alu instid0(SALU_CYCLE_1) | instskip(NEXT) | instid1(VALU_DEP_1)
	s_or_b32 exec_lo, exec_lo, s10
	v_dual_mul_f32 v2, s28, v3 :: v_dual_mov_b32 v5, v1
                                        ; implicit-def: $vgpr30
	s_mov_b32 s10, exec_lo
	s_delay_alu instid0(VALU_DEP_1) | instskip(SKIP_1) | instid1(VALU_DEP_2)
	v_and_b32_e32 v4, 0x7f800000, v2
	v_and_b32_e32 v0, 0x7fffff, v2
	v_cmpx_ne_u64_e32 0x7f800000, v[4:5]
	s_xor_b32 s11, exec_lo, s10
	s_cbranch_execz .LBB6_5763
; %bb.5746:                             ;   in Loop: Header=BB6_5693 Depth=2
	v_dual_mov_b32 v5, v1 :: v_dual_lshrrev_b32 v3, 24, v2
	v_and_b32_e32 v4, 0x7fffffff, v2
                                        ; implicit-def: $vgpr30
	s_mov_b32 s10, exec_lo
	s_delay_alu instid0(VALU_DEP_2) | instskip(NEXT) | instid1(VALU_DEP_2)
	v_and_b32_e32 v6, 0x80, v3
	v_cmpx_gt_u64_e32 0x47600001, v[4:5]
	s_xor_b32 s29, exec_lo, s10
	s_cbranch_execz .LBB6_5760
; %bb.5747:                             ;   in Loop: Header=BB6_5693 Depth=2
	v_mov_b32_e32 v30, 0
	s_mov_b32 s40, exec_lo
	v_cmpx_ne_u32_e32 0, v2
	s_cbranch_execz .LBB6_5759
; %bb.5748:                             ;   in Loop: Header=BB6_5693 Depth=2
	v_bfe_u32 v7, v2, 23, 8
	v_or_b32_e32 v4, 0x800000, v0
	s_mov_b32 s41, exec_lo
	s_delay_alu instid0(VALU_DEP_2) | instskip(SKIP_1) | instid1(VALU_DEP_2)
	v_dual_mov_b32 v5, v1 :: v_dual_sub_nc_u32 v2, 0x71, v7
	v_cmp_gt_u32_e32 vcc_lo, 0x72, v7
	v_cndmask_b32_e32 v2, 0, v2, vcc_lo
	v_cmp_eq_u32_e32 vcc_lo, 0, v7
	s_delay_alu instid0(VALU_DEP_2) | instskip(SKIP_1) | instid1(VALU_DEP_2)
	v_cndmask_b32_e64 v8, v2, 0x70, vcc_lo
	v_cndmask_b32_e32 v4, v4, v0, vcc_lo
	v_dual_add_nc_u32 v2, 21, v8 :: v_dual_add_nc_u32 v9, 20, v8
	s_delay_alu instid0(VALU_DEP_1) | instskip(NEXT) | instid1(VALU_DEP_2)
	v_lshlrev_b64_e64 v[2:3], v2, -1
	v_lshlrev_b64_e64 v[16:17], v9, 1
	s_delay_alu instid0(VALU_DEP_2) | instskip(NEXT) | instid1(VALU_DEP_3)
	v_bfi_b32 v19, v3, 0, 0
	v_bfi_b32 v18, v2, 0, v4
	v_lshrrev_b64 v[2:3], v8, v[4:5]
	s_delay_alu instid0(VALU_DEP_1) | instskip(NEXT) | instid1(VALU_DEP_3)
	v_mov_b64_e32 v[4:5], v[2:3]
	v_cmpx_eq_u64_e64 v[18:19], v[16:17]
; %bb.5749:                             ;   in Loop: Header=BB6_5693 Depth=2
	v_bfe_u32 v4, v2, 21, 1
	v_mov_b32_e32 v5, v1
	s_delay_alu instid0(VALU_DEP_1) | instskip(NEXT) | instid1(VALU_DEP_1)
	v_add_nc_u64_e32 v[4:5], v[2:3], v[4:5]
	v_add_nc_u64_e32 v[4:5], -1, v[4:5]
; %bb.5750:                             ;   in Loop: Header=BB6_5693 Depth=2
	s_or_b32 exec_lo, exec_lo, s41
	v_add_nc_u32_e32 v0, 0xffffff81, v7
	s_delay_alu instid0(VALU_DEP_2) | instskip(SKIP_2) | instid1(VALU_DEP_3)
	v_and_b32_e32 v4, 0x1fffff, v4
	v_lshrrev_b32_e32 v3, 23, v2
	s_mov_b32 s10, exec_lo
	v_cndmask_b32_e64 v0, v0, 0xffffff82, vcc_lo
	s_delay_alu instid0(VALU_DEP_1) | instskip(SKIP_1) | instid1(VALU_DEP_2)
	v_add3_u32 v5, v8, v0, v3
	v_add_nc_u32_e32 v0, v4, v2
                                        ; implicit-def: $vgpr2_vgpr3
                                        ; implicit-def: $vgpr4
	v_add_nc_u32_e32 v7, 14, v5
	s_delay_alu instid0(VALU_DEP_1)
	v_cmpx_ne_u32_e32 0, v7
	s_xor_b32 s10, exec_lo, s10
; %bb.5751:                             ;   in Loop: Header=BB6_5693 Depth=2
	s_delay_alu instid0(VALU_DEP_3) | instskip(SKIP_1) | instid1(VALU_DEP_1)
	v_cmp_lt_u64_e32 vcc_lo, 0xffffff, v[0:1]
	v_add_nc_u32_e32 v2, 15, v5
	v_cndmask_b32_e32 v4, v7, v2, vcc_lo
	v_cndmask_b32_e64 v2, 0, 1, vcc_lo
	s_delay_alu instid0(VALU_DEP_1)
	v_lshrrev_b64 v[2:3], v2, v[0:1]
; %bb.5752:                             ;   in Loop: Header=BB6_5693 Depth=2
	s_and_not1_saveexec_b32 s10, s10
; %bb.5753:                             ;   in Loop: Header=BB6_5693 Depth=2
	v_mov_b64_e32 v[2:3], v[0:1]
	v_bfe_u32 v4, v0, 23, 1
; %bb.5754:                             ;   in Loop: Header=BB6_5693 Depth=2
	s_or_b32 exec_lo, exec_lo, s10
	s_delay_alu instid0(VALU_DEP_2) | instskip(NEXT) | instid1(VALU_DEP_2)
	v_lshrrev_b64 v[2:3], 21, v[2:3]
	v_cmp_gt_i32_e32 vcc_lo, 32, v4
	v_cmp_ne_u32_e64 s10, 0, v4
                                        ; implicit-def: $vgpr30
	s_delay_alu instid0(VALU_DEP_3) | instskip(NEXT) | instid1(VALU_DEP_1)
	v_dual_cndmask_b32 v3, 0, v3 :: v_dual_cndmask_b32 v2, 3, v2
	v_cmp_ne_u64_e32 vcc_lo, 0, v[2:3]
	s_or_b32 s10, s10, vcc_lo
	s_delay_alu instid0(SALU_CYCLE_1) | instskip(NEXT) | instid1(SALU_CYCLE_1)
	s_and_saveexec_b32 s41, s10
	s_xor_b32 s10, exec_lo, s41
; %bb.5755:                             ;   in Loop: Header=BB6_5693 Depth=2
	v_min_i32_e32 v0, 31, v4
	s_delay_alu instid0(VALU_DEP_1) | instskip(NEXT) | instid1(VALU_DEP_1)
	v_lshl_or_b32 v0, v0, 2, v6
                                        ; implicit-def: $vgpr6
	v_and_or_b32 v30, v2, 3, v0
; %bb.5756:                             ;   in Loop: Header=BB6_5693 Depth=2
	s_and_not1_saveexec_b32 s10, s10
; %bb.5757:                             ;   in Loop: Header=BB6_5693 Depth=2
	v_mov_b32_e32 v30, v6
; %bb.5758:                             ;   in Loop: Header=BB6_5693 Depth=2
	s_or_b32 exec_lo, exec_lo, s10
.LBB6_5759:                             ;   in Loop: Header=BB6_5693 Depth=2
	s_delay_alu instid0(SALU_CYCLE_1)
	s_or_b32 exec_lo, exec_lo, s40
                                        ; implicit-def: $vgpr6
.LBB6_5760:                             ;   in Loop: Header=BB6_5693 Depth=2
	s_and_not1_saveexec_b32 s10, s29
; %bb.5761:                             ;   in Loop: Header=BB6_5693 Depth=2
	v_or_b32_e32 v30, 0x7b, v6
; %bb.5762:                             ;   in Loop: Header=BB6_5693 Depth=2
	s_or_b32 exec_lo, exec_lo, s10
                                        ; implicit-def: $vgpr2
.LBB6_5763:                             ;   in Loop: Header=BB6_5693 Depth=2
	s_and_not1_saveexec_b32 s10, s11
	s_cbranch_execz .LBB6_5769
; %bb.5764:                             ;   in Loop: Header=BB6_5693 Depth=2
	s_mov_b32 s11, exec_lo
                                        ; implicit-def: $vgpr30
	v_cmpx_ne_u64_e32 0, v[0:1]
	s_xor_b32 s11, exec_lo, s11
; %bb.5765:                             ;   in Loop: Header=BB6_5693 Depth=2
	v_lshrrev_b32_e32 v0, 24, v2
                                        ; implicit-def: $vgpr2
	s_delay_alu instid0(VALU_DEP_1)
	v_or_b32_e32 v30, 0x7f, v0
; %bb.5766:                             ;   in Loop: Header=BB6_5693 Depth=2
	s_and_not1_saveexec_b32 s11, s11
; %bb.5767:                             ;   in Loop: Header=BB6_5693 Depth=2
	v_cmp_lt_i32_e32 vcc_lo, -1, v2
	v_cndmask_b32_e64 v30, -4, 0x7c, vcc_lo
; %bb.5768:                             ;   in Loop: Header=BB6_5693 Depth=2
	s_or_b32 exec_lo, exec_lo, s11
.LBB6_5769:                             ;   in Loop: Header=BB6_5693 Depth=2
	s_delay_alu instid0(SALU_CYCLE_1)
	s_or_b32 exec_lo, exec_lo, s10
	flat_load_i8 v2, v[10:11] offset:64 th:TH_LOAD_NT
	v_mov_b32_e32 v3, 0
	s_mov_b32 s10, exec_lo
	s_wait_loadcnt_dscnt 0x0
	v_cmpx_ne_u16_e32 0, v2
	s_cbranch_execz .LBB6_5779
; %bb.5770:                             ;   in Loop: Header=BB6_5693 Depth=2
	v_bfrev_b32_e32 v3, 1
	s_mov_b32 s11, exec_lo
	v_cmpx_ne_u16_e32 0xff80, v2
	s_cbranch_execz .LBB6_5778
; %bb.5771:                             ;   in Loop: Header=BB6_5693 Depth=2
	v_and_b32_e32 v3, 0x7c, v2
	v_and_b32_e32 v0, 3, v2
	s_delay_alu instid0(VALU_DEP_2) | instskip(SKIP_1) | instid1(SALU_CYCLE_1)
	v_cmp_ne_u32_e32 vcc_lo, 0x7c, v3
                                        ; implicit-def: $vgpr3
	s_and_saveexec_b32 s29, vcc_lo
	s_xor_b32 s29, exec_lo, s29
	s_cbranch_execz .LBB6_5775
; %bb.5772:                             ;   in Loop: Header=BB6_5693 Depth=2
	v_and_b32_e32 v3, 0xff, v2
	s_mov_b32 s40, exec_lo
	s_delay_alu instid0(VALU_DEP_1) | instskip(NEXT) | instid1(VALU_DEP_1)
	v_bfe_u32 v3, v3, 2, 5
	v_cmpx_eq_u32_e32 0, v3
	s_cbranch_execz .LBB6_5774
; %bb.5773:                             ;   in Loop: Header=BB6_5693 Depth=2
	v_clz_i32_u32_e32 v0, v0
	v_mov_b32_e32 v3, v1
	s_delay_alu instid0(VALU_DEP_2) | instskip(NEXT) | instid1(VALU_DEP_1)
	v_min_u32_e32 v0, 32, v0
	v_subrev_nc_u32_e32 v4, 29, v0
	s_delay_alu instid0(VALU_DEP_1) | instskip(SKIP_1) | instid1(VALU_DEP_2)
	v_lshlrev_b64_e32 v[4:5], v4, v[2:3]
	v_sub_nc_u32_e32 v3, 30, v0
	v_and_b32_e32 v0, 3, v4
.LBB6_5774:                             ;   in Loop: Header=BB6_5693 Depth=2
	s_or_b32 exec_lo, exec_lo, s40
	v_bfe_i32 v2, v2, 0, 16
	s_delay_alu instid0(VALU_DEP_1) | instskip(NEXT) | instid1(VALU_DEP_1)
	v_and_b32_e32 v2, 0x80000000, v2
	v_lshl_add_u32 v2, v3, 23, v2
	s_delay_alu instid0(VALU_DEP_1) | instskip(NEXT) | instid1(VALU_DEP_1)
	v_lshl_or_b32 v0, v0, 21, v2
                                        ; implicit-def: $vgpr2
	v_add_nc_u32_e32 v3, 0x38000000, v0
                                        ; implicit-def: $vgpr0
.LBB6_5775:                             ;   in Loop: Header=BB6_5693 Depth=2
	s_and_not1_saveexec_b32 s29, s29
; %bb.5776:                             ;   in Loop: Header=BB6_5693 Depth=2
	v_cmp_lt_i16_e32 vcc_lo, -1, v2
	v_mov_b32_e32 v2, 0x7f800000
	s_delay_alu instid0(VALU_DEP_1) | instskip(SKIP_1) | instid1(VALU_DEP_2)
	v_cndmask_b32_e32 v2, 0xff800000, v2, vcc_lo
	v_cmp_eq_u32_e32 vcc_lo, 0, v0
	v_cndmask_b32_e32 v3, 0x7f800001, v2, vcc_lo
; %bb.5777:                             ;   in Loop: Header=BB6_5693 Depth=2
	s_or_b32 exec_lo, exec_lo, s29
.LBB6_5778:                             ;   in Loop: Header=BB6_5693 Depth=2
	s_delay_alu instid0(SALU_CYCLE_1)
	s_or_b32 exec_lo, exec_lo, s11
.LBB6_5779:                             ;   in Loop: Header=BB6_5693 Depth=2
	s_delay_alu instid0(SALU_CYCLE_1) | instskip(NEXT) | instid1(VALU_DEP_1)
	s_or_b32 exec_lo, exec_lo, s10
	v_dual_mul_f32 v2, s28, v3 :: v_dual_mov_b32 v5, v1
                                        ; implicit-def: $vgpr28
	s_mov_b32 s10, exec_lo
	s_delay_alu instid0(VALU_DEP_1) | instskip(SKIP_1) | instid1(VALU_DEP_2)
	v_and_b32_e32 v4, 0x7f800000, v2
	v_and_b32_e32 v0, 0x7fffff, v2
	v_cmpx_ne_u64_e32 0x7f800000, v[4:5]
	s_xor_b32 s11, exec_lo, s10
	s_cbranch_execz .LBB6_5797
; %bb.5780:                             ;   in Loop: Header=BB6_5693 Depth=2
	v_dual_mov_b32 v5, v1 :: v_dual_lshrrev_b32 v3, 24, v2
	v_and_b32_e32 v4, 0x7fffffff, v2
                                        ; implicit-def: $vgpr28
	s_mov_b32 s10, exec_lo
	s_delay_alu instid0(VALU_DEP_2) | instskip(NEXT) | instid1(VALU_DEP_2)
	v_and_b32_e32 v6, 0x80, v3
	v_cmpx_gt_u64_e32 0x47600001, v[4:5]
	s_xor_b32 s29, exec_lo, s10
	s_cbranch_execz .LBB6_5794
; %bb.5781:                             ;   in Loop: Header=BB6_5693 Depth=2
	v_mov_b32_e32 v28, 0
	s_mov_b32 s40, exec_lo
	v_cmpx_ne_u32_e32 0, v2
	s_cbranch_execz .LBB6_5793
; %bb.5782:                             ;   in Loop: Header=BB6_5693 Depth=2
	v_bfe_u32 v7, v2, 23, 8
	v_or_b32_e32 v4, 0x800000, v0
	s_mov_b32 s41, exec_lo
	s_delay_alu instid0(VALU_DEP_2) | instskip(SKIP_1) | instid1(VALU_DEP_2)
	v_dual_mov_b32 v5, v1 :: v_dual_sub_nc_u32 v2, 0x71, v7
	v_cmp_gt_u32_e32 vcc_lo, 0x72, v7
	v_cndmask_b32_e32 v2, 0, v2, vcc_lo
	v_cmp_eq_u32_e32 vcc_lo, 0, v7
	s_delay_alu instid0(VALU_DEP_2) | instskip(SKIP_1) | instid1(VALU_DEP_2)
	v_cndmask_b32_e64 v8, v2, 0x70, vcc_lo
	v_cndmask_b32_e32 v4, v4, v0, vcc_lo
	v_dual_add_nc_u32 v2, 21, v8 :: v_dual_add_nc_u32 v9, 20, v8
	s_delay_alu instid0(VALU_DEP_1) | instskip(NEXT) | instid1(VALU_DEP_2)
	v_lshlrev_b64_e64 v[2:3], v2, -1
	v_lshlrev_b64_e64 v[16:17], v9, 1
	s_delay_alu instid0(VALU_DEP_2) | instskip(NEXT) | instid1(VALU_DEP_3)
	v_bfi_b32 v19, v3, 0, 0
	v_bfi_b32 v18, v2, 0, v4
	v_lshrrev_b64 v[2:3], v8, v[4:5]
	s_delay_alu instid0(VALU_DEP_1) | instskip(NEXT) | instid1(VALU_DEP_3)
	v_mov_b64_e32 v[4:5], v[2:3]
	v_cmpx_eq_u64_e64 v[18:19], v[16:17]
; %bb.5783:                             ;   in Loop: Header=BB6_5693 Depth=2
	v_bfe_u32 v4, v2, 21, 1
	v_mov_b32_e32 v5, v1
	s_delay_alu instid0(VALU_DEP_1) | instskip(NEXT) | instid1(VALU_DEP_1)
	v_add_nc_u64_e32 v[4:5], v[2:3], v[4:5]
	v_add_nc_u64_e32 v[4:5], -1, v[4:5]
; %bb.5784:                             ;   in Loop: Header=BB6_5693 Depth=2
	s_or_b32 exec_lo, exec_lo, s41
	v_add_nc_u32_e32 v0, 0xffffff81, v7
	s_delay_alu instid0(VALU_DEP_2) | instskip(SKIP_2) | instid1(VALU_DEP_3)
	v_and_b32_e32 v4, 0x1fffff, v4
	v_lshrrev_b32_e32 v3, 23, v2
	s_mov_b32 s10, exec_lo
	v_cndmask_b32_e64 v0, v0, 0xffffff82, vcc_lo
	s_delay_alu instid0(VALU_DEP_1) | instskip(SKIP_1) | instid1(VALU_DEP_2)
	v_add3_u32 v5, v8, v0, v3
	v_add_nc_u32_e32 v0, v4, v2
                                        ; implicit-def: $vgpr2_vgpr3
                                        ; implicit-def: $vgpr4
	v_add_nc_u32_e32 v7, 14, v5
	s_delay_alu instid0(VALU_DEP_1)
	v_cmpx_ne_u32_e32 0, v7
	s_xor_b32 s10, exec_lo, s10
; %bb.5785:                             ;   in Loop: Header=BB6_5693 Depth=2
	s_delay_alu instid0(VALU_DEP_3) | instskip(SKIP_1) | instid1(VALU_DEP_1)
	v_cmp_lt_u64_e32 vcc_lo, 0xffffff, v[0:1]
	v_add_nc_u32_e32 v2, 15, v5
	v_cndmask_b32_e32 v4, v7, v2, vcc_lo
	v_cndmask_b32_e64 v2, 0, 1, vcc_lo
	s_delay_alu instid0(VALU_DEP_1)
	v_lshrrev_b64 v[2:3], v2, v[0:1]
; %bb.5786:                             ;   in Loop: Header=BB6_5693 Depth=2
	s_and_not1_saveexec_b32 s10, s10
; %bb.5787:                             ;   in Loop: Header=BB6_5693 Depth=2
	v_mov_b64_e32 v[2:3], v[0:1]
	v_bfe_u32 v4, v0, 23, 1
; %bb.5788:                             ;   in Loop: Header=BB6_5693 Depth=2
	s_or_b32 exec_lo, exec_lo, s10
	s_delay_alu instid0(VALU_DEP_2) | instskip(NEXT) | instid1(VALU_DEP_2)
	v_lshrrev_b64 v[2:3], 21, v[2:3]
	v_cmp_gt_i32_e32 vcc_lo, 32, v4
	v_cmp_ne_u32_e64 s10, 0, v4
                                        ; implicit-def: $vgpr28
	s_delay_alu instid0(VALU_DEP_3) | instskip(NEXT) | instid1(VALU_DEP_1)
	v_dual_cndmask_b32 v3, 0, v3 :: v_dual_cndmask_b32 v2, 3, v2
	v_cmp_ne_u64_e32 vcc_lo, 0, v[2:3]
	s_or_b32 s10, s10, vcc_lo
	s_delay_alu instid0(SALU_CYCLE_1) | instskip(NEXT) | instid1(SALU_CYCLE_1)
	s_and_saveexec_b32 s41, s10
	s_xor_b32 s10, exec_lo, s41
; %bb.5789:                             ;   in Loop: Header=BB6_5693 Depth=2
	v_min_i32_e32 v0, 31, v4
	s_delay_alu instid0(VALU_DEP_1) | instskip(NEXT) | instid1(VALU_DEP_1)
	v_lshl_or_b32 v0, v0, 2, v6
                                        ; implicit-def: $vgpr6
	v_and_or_b32 v28, v2, 3, v0
; %bb.5790:                             ;   in Loop: Header=BB6_5693 Depth=2
	s_and_not1_saveexec_b32 s10, s10
; %bb.5791:                             ;   in Loop: Header=BB6_5693 Depth=2
	v_mov_b32_e32 v28, v6
; %bb.5792:                             ;   in Loop: Header=BB6_5693 Depth=2
	s_or_b32 exec_lo, exec_lo, s10
.LBB6_5793:                             ;   in Loop: Header=BB6_5693 Depth=2
	s_delay_alu instid0(SALU_CYCLE_1)
	s_or_b32 exec_lo, exec_lo, s40
                                        ; implicit-def: $vgpr6
.LBB6_5794:                             ;   in Loop: Header=BB6_5693 Depth=2
	s_and_not1_saveexec_b32 s10, s29
; %bb.5795:                             ;   in Loop: Header=BB6_5693 Depth=2
	v_or_b32_e32 v28, 0x7b, v6
; %bb.5796:                             ;   in Loop: Header=BB6_5693 Depth=2
	s_or_b32 exec_lo, exec_lo, s10
                                        ; implicit-def: $vgpr2
.LBB6_5797:                             ;   in Loop: Header=BB6_5693 Depth=2
	s_and_not1_saveexec_b32 s10, s11
	s_cbranch_execz .LBB6_5803
; %bb.5798:                             ;   in Loop: Header=BB6_5693 Depth=2
	s_mov_b32 s11, exec_lo
                                        ; implicit-def: $vgpr28
	v_cmpx_ne_u64_e32 0, v[0:1]
	s_xor_b32 s11, exec_lo, s11
; %bb.5799:                             ;   in Loop: Header=BB6_5693 Depth=2
	v_lshrrev_b32_e32 v0, 24, v2
                                        ; implicit-def: $vgpr2
	s_delay_alu instid0(VALU_DEP_1)
	v_or_b32_e32 v28, 0x7f, v0
; %bb.5800:                             ;   in Loop: Header=BB6_5693 Depth=2
	s_and_not1_saveexec_b32 s11, s11
; %bb.5801:                             ;   in Loop: Header=BB6_5693 Depth=2
	v_cmp_lt_i32_e32 vcc_lo, -1, v2
	v_cndmask_b32_e64 v28, -4, 0x7c, vcc_lo
; %bb.5802:                             ;   in Loop: Header=BB6_5693 Depth=2
	s_or_b32 exec_lo, exec_lo, s11
.LBB6_5803:                             ;   in Loop: Header=BB6_5693 Depth=2
	s_delay_alu instid0(SALU_CYCLE_1)
	s_or_b32 exec_lo, exec_lo, s10
	flat_load_i8 v2, v[10:11] offset:96 th:TH_LOAD_NT
	v_mov_b32_e32 v3, 0
	s_mov_b32 s10, exec_lo
	s_wait_loadcnt_dscnt 0x0
	v_cmpx_ne_u16_e32 0, v2
	s_cbranch_execz .LBB6_5813
; %bb.5804:                             ;   in Loop: Header=BB6_5693 Depth=2
	v_bfrev_b32_e32 v3, 1
	s_mov_b32 s11, exec_lo
	v_cmpx_ne_u16_e32 0xff80, v2
	s_cbranch_execz .LBB6_5812
; %bb.5805:                             ;   in Loop: Header=BB6_5693 Depth=2
	v_and_b32_e32 v3, 0x7c, v2
	v_and_b32_e32 v0, 3, v2
	s_delay_alu instid0(VALU_DEP_2) | instskip(SKIP_1) | instid1(SALU_CYCLE_1)
	v_cmp_ne_u32_e32 vcc_lo, 0x7c, v3
                                        ; implicit-def: $vgpr3
	s_and_saveexec_b32 s29, vcc_lo
	s_xor_b32 s29, exec_lo, s29
	s_cbranch_execz .LBB6_5809
; %bb.5806:                             ;   in Loop: Header=BB6_5693 Depth=2
	v_and_b32_e32 v3, 0xff, v2
	s_mov_b32 s40, exec_lo
	s_delay_alu instid0(VALU_DEP_1) | instskip(NEXT) | instid1(VALU_DEP_1)
	v_bfe_u32 v3, v3, 2, 5
	v_cmpx_eq_u32_e32 0, v3
	s_cbranch_execz .LBB6_5808
; %bb.5807:                             ;   in Loop: Header=BB6_5693 Depth=2
	v_clz_i32_u32_e32 v0, v0
	v_mov_b32_e32 v3, v1
	s_delay_alu instid0(VALU_DEP_2) | instskip(NEXT) | instid1(VALU_DEP_1)
	v_min_u32_e32 v0, 32, v0
	v_subrev_nc_u32_e32 v4, 29, v0
	s_delay_alu instid0(VALU_DEP_1) | instskip(SKIP_1) | instid1(VALU_DEP_2)
	v_lshlrev_b64_e32 v[4:5], v4, v[2:3]
	v_sub_nc_u32_e32 v3, 30, v0
	v_and_b32_e32 v0, 3, v4
.LBB6_5808:                             ;   in Loop: Header=BB6_5693 Depth=2
	s_or_b32 exec_lo, exec_lo, s40
	v_bfe_i32 v2, v2, 0, 16
	s_delay_alu instid0(VALU_DEP_1) | instskip(NEXT) | instid1(VALU_DEP_1)
	v_and_b32_e32 v2, 0x80000000, v2
	v_lshl_add_u32 v2, v3, 23, v2
	s_delay_alu instid0(VALU_DEP_1) | instskip(NEXT) | instid1(VALU_DEP_1)
	v_lshl_or_b32 v0, v0, 21, v2
                                        ; implicit-def: $vgpr2
	v_add_nc_u32_e32 v3, 0x38000000, v0
                                        ; implicit-def: $vgpr0
.LBB6_5809:                             ;   in Loop: Header=BB6_5693 Depth=2
	s_and_not1_saveexec_b32 s29, s29
; %bb.5810:                             ;   in Loop: Header=BB6_5693 Depth=2
	v_cmp_lt_i16_e32 vcc_lo, -1, v2
	v_mov_b32_e32 v2, 0x7f800000
	s_delay_alu instid0(VALU_DEP_1) | instskip(SKIP_1) | instid1(VALU_DEP_2)
	v_cndmask_b32_e32 v2, 0xff800000, v2, vcc_lo
	v_cmp_eq_u32_e32 vcc_lo, 0, v0
	v_cndmask_b32_e32 v3, 0x7f800001, v2, vcc_lo
; %bb.5811:                             ;   in Loop: Header=BB6_5693 Depth=2
	s_or_b32 exec_lo, exec_lo, s29
.LBB6_5812:                             ;   in Loop: Header=BB6_5693 Depth=2
	s_delay_alu instid0(SALU_CYCLE_1)
	s_or_b32 exec_lo, exec_lo, s11
.LBB6_5813:                             ;   in Loop: Header=BB6_5693 Depth=2
	s_delay_alu instid0(SALU_CYCLE_1) | instskip(NEXT) | instid1(VALU_DEP_1)
	s_or_b32 exec_lo, exec_lo, s10
	v_dual_mul_f32 v2, s28, v3 :: v_dual_mov_b32 v5, v1
                                        ; implicit-def: $vgpr66
	s_mov_b32 s10, exec_lo
	s_delay_alu instid0(VALU_DEP_1) | instskip(SKIP_1) | instid1(VALU_DEP_2)
	v_and_b32_e32 v4, 0x7f800000, v2
	v_and_b32_e32 v0, 0x7fffff, v2
	v_cmpx_ne_u64_e32 0x7f800000, v[4:5]
	s_xor_b32 s11, exec_lo, s10
	s_cbranch_execz .LBB6_5831
; %bb.5814:                             ;   in Loop: Header=BB6_5693 Depth=2
	v_dual_mov_b32 v5, v1 :: v_dual_lshrrev_b32 v3, 24, v2
	v_and_b32_e32 v4, 0x7fffffff, v2
                                        ; implicit-def: $vgpr66
	s_mov_b32 s10, exec_lo
	s_delay_alu instid0(VALU_DEP_2) | instskip(NEXT) | instid1(VALU_DEP_2)
	v_and_b32_e32 v6, 0x80, v3
	v_cmpx_gt_u64_e32 0x47600001, v[4:5]
	s_xor_b32 s29, exec_lo, s10
	s_cbranch_execz .LBB6_5828
; %bb.5815:                             ;   in Loop: Header=BB6_5693 Depth=2
	v_mov_b32_e32 v66, 0
	s_mov_b32 s40, exec_lo
	v_cmpx_ne_u32_e32 0, v2
	s_cbranch_execz .LBB6_5827
; %bb.5816:                             ;   in Loop: Header=BB6_5693 Depth=2
	v_bfe_u32 v7, v2, 23, 8
	v_or_b32_e32 v4, 0x800000, v0
	s_mov_b32 s41, exec_lo
	s_delay_alu instid0(VALU_DEP_2) | instskip(SKIP_1) | instid1(VALU_DEP_2)
	v_dual_mov_b32 v5, v1 :: v_dual_sub_nc_u32 v2, 0x71, v7
	v_cmp_gt_u32_e32 vcc_lo, 0x72, v7
	v_cndmask_b32_e32 v2, 0, v2, vcc_lo
	v_cmp_eq_u32_e32 vcc_lo, 0, v7
	s_delay_alu instid0(VALU_DEP_2) | instskip(SKIP_1) | instid1(VALU_DEP_2)
	v_cndmask_b32_e64 v8, v2, 0x70, vcc_lo
	v_cndmask_b32_e32 v4, v4, v0, vcc_lo
	v_dual_add_nc_u32 v2, 21, v8 :: v_dual_add_nc_u32 v9, 20, v8
	s_delay_alu instid0(VALU_DEP_1) | instskip(NEXT) | instid1(VALU_DEP_2)
	v_lshlrev_b64_e64 v[2:3], v2, -1
	v_lshlrev_b64_e64 v[16:17], v9, 1
	s_delay_alu instid0(VALU_DEP_2) | instskip(NEXT) | instid1(VALU_DEP_3)
	v_bfi_b32 v19, v3, 0, 0
	v_bfi_b32 v18, v2, 0, v4
	v_lshrrev_b64 v[2:3], v8, v[4:5]
	s_delay_alu instid0(VALU_DEP_1) | instskip(NEXT) | instid1(VALU_DEP_3)
	v_mov_b64_e32 v[4:5], v[2:3]
	v_cmpx_eq_u64_e64 v[18:19], v[16:17]
; %bb.5817:                             ;   in Loop: Header=BB6_5693 Depth=2
	v_bfe_u32 v4, v2, 21, 1
	v_mov_b32_e32 v5, v1
	s_delay_alu instid0(VALU_DEP_1) | instskip(NEXT) | instid1(VALU_DEP_1)
	v_add_nc_u64_e32 v[4:5], v[2:3], v[4:5]
	v_add_nc_u64_e32 v[4:5], -1, v[4:5]
; %bb.5818:                             ;   in Loop: Header=BB6_5693 Depth=2
	s_or_b32 exec_lo, exec_lo, s41
	v_add_nc_u32_e32 v0, 0xffffff81, v7
	s_delay_alu instid0(VALU_DEP_2) | instskip(SKIP_2) | instid1(VALU_DEP_3)
	v_and_b32_e32 v4, 0x1fffff, v4
	v_lshrrev_b32_e32 v3, 23, v2
	s_mov_b32 s10, exec_lo
	v_cndmask_b32_e64 v0, v0, 0xffffff82, vcc_lo
	s_delay_alu instid0(VALU_DEP_1) | instskip(SKIP_1) | instid1(VALU_DEP_2)
	v_add3_u32 v5, v8, v0, v3
	v_add_nc_u32_e32 v0, v4, v2
                                        ; implicit-def: $vgpr2_vgpr3
                                        ; implicit-def: $vgpr4
	v_add_nc_u32_e32 v7, 14, v5
	s_delay_alu instid0(VALU_DEP_1)
	v_cmpx_ne_u32_e32 0, v7
	s_xor_b32 s10, exec_lo, s10
; %bb.5819:                             ;   in Loop: Header=BB6_5693 Depth=2
	s_delay_alu instid0(VALU_DEP_3) | instskip(SKIP_1) | instid1(VALU_DEP_1)
	v_cmp_lt_u64_e32 vcc_lo, 0xffffff, v[0:1]
	v_add_nc_u32_e32 v2, 15, v5
	v_cndmask_b32_e32 v4, v7, v2, vcc_lo
	v_cndmask_b32_e64 v2, 0, 1, vcc_lo
	s_delay_alu instid0(VALU_DEP_1)
	v_lshrrev_b64 v[2:3], v2, v[0:1]
; %bb.5820:                             ;   in Loop: Header=BB6_5693 Depth=2
	s_and_not1_saveexec_b32 s10, s10
; %bb.5821:                             ;   in Loop: Header=BB6_5693 Depth=2
	v_mov_b64_e32 v[2:3], v[0:1]
	v_bfe_u32 v4, v0, 23, 1
; %bb.5822:                             ;   in Loop: Header=BB6_5693 Depth=2
	s_or_b32 exec_lo, exec_lo, s10
	s_delay_alu instid0(VALU_DEP_2) | instskip(NEXT) | instid1(VALU_DEP_2)
	v_lshrrev_b64 v[2:3], 21, v[2:3]
	v_cmp_gt_i32_e32 vcc_lo, 32, v4
	v_cmp_ne_u32_e64 s10, 0, v4
                                        ; implicit-def: $vgpr66
	s_delay_alu instid0(VALU_DEP_3) | instskip(NEXT) | instid1(VALU_DEP_1)
	v_dual_cndmask_b32 v3, 0, v3 :: v_dual_cndmask_b32 v2, 3, v2
	v_cmp_ne_u64_e32 vcc_lo, 0, v[2:3]
	s_or_b32 s10, s10, vcc_lo
	s_delay_alu instid0(SALU_CYCLE_1) | instskip(NEXT) | instid1(SALU_CYCLE_1)
	s_and_saveexec_b32 s41, s10
	s_xor_b32 s10, exec_lo, s41
; %bb.5823:                             ;   in Loop: Header=BB6_5693 Depth=2
	v_min_i32_e32 v0, 31, v4
	s_delay_alu instid0(VALU_DEP_1) | instskip(NEXT) | instid1(VALU_DEP_1)
	v_lshl_or_b32 v0, v0, 2, v6
                                        ; implicit-def: $vgpr6
	v_and_or_b32 v66, v2, 3, v0
; %bb.5824:                             ;   in Loop: Header=BB6_5693 Depth=2
	s_and_not1_saveexec_b32 s10, s10
; %bb.5825:                             ;   in Loop: Header=BB6_5693 Depth=2
	v_mov_b32_e32 v66, v6
; %bb.5826:                             ;   in Loop: Header=BB6_5693 Depth=2
	s_or_b32 exec_lo, exec_lo, s10
.LBB6_5827:                             ;   in Loop: Header=BB6_5693 Depth=2
	s_delay_alu instid0(SALU_CYCLE_1)
	s_or_b32 exec_lo, exec_lo, s40
                                        ; implicit-def: $vgpr6
.LBB6_5828:                             ;   in Loop: Header=BB6_5693 Depth=2
	s_and_not1_saveexec_b32 s10, s29
; %bb.5829:                             ;   in Loop: Header=BB6_5693 Depth=2
	v_or_b32_e32 v66, 0x7b, v6
; %bb.5830:                             ;   in Loop: Header=BB6_5693 Depth=2
	s_or_b32 exec_lo, exec_lo, s10
                                        ; implicit-def: $vgpr2
.LBB6_5831:                             ;   in Loop: Header=BB6_5693 Depth=2
	s_and_not1_saveexec_b32 s10, s11
	s_cbranch_execz .LBB6_5837
; %bb.5832:                             ;   in Loop: Header=BB6_5693 Depth=2
	s_mov_b32 s11, exec_lo
                                        ; implicit-def: $vgpr66
	v_cmpx_ne_u64_e32 0, v[0:1]
	s_xor_b32 s11, exec_lo, s11
; %bb.5833:                             ;   in Loop: Header=BB6_5693 Depth=2
	v_lshrrev_b32_e32 v0, 24, v2
                                        ; implicit-def: $vgpr2
	s_delay_alu instid0(VALU_DEP_1)
	v_or_b32_e32 v66, 0x7f, v0
; %bb.5834:                             ;   in Loop: Header=BB6_5693 Depth=2
	s_and_not1_saveexec_b32 s11, s11
; %bb.5835:                             ;   in Loop: Header=BB6_5693 Depth=2
	v_cmp_lt_i32_e32 vcc_lo, -1, v2
	v_cndmask_b32_e64 v66, -4, 0x7c, vcc_lo
; %bb.5836:                             ;   in Loop: Header=BB6_5693 Depth=2
	s_or_b32 exec_lo, exec_lo, s11
.LBB6_5837:                             ;   in Loop: Header=BB6_5693 Depth=2
	s_delay_alu instid0(SALU_CYCLE_1)
	s_or_b32 exec_lo, exec_lo, s10
	flat_load_i8 v2, v[10:11] offset:128 th:TH_LOAD_NT
	v_mov_b32_e32 v3, 0
	s_mov_b32 s10, exec_lo
	s_wait_loadcnt_dscnt 0x0
	v_cmpx_ne_u16_e32 0, v2
	s_cbranch_execz .LBB6_5847
; %bb.5838:                             ;   in Loop: Header=BB6_5693 Depth=2
	v_bfrev_b32_e32 v3, 1
	s_mov_b32 s11, exec_lo
	v_cmpx_ne_u16_e32 0xff80, v2
	s_cbranch_execz .LBB6_5846
; %bb.5839:                             ;   in Loop: Header=BB6_5693 Depth=2
	v_and_b32_e32 v3, 0x7c, v2
	v_and_b32_e32 v0, 3, v2
	s_delay_alu instid0(VALU_DEP_2) | instskip(SKIP_1) | instid1(SALU_CYCLE_1)
	v_cmp_ne_u32_e32 vcc_lo, 0x7c, v3
                                        ; implicit-def: $vgpr3
	s_and_saveexec_b32 s29, vcc_lo
	s_xor_b32 s29, exec_lo, s29
	s_cbranch_execz .LBB6_5843
; %bb.5840:                             ;   in Loop: Header=BB6_5693 Depth=2
	v_and_b32_e32 v3, 0xff, v2
	s_mov_b32 s40, exec_lo
	s_delay_alu instid0(VALU_DEP_1) | instskip(NEXT) | instid1(VALU_DEP_1)
	v_bfe_u32 v3, v3, 2, 5
	v_cmpx_eq_u32_e32 0, v3
	s_cbranch_execz .LBB6_5842
; %bb.5841:                             ;   in Loop: Header=BB6_5693 Depth=2
	v_clz_i32_u32_e32 v0, v0
	v_mov_b32_e32 v3, v1
	s_delay_alu instid0(VALU_DEP_2) | instskip(NEXT) | instid1(VALU_DEP_1)
	v_min_u32_e32 v0, 32, v0
	v_subrev_nc_u32_e32 v4, 29, v0
	s_delay_alu instid0(VALU_DEP_1) | instskip(SKIP_1) | instid1(VALU_DEP_2)
	v_lshlrev_b64_e32 v[4:5], v4, v[2:3]
	v_sub_nc_u32_e32 v3, 30, v0
	v_and_b32_e32 v0, 3, v4
.LBB6_5842:                             ;   in Loop: Header=BB6_5693 Depth=2
	s_or_b32 exec_lo, exec_lo, s40
	v_bfe_i32 v2, v2, 0, 16
	s_delay_alu instid0(VALU_DEP_1) | instskip(NEXT) | instid1(VALU_DEP_1)
	v_and_b32_e32 v2, 0x80000000, v2
	v_lshl_add_u32 v2, v3, 23, v2
	s_delay_alu instid0(VALU_DEP_1) | instskip(NEXT) | instid1(VALU_DEP_1)
	v_lshl_or_b32 v0, v0, 21, v2
                                        ; implicit-def: $vgpr2
	v_add_nc_u32_e32 v3, 0x38000000, v0
                                        ; implicit-def: $vgpr0
.LBB6_5843:                             ;   in Loop: Header=BB6_5693 Depth=2
	s_and_not1_saveexec_b32 s29, s29
; %bb.5844:                             ;   in Loop: Header=BB6_5693 Depth=2
	v_cmp_lt_i16_e32 vcc_lo, -1, v2
	v_mov_b32_e32 v2, 0x7f800000
	s_delay_alu instid0(VALU_DEP_1) | instskip(SKIP_1) | instid1(VALU_DEP_2)
	v_cndmask_b32_e32 v2, 0xff800000, v2, vcc_lo
	v_cmp_eq_u32_e32 vcc_lo, 0, v0
	v_cndmask_b32_e32 v3, 0x7f800001, v2, vcc_lo
; %bb.5845:                             ;   in Loop: Header=BB6_5693 Depth=2
	s_or_b32 exec_lo, exec_lo, s29
.LBB6_5846:                             ;   in Loop: Header=BB6_5693 Depth=2
	s_delay_alu instid0(SALU_CYCLE_1)
	s_or_b32 exec_lo, exec_lo, s11
.LBB6_5847:                             ;   in Loop: Header=BB6_5693 Depth=2
	s_delay_alu instid0(SALU_CYCLE_1) | instskip(NEXT) | instid1(VALU_DEP_1)
	s_or_b32 exec_lo, exec_lo, s10
	v_dual_mul_f32 v2, s28, v3 :: v_dual_mov_b32 v5, v1
                                        ; implicit-def: $vgpr124
	s_mov_b32 s10, exec_lo
	s_delay_alu instid0(VALU_DEP_1) | instskip(SKIP_1) | instid1(VALU_DEP_2)
	v_and_b32_e32 v4, 0x7f800000, v2
	v_and_b32_e32 v0, 0x7fffff, v2
	v_cmpx_ne_u64_e32 0x7f800000, v[4:5]
	s_xor_b32 s11, exec_lo, s10
	s_cbranch_execz .LBB6_5865
; %bb.5848:                             ;   in Loop: Header=BB6_5693 Depth=2
	v_dual_mov_b32 v5, v1 :: v_dual_lshrrev_b32 v3, 24, v2
	v_and_b32_e32 v4, 0x7fffffff, v2
                                        ; implicit-def: $vgpr124
	s_mov_b32 s10, exec_lo
	s_delay_alu instid0(VALU_DEP_2) | instskip(NEXT) | instid1(VALU_DEP_2)
	v_and_b32_e32 v6, 0x80, v3
	v_cmpx_gt_u64_e32 0x47600001, v[4:5]
	s_xor_b32 s29, exec_lo, s10
	s_cbranch_execz .LBB6_5862
; %bb.5849:                             ;   in Loop: Header=BB6_5693 Depth=2
	v_mov_b32_e32 v124, 0
	s_mov_b32 s40, exec_lo
	v_cmpx_ne_u32_e32 0, v2
	s_cbranch_execz .LBB6_5861
; %bb.5850:                             ;   in Loop: Header=BB6_5693 Depth=2
	v_bfe_u32 v7, v2, 23, 8
	v_or_b32_e32 v4, 0x800000, v0
	s_mov_b32 s41, exec_lo
	s_delay_alu instid0(VALU_DEP_2) | instskip(SKIP_1) | instid1(VALU_DEP_2)
	v_dual_mov_b32 v5, v1 :: v_dual_sub_nc_u32 v2, 0x71, v7
	v_cmp_gt_u32_e32 vcc_lo, 0x72, v7
	v_cndmask_b32_e32 v2, 0, v2, vcc_lo
	v_cmp_eq_u32_e32 vcc_lo, 0, v7
	s_delay_alu instid0(VALU_DEP_2) | instskip(SKIP_1) | instid1(VALU_DEP_2)
	v_cndmask_b32_e64 v8, v2, 0x70, vcc_lo
	v_cndmask_b32_e32 v4, v4, v0, vcc_lo
	v_dual_add_nc_u32 v2, 21, v8 :: v_dual_add_nc_u32 v9, 20, v8
	s_delay_alu instid0(VALU_DEP_1) | instskip(NEXT) | instid1(VALU_DEP_2)
	v_lshlrev_b64_e64 v[2:3], v2, -1
	v_lshlrev_b64_e64 v[16:17], v9, 1
	s_delay_alu instid0(VALU_DEP_2) | instskip(NEXT) | instid1(VALU_DEP_3)
	v_bfi_b32 v19, v3, 0, 0
	v_bfi_b32 v18, v2, 0, v4
	v_lshrrev_b64 v[2:3], v8, v[4:5]
	s_delay_alu instid0(VALU_DEP_1) | instskip(NEXT) | instid1(VALU_DEP_3)
	v_mov_b64_e32 v[4:5], v[2:3]
	v_cmpx_eq_u64_e64 v[18:19], v[16:17]
; %bb.5851:                             ;   in Loop: Header=BB6_5693 Depth=2
	v_bfe_u32 v4, v2, 21, 1
	v_mov_b32_e32 v5, v1
	s_delay_alu instid0(VALU_DEP_1) | instskip(NEXT) | instid1(VALU_DEP_1)
	v_add_nc_u64_e32 v[4:5], v[2:3], v[4:5]
	v_add_nc_u64_e32 v[4:5], -1, v[4:5]
; %bb.5852:                             ;   in Loop: Header=BB6_5693 Depth=2
	s_or_b32 exec_lo, exec_lo, s41
	v_add_nc_u32_e32 v0, 0xffffff81, v7
	s_delay_alu instid0(VALU_DEP_2) | instskip(SKIP_2) | instid1(VALU_DEP_3)
	v_and_b32_e32 v4, 0x1fffff, v4
	v_lshrrev_b32_e32 v3, 23, v2
	s_mov_b32 s10, exec_lo
	v_cndmask_b32_e64 v0, v0, 0xffffff82, vcc_lo
	s_delay_alu instid0(VALU_DEP_1) | instskip(SKIP_1) | instid1(VALU_DEP_2)
	v_add3_u32 v5, v8, v0, v3
	v_add_nc_u32_e32 v0, v4, v2
                                        ; implicit-def: $vgpr2_vgpr3
                                        ; implicit-def: $vgpr4
	v_add_nc_u32_e32 v7, 14, v5
	s_delay_alu instid0(VALU_DEP_1)
	v_cmpx_ne_u32_e32 0, v7
	s_xor_b32 s10, exec_lo, s10
; %bb.5853:                             ;   in Loop: Header=BB6_5693 Depth=2
	s_delay_alu instid0(VALU_DEP_3) | instskip(SKIP_1) | instid1(VALU_DEP_1)
	v_cmp_lt_u64_e32 vcc_lo, 0xffffff, v[0:1]
	v_add_nc_u32_e32 v2, 15, v5
	v_cndmask_b32_e32 v4, v7, v2, vcc_lo
	v_cndmask_b32_e64 v2, 0, 1, vcc_lo
	s_delay_alu instid0(VALU_DEP_1)
	v_lshrrev_b64 v[2:3], v2, v[0:1]
; %bb.5854:                             ;   in Loop: Header=BB6_5693 Depth=2
	s_and_not1_saveexec_b32 s10, s10
; %bb.5855:                             ;   in Loop: Header=BB6_5693 Depth=2
	v_mov_b64_e32 v[2:3], v[0:1]
	v_bfe_u32 v4, v0, 23, 1
; %bb.5856:                             ;   in Loop: Header=BB6_5693 Depth=2
	s_or_b32 exec_lo, exec_lo, s10
	s_delay_alu instid0(VALU_DEP_2) | instskip(NEXT) | instid1(VALU_DEP_2)
	v_lshrrev_b64 v[2:3], 21, v[2:3]
	v_cmp_gt_i32_e32 vcc_lo, 32, v4
	v_cmp_ne_u32_e64 s10, 0, v4
                                        ; implicit-def: $vgpr124
	s_delay_alu instid0(VALU_DEP_3) | instskip(NEXT) | instid1(VALU_DEP_1)
	v_dual_cndmask_b32 v3, 0, v3 :: v_dual_cndmask_b32 v2, 3, v2
	v_cmp_ne_u64_e32 vcc_lo, 0, v[2:3]
	s_or_b32 s10, s10, vcc_lo
	s_delay_alu instid0(SALU_CYCLE_1) | instskip(NEXT) | instid1(SALU_CYCLE_1)
	s_and_saveexec_b32 s41, s10
	s_xor_b32 s10, exec_lo, s41
; %bb.5857:                             ;   in Loop: Header=BB6_5693 Depth=2
	v_min_i32_e32 v0, 31, v4
	s_delay_alu instid0(VALU_DEP_1) | instskip(NEXT) | instid1(VALU_DEP_1)
	v_lshl_or_b32 v0, v0, 2, v6
                                        ; implicit-def: $vgpr6
	v_and_or_b32 v124, v2, 3, v0
; %bb.5858:                             ;   in Loop: Header=BB6_5693 Depth=2
	s_and_not1_saveexec_b32 s10, s10
; %bb.5859:                             ;   in Loop: Header=BB6_5693 Depth=2
	v_mov_b32_e32 v124, v6
; %bb.5860:                             ;   in Loop: Header=BB6_5693 Depth=2
	s_or_b32 exec_lo, exec_lo, s10
.LBB6_5861:                             ;   in Loop: Header=BB6_5693 Depth=2
	s_delay_alu instid0(SALU_CYCLE_1)
	s_or_b32 exec_lo, exec_lo, s40
                                        ; implicit-def: $vgpr6
.LBB6_5862:                             ;   in Loop: Header=BB6_5693 Depth=2
	s_and_not1_saveexec_b32 s10, s29
; %bb.5863:                             ;   in Loop: Header=BB6_5693 Depth=2
	v_or_b32_e32 v124, 0x7b, v6
; %bb.5864:                             ;   in Loop: Header=BB6_5693 Depth=2
	s_or_b32 exec_lo, exec_lo, s10
                                        ; implicit-def: $vgpr2
.LBB6_5865:                             ;   in Loop: Header=BB6_5693 Depth=2
	s_and_not1_saveexec_b32 s10, s11
	s_cbranch_execz .LBB6_5871
; %bb.5866:                             ;   in Loop: Header=BB6_5693 Depth=2
	s_mov_b32 s11, exec_lo
                                        ; implicit-def: $vgpr124
	v_cmpx_ne_u64_e32 0, v[0:1]
	s_xor_b32 s11, exec_lo, s11
; %bb.5867:                             ;   in Loop: Header=BB6_5693 Depth=2
	v_lshrrev_b32_e32 v0, 24, v2
                                        ; implicit-def: $vgpr2
	s_delay_alu instid0(VALU_DEP_1)
	v_or_b32_e32 v124, 0x7f, v0
; %bb.5868:                             ;   in Loop: Header=BB6_5693 Depth=2
	s_and_not1_saveexec_b32 s11, s11
; %bb.5869:                             ;   in Loop: Header=BB6_5693 Depth=2
	v_cmp_lt_i32_e32 vcc_lo, -1, v2
	v_cndmask_b32_e64 v124, -4, 0x7c, vcc_lo
; %bb.5870:                             ;   in Loop: Header=BB6_5693 Depth=2
	s_or_b32 exec_lo, exec_lo, s11
.LBB6_5871:                             ;   in Loop: Header=BB6_5693 Depth=2
	s_delay_alu instid0(SALU_CYCLE_1)
	s_or_b32 exec_lo, exec_lo, s10
	flat_load_i8 v2, v[10:11] offset:160 th:TH_LOAD_NT
	v_mov_b32_e32 v3, 0
	s_mov_b32 s10, exec_lo
	s_wait_loadcnt_dscnt 0x0
	v_cmpx_ne_u16_e32 0, v2
	s_cbranch_execz .LBB6_5881
; %bb.5872:                             ;   in Loop: Header=BB6_5693 Depth=2
	v_bfrev_b32_e32 v3, 1
	s_mov_b32 s11, exec_lo
	v_cmpx_ne_u16_e32 0xff80, v2
	s_cbranch_execz .LBB6_5880
; %bb.5873:                             ;   in Loop: Header=BB6_5693 Depth=2
	v_and_b32_e32 v3, 0x7c, v2
	v_and_b32_e32 v0, 3, v2
	s_delay_alu instid0(VALU_DEP_2) | instskip(SKIP_1) | instid1(SALU_CYCLE_1)
	v_cmp_ne_u32_e32 vcc_lo, 0x7c, v3
                                        ; implicit-def: $vgpr3
	s_and_saveexec_b32 s29, vcc_lo
	s_xor_b32 s29, exec_lo, s29
	s_cbranch_execz .LBB6_5877
; %bb.5874:                             ;   in Loop: Header=BB6_5693 Depth=2
	v_and_b32_e32 v3, 0xff, v2
	s_mov_b32 s40, exec_lo
	s_delay_alu instid0(VALU_DEP_1) | instskip(NEXT) | instid1(VALU_DEP_1)
	v_bfe_u32 v3, v3, 2, 5
	v_cmpx_eq_u32_e32 0, v3
	s_cbranch_execz .LBB6_5876
; %bb.5875:                             ;   in Loop: Header=BB6_5693 Depth=2
	v_clz_i32_u32_e32 v0, v0
	v_mov_b32_e32 v3, v1
	s_delay_alu instid0(VALU_DEP_2) | instskip(NEXT) | instid1(VALU_DEP_1)
	v_min_u32_e32 v0, 32, v0
	v_subrev_nc_u32_e32 v4, 29, v0
	s_delay_alu instid0(VALU_DEP_1) | instskip(SKIP_1) | instid1(VALU_DEP_2)
	v_lshlrev_b64_e32 v[4:5], v4, v[2:3]
	v_sub_nc_u32_e32 v3, 30, v0
	v_and_b32_e32 v0, 3, v4
.LBB6_5876:                             ;   in Loop: Header=BB6_5693 Depth=2
	s_or_b32 exec_lo, exec_lo, s40
	v_bfe_i32 v2, v2, 0, 16
	s_delay_alu instid0(VALU_DEP_1) | instskip(NEXT) | instid1(VALU_DEP_1)
	v_and_b32_e32 v2, 0x80000000, v2
	v_lshl_add_u32 v2, v3, 23, v2
	s_delay_alu instid0(VALU_DEP_1) | instskip(NEXT) | instid1(VALU_DEP_1)
	v_lshl_or_b32 v0, v0, 21, v2
                                        ; implicit-def: $vgpr2
	v_add_nc_u32_e32 v3, 0x38000000, v0
                                        ; implicit-def: $vgpr0
.LBB6_5877:                             ;   in Loop: Header=BB6_5693 Depth=2
	s_and_not1_saveexec_b32 s29, s29
; %bb.5878:                             ;   in Loop: Header=BB6_5693 Depth=2
	v_cmp_lt_i16_e32 vcc_lo, -1, v2
	v_mov_b32_e32 v2, 0x7f800000
	s_delay_alu instid0(VALU_DEP_1) | instskip(SKIP_1) | instid1(VALU_DEP_2)
	v_cndmask_b32_e32 v2, 0xff800000, v2, vcc_lo
	v_cmp_eq_u32_e32 vcc_lo, 0, v0
	v_cndmask_b32_e32 v3, 0x7f800001, v2, vcc_lo
; %bb.5879:                             ;   in Loop: Header=BB6_5693 Depth=2
	s_or_b32 exec_lo, exec_lo, s29
.LBB6_5880:                             ;   in Loop: Header=BB6_5693 Depth=2
	s_delay_alu instid0(SALU_CYCLE_1)
	s_or_b32 exec_lo, exec_lo, s11
.LBB6_5881:                             ;   in Loop: Header=BB6_5693 Depth=2
	s_delay_alu instid0(SALU_CYCLE_1) | instskip(NEXT) | instid1(VALU_DEP_1)
	s_or_b32 exec_lo, exec_lo, s10
	v_dual_mul_f32 v2, s28, v3 :: v_dual_mov_b32 v5, v1
                                        ; implicit-def: $vgpr122
	s_mov_b32 s10, exec_lo
	s_delay_alu instid0(VALU_DEP_1) | instskip(SKIP_1) | instid1(VALU_DEP_2)
	v_and_b32_e32 v4, 0x7f800000, v2
	v_and_b32_e32 v0, 0x7fffff, v2
	v_cmpx_ne_u64_e32 0x7f800000, v[4:5]
	s_xor_b32 s11, exec_lo, s10
	s_cbranch_execz .LBB6_5899
; %bb.5882:                             ;   in Loop: Header=BB6_5693 Depth=2
	v_dual_mov_b32 v5, v1 :: v_dual_lshrrev_b32 v3, 24, v2
	v_and_b32_e32 v4, 0x7fffffff, v2
                                        ; implicit-def: $vgpr122
	s_mov_b32 s10, exec_lo
	s_delay_alu instid0(VALU_DEP_2) | instskip(NEXT) | instid1(VALU_DEP_2)
	v_and_b32_e32 v6, 0x80, v3
	v_cmpx_gt_u64_e32 0x47600001, v[4:5]
	s_xor_b32 s29, exec_lo, s10
	s_cbranch_execz .LBB6_5896
; %bb.5883:                             ;   in Loop: Header=BB6_5693 Depth=2
	v_mov_b32_e32 v122, 0
	s_mov_b32 s40, exec_lo
	v_cmpx_ne_u32_e32 0, v2
	s_cbranch_execz .LBB6_5895
; %bb.5884:                             ;   in Loop: Header=BB6_5693 Depth=2
	v_bfe_u32 v7, v2, 23, 8
	v_or_b32_e32 v4, 0x800000, v0
	s_mov_b32 s41, exec_lo
	s_delay_alu instid0(VALU_DEP_2) | instskip(SKIP_1) | instid1(VALU_DEP_2)
	v_dual_mov_b32 v5, v1 :: v_dual_sub_nc_u32 v2, 0x71, v7
	v_cmp_gt_u32_e32 vcc_lo, 0x72, v7
	v_cndmask_b32_e32 v2, 0, v2, vcc_lo
	v_cmp_eq_u32_e32 vcc_lo, 0, v7
	s_delay_alu instid0(VALU_DEP_2) | instskip(SKIP_1) | instid1(VALU_DEP_2)
	v_cndmask_b32_e64 v8, v2, 0x70, vcc_lo
	v_cndmask_b32_e32 v4, v4, v0, vcc_lo
	v_dual_add_nc_u32 v2, 21, v8 :: v_dual_add_nc_u32 v9, 20, v8
	s_delay_alu instid0(VALU_DEP_1) | instskip(NEXT) | instid1(VALU_DEP_2)
	v_lshlrev_b64_e64 v[2:3], v2, -1
	v_lshlrev_b64_e64 v[16:17], v9, 1
	s_delay_alu instid0(VALU_DEP_2) | instskip(NEXT) | instid1(VALU_DEP_3)
	v_bfi_b32 v19, v3, 0, 0
	v_bfi_b32 v18, v2, 0, v4
	v_lshrrev_b64 v[2:3], v8, v[4:5]
	s_delay_alu instid0(VALU_DEP_1) | instskip(NEXT) | instid1(VALU_DEP_3)
	v_mov_b64_e32 v[4:5], v[2:3]
	v_cmpx_eq_u64_e64 v[18:19], v[16:17]
; %bb.5885:                             ;   in Loop: Header=BB6_5693 Depth=2
	v_bfe_u32 v4, v2, 21, 1
	v_mov_b32_e32 v5, v1
	s_delay_alu instid0(VALU_DEP_1) | instskip(NEXT) | instid1(VALU_DEP_1)
	v_add_nc_u64_e32 v[4:5], v[2:3], v[4:5]
	v_add_nc_u64_e32 v[4:5], -1, v[4:5]
; %bb.5886:                             ;   in Loop: Header=BB6_5693 Depth=2
	s_or_b32 exec_lo, exec_lo, s41
	v_add_nc_u32_e32 v0, 0xffffff81, v7
	s_delay_alu instid0(VALU_DEP_2) | instskip(SKIP_2) | instid1(VALU_DEP_3)
	v_and_b32_e32 v4, 0x1fffff, v4
	v_lshrrev_b32_e32 v3, 23, v2
	s_mov_b32 s10, exec_lo
	v_cndmask_b32_e64 v0, v0, 0xffffff82, vcc_lo
	s_delay_alu instid0(VALU_DEP_1) | instskip(SKIP_1) | instid1(VALU_DEP_2)
	v_add3_u32 v5, v8, v0, v3
	v_add_nc_u32_e32 v0, v4, v2
                                        ; implicit-def: $vgpr2_vgpr3
                                        ; implicit-def: $vgpr4
	v_add_nc_u32_e32 v7, 14, v5
	s_delay_alu instid0(VALU_DEP_1)
	v_cmpx_ne_u32_e32 0, v7
	s_xor_b32 s10, exec_lo, s10
; %bb.5887:                             ;   in Loop: Header=BB6_5693 Depth=2
	s_delay_alu instid0(VALU_DEP_3) | instskip(SKIP_1) | instid1(VALU_DEP_1)
	v_cmp_lt_u64_e32 vcc_lo, 0xffffff, v[0:1]
	v_add_nc_u32_e32 v2, 15, v5
	v_cndmask_b32_e32 v4, v7, v2, vcc_lo
	v_cndmask_b32_e64 v2, 0, 1, vcc_lo
	s_delay_alu instid0(VALU_DEP_1)
	v_lshrrev_b64 v[2:3], v2, v[0:1]
; %bb.5888:                             ;   in Loop: Header=BB6_5693 Depth=2
	s_and_not1_saveexec_b32 s10, s10
; %bb.5889:                             ;   in Loop: Header=BB6_5693 Depth=2
	v_mov_b64_e32 v[2:3], v[0:1]
	v_bfe_u32 v4, v0, 23, 1
; %bb.5890:                             ;   in Loop: Header=BB6_5693 Depth=2
	s_or_b32 exec_lo, exec_lo, s10
	s_delay_alu instid0(VALU_DEP_2) | instskip(NEXT) | instid1(VALU_DEP_2)
	v_lshrrev_b64 v[2:3], 21, v[2:3]
	v_cmp_gt_i32_e32 vcc_lo, 32, v4
	v_cmp_ne_u32_e64 s10, 0, v4
                                        ; implicit-def: $vgpr122
	s_delay_alu instid0(VALU_DEP_3) | instskip(NEXT) | instid1(VALU_DEP_1)
	v_dual_cndmask_b32 v3, 0, v3 :: v_dual_cndmask_b32 v2, 3, v2
	v_cmp_ne_u64_e32 vcc_lo, 0, v[2:3]
	s_or_b32 s10, s10, vcc_lo
	s_delay_alu instid0(SALU_CYCLE_1) | instskip(NEXT) | instid1(SALU_CYCLE_1)
	s_and_saveexec_b32 s41, s10
	s_xor_b32 s10, exec_lo, s41
; %bb.5891:                             ;   in Loop: Header=BB6_5693 Depth=2
	v_min_i32_e32 v0, 31, v4
	s_delay_alu instid0(VALU_DEP_1) | instskip(NEXT) | instid1(VALU_DEP_1)
	v_lshl_or_b32 v0, v0, 2, v6
                                        ; implicit-def: $vgpr6
	v_and_or_b32 v122, v2, 3, v0
; %bb.5892:                             ;   in Loop: Header=BB6_5693 Depth=2
	s_and_not1_saveexec_b32 s10, s10
; %bb.5893:                             ;   in Loop: Header=BB6_5693 Depth=2
	v_mov_b32_e32 v122, v6
; %bb.5894:                             ;   in Loop: Header=BB6_5693 Depth=2
	s_or_b32 exec_lo, exec_lo, s10
.LBB6_5895:                             ;   in Loop: Header=BB6_5693 Depth=2
	s_delay_alu instid0(SALU_CYCLE_1)
	s_or_b32 exec_lo, exec_lo, s40
                                        ; implicit-def: $vgpr6
.LBB6_5896:                             ;   in Loop: Header=BB6_5693 Depth=2
	s_and_not1_saveexec_b32 s10, s29
; %bb.5897:                             ;   in Loop: Header=BB6_5693 Depth=2
	v_or_b32_e32 v122, 0x7b, v6
; %bb.5898:                             ;   in Loop: Header=BB6_5693 Depth=2
	s_or_b32 exec_lo, exec_lo, s10
                                        ; implicit-def: $vgpr2
.LBB6_5899:                             ;   in Loop: Header=BB6_5693 Depth=2
	s_and_not1_saveexec_b32 s10, s11
	s_cbranch_execz .LBB6_5905
; %bb.5900:                             ;   in Loop: Header=BB6_5693 Depth=2
	s_mov_b32 s11, exec_lo
                                        ; implicit-def: $vgpr122
	v_cmpx_ne_u64_e32 0, v[0:1]
	s_xor_b32 s11, exec_lo, s11
; %bb.5901:                             ;   in Loop: Header=BB6_5693 Depth=2
	v_lshrrev_b32_e32 v0, 24, v2
                                        ; implicit-def: $vgpr2
	s_delay_alu instid0(VALU_DEP_1)
	v_or_b32_e32 v122, 0x7f, v0
; %bb.5902:                             ;   in Loop: Header=BB6_5693 Depth=2
	s_and_not1_saveexec_b32 s11, s11
; %bb.5903:                             ;   in Loop: Header=BB6_5693 Depth=2
	v_cmp_lt_i32_e32 vcc_lo, -1, v2
	v_cndmask_b32_e64 v122, -4, 0x7c, vcc_lo
; %bb.5904:                             ;   in Loop: Header=BB6_5693 Depth=2
	s_or_b32 exec_lo, exec_lo, s11
.LBB6_5905:                             ;   in Loop: Header=BB6_5693 Depth=2
	s_delay_alu instid0(SALU_CYCLE_1)
	s_or_b32 exec_lo, exec_lo, s10
	flat_load_i8 v2, v[10:11] offset:192 th:TH_LOAD_NT
	v_mov_b32_e32 v3, 0
	s_mov_b32 s10, exec_lo
	s_wait_loadcnt_dscnt 0x0
	v_cmpx_ne_u16_e32 0, v2
	s_cbranch_execz .LBB6_5915
; %bb.5906:                             ;   in Loop: Header=BB6_5693 Depth=2
	v_bfrev_b32_e32 v3, 1
	s_mov_b32 s11, exec_lo
	v_cmpx_ne_u16_e32 0xff80, v2
	s_cbranch_execz .LBB6_5914
; %bb.5907:                             ;   in Loop: Header=BB6_5693 Depth=2
	v_and_b32_e32 v3, 0x7c, v2
	v_and_b32_e32 v0, 3, v2
	s_delay_alu instid0(VALU_DEP_2) | instskip(SKIP_1) | instid1(SALU_CYCLE_1)
	v_cmp_ne_u32_e32 vcc_lo, 0x7c, v3
                                        ; implicit-def: $vgpr3
	s_and_saveexec_b32 s29, vcc_lo
	s_xor_b32 s29, exec_lo, s29
	s_cbranch_execz .LBB6_5911
; %bb.5908:                             ;   in Loop: Header=BB6_5693 Depth=2
	v_and_b32_e32 v3, 0xff, v2
	s_mov_b32 s40, exec_lo
	s_delay_alu instid0(VALU_DEP_1) | instskip(NEXT) | instid1(VALU_DEP_1)
	v_bfe_u32 v3, v3, 2, 5
	v_cmpx_eq_u32_e32 0, v3
	s_cbranch_execz .LBB6_5910
; %bb.5909:                             ;   in Loop: Header=BB6_5693 Depth=2
	v_clz_i32_u32_e32 v0, v0
	v_mov_b32_e32 v3, v1
	s_delay_alu instid0(VALU_DEP_2) | instskip(NEXT) | instid1(VALU_DEP_1)
	v_min_u32_e32 v0, 32, v0
	v_subrev_nc_u32_e32 v4, 29, v0
	s_delay_alu instid0(VALU_DEP_1) | instskip(SKIP_1) | instid1(VALU_DEP_2)
	v_lshlrev_b64_e32 v[4:5], v4, v[2:3]
	v_sub_nc_u32_e32 v3, 30, v0
	v_and_b32_e32 v0, 3, v4
.LBB6_5910:                             ;   in Loop: Header=BB6_5693 Depth=2
	s_or_b32 exec_lo, exec_lo, s40
	v_bfe_i32 v2, v2, 0, 16
	s_delay_alu instid0(VALU_DEP_1) | instskip(NEXT) | instid1(VALU_DEP_1)
	v_and_b32_e32 v2, 0x80000000, v2
	v_lshl_add_u32 v2, v3, 23, v2
	s_delay_alu instid0(VALU_DEP_1) | instskip(NEXT) | instid1(VALU_DEP_1)
	v_lshl_or_b32 v0, v0, 21, v2
                                        ; implicit-def: $vgpr2
	v_add_nc_u32_e32 v3, 0x38000000, v0
                                        ; implicit-def: $vgpr0
.LBB6_5911:                             ;   in Loop: Header=BB6_5693 Depth=2
	s_and_not1_saveexec_b32 s29, s29
; %bb.5912:                             ;   in Loop: Header=BB6_5693 Depth=2
	v_cmp_lt_i16_e32 vcc_lo, -1, v2
	v_mov_b32_e32 v2, 0x7f800000
	s_delay_alu instid0(VALU_DEP_1) | instskip(SKIP_1) | instid1(VALU_DEP_2)
	v_cndmask_b32_e32 v2, 0xff800000, v2, vcc_lo
	v_cmp_eq_u32_e32 vcc_lo, 0, v0
	v_cndmask_b32_e32 v3, 0x7f800001, v2, vcc_lo
; %bb.5913:                             ;   in Loop: Header=BB6_5693 Depth=2
	s_or_b32 exec_lo, exec_lo, s29
.LBB6_5914:                             ;   in Loop: Header=BB6_5693 Depth=2
	s_delay_alu instid0(SALU_CYCLE_1)
	s_or_b32 exec_lo, exec_lo, s11
.LBB6_5915:                             ;   in Loop: Header=BB6_5693 Depth=2
	s_delay_alu instid0(SALU_CYCLE_1) | instskip(NEXT) | instid1(VALU_DEP_1)
	s_or_b32 exec_lo, exec_lo, s10
	v_dual_mul_f32 v2, s28, v3 :: v_dual_mov_b32 v5, v1
                                        ; implicit-def: $vgpr120
	s_mov_b32 s10, exec_lo
	s_delay_alu instid0(VALU_DEP_1) | instskip(SKIP_1) | instid1(VALU_DEP_2)
	v_and_b32_e32 v4, 0x7f800000, v2
	v_and_b32_e32 v0, 0x7fffff, v2
	v_cmpx_ne_u64_e32 0x7f800000, v[4:5]
	s_xor_b32 s11, exec_lo, s10
	s_cbranch_execz .LBB6_5933
; %bb.5916:                             ;   in Loop: Header=BB6_5693 Depth=2
	v_dual_mov_b32 v5, v1 :: v_dual_lshrrev_b32 v3, 24, v2
	v_and_b32_e32 v4, 0x7fffffff, v2
                                        ; implicit-def: $vgpr120
	s_mov_b32 s10, exec_lo
	s_delay_alu instid0(VALU_DEP_2) | instskip(NEXT) | instid1(VALU_DEP_2)
	v_and_b32_e32 v6, 0x80, v3
	v_cmpx_gt_u64_e32 0x47600001, v[4:5]
	s_xor_b32 s29, exec_lo, s10
	s_cbranch_execz .LBB6_5930
; %bb.5917:                             ;   in Loop: Header=BB6_5693 Depth=2
	v_mov_b32_e32 v120, 0
	s_mov_b32 s40, exec_lo
	v_cmpx_ne_u32_e32 0, v2
	s_cbranch_execz .LBB6_5929
; %bb.5918:                             ;   in Loop: Header=BB6_5693 Depth=2
	v_bfe_u32 v7, v2, 23, 8
	v_or_b32_e32 v4, 0x800000, v0
	s_mov_b32 s41, exec_lo
	s_delay_alu instid0(VALU_DEP_2) | instskip(SKIP_1) | instid1(VALU_DEP_2)
	v_dual_mov_b32 v5, v1 :: v_dual_sub_nc_u32 v2, 0x71, v7
	v_cmp_gt_u32_e32 vcc_lo, 0x72, v7
	v_cndmask_b32_e32 v2, 0, v2, vcc_lo
	v_cmp_eq_u32_e32 vcc_lo, 0, v7
	s_delay_alu instid0(VALU_DEP_2) | instskip(SKIP_1) | instid1(VALU_DEP_2)
	v_cndmask_b32_e64 v8, v2, 0x70, vcc_lo
	v_cndmask_b32_e32 v4, v4, v0, vcc_lo
	v_dual_add_nc_u32 v2, 21, v8 :: v_dual_add_nc_u32 v9, 20, v8
	s_delay_alu instid0(VALU_DEP_1) | instskip(NEXT) | instid1(VALU_DEP_2)
	v_lshlrev_b64_e64 v[2:3], v2, -1
	v_lshlrev_b64_e64 v[16:17], v9, 1
	s_delay_alu instid0(VALU_DEP_2) | instskip(NEXT) | instid1(VALU_DEP_3)
	v_bfi_b32 v19, v3, 0, 0
	v_bfi_b32 v18, v2, 0, v4
	v_lshrrev_b64 v[2:3], v8, v[4:5]
	s_delay_alu instid0(VALU_DEP_1) | instskip(NEXT) | instid1(VALU_DEP_3)
	v_mov_b64_e32 v[4:5], v[2:3]
	v_cmpx_eq_u64_e64 v[18:19], v[16:17]
; %bb.5919:                             ;   in Loop: Header=BB6_5693 Depth=2
	v_bfe_u32 v4, v2, 21, 1
	v_mov_b32_e32 v5, v1
	s_delay_alu instid0(VALU_DEP_1) | instskip(NEXT) | instid1(VALU_DEP_1)
	v_add_nc_u64_e32 v[4:5], v[2:3], v[4:5]
	v_add_nc_u64_e32 v[4:5], -1, v[4:5]
; %bb.5920:                             ;   in Loop: Header=BB6_5693 Depth=2
	s_or_b32 exec_lo, exec_lo, s41
	v_add_nc_u32_e32 v0, 0xffffff81, v7
	s_delay_alu instid0(VALU_DEP_2) | instskip(SKIP_2) | instid1(VALU_DEP_3)
	v_and_b32_e32 v4, 0x1fffff, v4
	v_lshrrev_b32_e32 v3, 23, v2
	s_mov_b32 s10, exec_lo
	v_cndmask_b32_e64 v0, v0, 0xffffff82, vcc_lo
	s_delay_alu instid0(VALU_DEP_1) | instskip(SKIP_1) | instid1(VALU_DEP_2)
	v_add3_u32 v5, v8, v0, v3
	v_add_nc_u32_e32 v0, v4, v2
                                        ; implicit-def: $vgpr2_vgpr3
                                        ; implicit-def: $vgpr4
	v_add_nc_u32_e32 v7, 14, v5
	s_delay_alu instid0(VALU_DEP_1)
	v_cmpx_ne_u32_e32 0, v7
	s_xor_b32 s10, exec_lo, s10
; %bb.5921:                             ;   in Loop: Header=BB6_5693 Depth=2
	s_delay_alu instid0(VALU_DEP_3) | instskip(SKIP_1) | instid1(VALU_DEP_1)
	v_cmp_lt_u64_e32 vcc_lo, 0xffffff, v[0:1]
	v_add_nc_u32_e32 v2, 15, v5
	v_cndmask_b32_e32 v4, v7, v2, vcc_lo
	v_cndmask_b32_e64 v2, 0, 1, vcc_lo
	s_delay_alu instid0(VALU_DEP_1)
	v_lshrrev_b64 v[2:3], v2, v[0:1]
; %bb.5922:                             ;   in Loop: Header=BB6_5693 Depth=2
	s_and_not1_saveexec_b32 s10, s10
; %bb.5923:                             ;   in Loop: Header=BB6_5693 Depth=2
	v_mov_b64_e32 v[2:3], v[0:1]
	v_bfe_u32 v4, v0, 23, 1
; %bb.5924:                             ;   in Loop: Header=BB6_5693 Depth=2
	s_or_b32 exec_lo, exec_lo, s10
	s_delay_alu instid0(VALU_DEP_2) | instskip(NEXT) | instid1(VALU_DEP_2)
	v_lshrrev_b64 v[2:3], 21, v[2:3]
	v_cmp_gt_i32_e32 vcc_lo, 32, v4
	v_cmp_ne_u32_e64 s10, 0, v4
                                        ; implicit-def: $vgpr120
	s_delay_alu instid0(VALU_DEP_3) | instskip(NEXT) | instid1(VALU_DEP_1)
	v_dual_cndmask_b32 v3, 0, v3 :: v_dual_cndmask_b32 v2, 3, v2
	v_cmp_ne_u64_e32 vcc_lo, 0, v[2:3]
	s_or_b32 s10, s10, vcc_lo
	s_delay_alu instid0(SALU_CYCLE_1) | instskip(NEXT) | instid1(SALU_CYCLE_1)
	s_and_saveexec_b32 s41, s10
	s_xor_b32 s10, exec_lo, s41
; %bb.5925:                             ;   in Loop: Header=BB6_5693 Depth=2
	v_min_i32_e32 v0, 31, v4
	s_delay_alu instid0(VALU_DEP_1) | instskip(NEXT) | instid1(VALU_DEP_1)
	v_lshl_or_b32 v0, v0, 2, v6
                                        ; implicit-def: $vgpr6
	v_and_or_b32 v120, v2, 3, v0
; %bb.5926:                             ;   in Loop: Header=BB6_5693 Depth=2
	s_and_not1_saveexec_b32 s10, s10
; %bb.5927:                             ;   in Loop: Header=BB6_5693 Depth=2
	v_mov_b32_e32 v120, v6
; %bb.5928:                             ;   in Loop: Header=BB6_5693 Depth=2
	s_or_b32 exec_lo, exec_lo, s10
.LBB6_5929:                             ;   in Loop: Header=BB6_5693 Depth=2
	s_delay_alu instid0(SALU_CYCLE_1)
	s_or_b32 exec_lo, exec_lo, s40
                                        ; implicit-def: $vgpr6
.LBB6_5930:                             ;   in Loop: Header=BB6_5693 Depth=2
	s_and_not1_saveexec_b32 s10, s29
; %bb.5931:                             ;   in Loop: Header=BB6_5693 Depth=2
	v_or_b32_e32 v120, 0x7b, v6
; %bb.5932:                             ;   in Loop: Header=BB6_5693 Depth=2
	s_or_b32 exec_lo, exec_lo, s10
                                        ; implicit-def: $vgpr2
.LBB6_5933:                             ;   in Loop: Header=BB6_5693 Depth=2
	s_and_not1_saveexec_b32 s10, s11
	s_cbranch_execz .LBB6_5939
; %bb.5934:                             ;   in Loop: Header=BB6_5693 Depth=2
	s_mov_b32 s11, exec_lo
                                        ; implicit-def: $vgpr120
	v_cmpx_ne_u64_e32 0, v[0:1]
	s_xor_b32 s11, exec_lo, s11
; %bb.5935:                             ;   in Loop: Header=BB6_5693 Depth=2
	v_lshrrev_b32_e32 v0, 24, v2
                                        ; implicit-def: $vgpr2
	s_delay_alu instid0(VALU_DEP_1)
	v_or_b32_e32 v120, 0x7f, v0
; %bb.5936:                             ;   in Loop: Header=BB6_5693 Depth=2
	s_and_not1_saveexec_b32 s11, s11
; %bb.5937:                             ;   in Loop: Header=BB6_5693 Depth=2
	v_cmp_lt_i32_e32 vcc_lo, -1, v2
	v_cndmask_b32_e64 v120, -4, 0x7c, vcc_lo
; %bb.5938:                             ;   in Loop: Header=BB6_5693 Depth=2
	s_or_b32 exec_lo, exec_lo, s11
.LBB6_5939:                             ;   in Loop: Header=BB6_5693 Depth=2
	s_delay_alu instid0(SALU_CYCLE_1)
	s_or_b32 exec_lo, exec_lo, s10
	flat_load_i8 v2, v[10:11] offset:224 th:TH_LOAD_NT
	v_mov_b32_e32 v3, 0
	s_mov_b32 s10, exec_lo
	s_wait_loadcnt_dscnt 0x0
	v_cmpx_ne_u16_e32 0, v2
	s_cbranch_execz .LBB6_5949
; %bb.5940:                             ;   in Loop: Header=BB6_5693 Depth=2
	v_bfrev_b32_e32 v3, 1
	s_mov_b32 s11, exec_lo
	v_cmpx_ne_u16_e32 0xff80, v2
	s_cbranch_execz .LBB6_5948
; %bb.5941:                             ;   in Loop: Header=BB6_5693 Depth=2
	v_and_b32_e32 v3, 0x7c, v2
	v_and_b32_e32 v0, 3, v2
	s_delay_alu instid0(VALU_DEP_2) | instskip(SKIP_1) | instid1(SALU_CYCLE_1)
	v_cmp_ne_u32_e32 vcc_lo, 0x7c, v3
                                        ; implicit-def: $vgpr3
	s_and_saveexec_b32 s29, vcc_lo
	s_xor_b32 s29, exec_lo, s29
	s_cbranch_execz .LBB6_5945
; %bb.5942:                             ;   in Loop: Header=BB6_5693 Depth=2
	v_and_b32_e32 v3, 0xff, v2
	s_mov_b32 s40, exec_lo
	s_delay_alu instid0(VALU_DEP_1) | instskip(NEXT) | instid1(VALU_DEP_1)
	v_bfe_u32 v3, v3, 2, 5
	v_cmpx_eq_u32_e32 0, v3
	s_cbranch_execz .LBB6_5944
; %bb.5943:                             ;   in Loop: Header=BB6_5693 Depth=2
	v_clz_i32_u32_e32 v0, v0
	v_mov_b32_e32 v3, v1
	s_delay_alu instid0(VALU_DEP_2) | instskip(NEXT) | instid1(VALU_DEP_1)
	v_min_u32_e32 v0, 32, v0
	v_subrev_nc_u32_e32 v4, 29, v0
	s_delay_alu instid0(VALU_DEP_1) | instskip(SKIP_1) | instid1(VALU_DEP_2)
	v_lshlrev_b64_e32 v[4:5], v4, v[2:3]
	v_sub_nc_u32_e32 v3, 30, v0
	v_and_b32_e32 v0, 3, v4
.LBB6_5944:                             ;   in Loop: Header=BB6_5693 Depth=2
	s_or_b32 exec_lo, exec_lo, s40
	v_bfe_i32 v2, v2, 0, 16
	s_delay_alu instid0(VALU_DEP_1) | instskip(NEXT) | instid1(VALU_DEP_1)
	v_and_b32_e32 v2, 0x80000000, v2
	v_lshl_add_u32 v2, v3, 23, v2
	s_delay_alu instid0(VALU_DEP_1) | instskip(NEXT) | instid1(VALU_DEP_1)
	v_lshl_or_b32 v0, v0, 21, v2
                                        ; implicit-def: $vgpr2
	v_add_nc_u32_e32 v3, 0x38000000, v0
                                        ; implicit-def: $vgpr0
.LBB6_5945:                             ;   in Loop: Header=BB6_5693 Depth=2
	s_and_not1_saveexec_b32 s29, s29
; %bb.5946:                             ;   in Loop: Header=BB6_5693 Depth=2
	v_cmp_lt_i16_e32 vcc_lo, -1, v2
	v_mov_b32_e32 v2, 0x7f800000
	s_delay_alu instid0(VALU_DEP_1) | instskip(SKIP_1) | instid1(VALU_DEP_2)
	v_cndmask_b32_e32 v2, 0xff800000, v2, vcc_lo
	v_cmp_eq_u32_e32 vcc_lo, 0, v0
	v_cndmask_b32_e32 v3, 0x7f800001, v2, vcc_lo
; %bb.5947:                             ;   in Loop: Header=BB6_5693 Depth=2
	s_or_b32 exec_lo, exec_lo, s29
.LBB6_5948:                             ;   in Loop: Header=BB6_5693 Depth=2
	s_delay_alu instid0(SALU_CYCLE_1)
	s_or_b32 exec_lo, exec_lo, s11
.LBB6_5949:                             ;   in Loop: Header=BB6_5693 Depth=2
	s_delay_alu instid0(SALU_CYCLE_1) | instskip(NEXT) | instid1(VALU_DEP_1)
	s_or_b32 exec_lo, exec_lo, s10
	v_dual_mul_f32 v2, s28, v3 :: v_dual_mov_b32 v5, v1
                                        ; implicit-def: $vgpr108
	s_mov_b32 s10, exec_lo
	s_delay_alu instid0(VALU_DEP_1) | instskip(SKIP_1) | instid1(VALU_DEP_2)
	v_and_b32_e32 v4, 0x7f800000, v2
	v_and_b32_e32 v0, 0x7fffff, v2
	v_cmpx_ne_u64_e32 0x7f800000, v[4:5]
	s_xor_b32 s11, exec_lo, s10
	s_cbranch_execz .LBB6_5967
; %bb.5950:                             ;   in Loop: Header=BB6_5693 Depth=2
	v_dual_mov_b32 v5, v1 :: v_dual_lshrrev_b32 v3, 24, v2
	v_and_b32_e32 v4, 0x7fffffff, v2
                                        ; implicit-def: $vgpr108
	s_mov_b32 s10, exec_lo
	s_delay_alu instid0(VALU_DEP_2) | instskip(NEXT) | instid1(VALU_DEP_2)
	v_and_b32_e32 v6, 0x80, v3
	v_cmpx_gt_u64_e32 0x47600001, v[4:5]
	s_xor_b32 s29, exec_lo, s10
	s_cbranch_execz .LBB6_5964
; %bb.5951:                             ;   in Loop: Header=BB6_5693 Depth=2
	v_mov_b32_e32 v108, 0
	s_mov_b32 s40, exec_lo
	v_cmpx_ne_u32_e32 0, v2
	s_cbranch_execz .LBB6_5963
; %bb.5952:                             ;   in Loop: Header=BB6_5693 Depth=2
	v_bfe_u32 v7, v2, 23, 8
	v_or_b32_e32 v4, 0x800000, v0
	s_mov_b32 s41, exec_lo
	s_delay_alu instid0(VALU_DEP_2) | instskip(SKIP_1) | instid1(VALU_DEP_2)
	v_dual_mov_b32 v5, v1 :: v_dual_sub_nc_u32 v2, 0x71, v7
	v_cmp_gt_u32_e32 vcc_lo, 0x72, v7
	v_cndmask_b32_e32 v2, 0, v2, vcc_lo
	v_cmp_eq_u32_e32 vcc_lo, 0, v7
	s_delay_alu instid0(VALU_DEP_2) | instskip(SKIP_1) | instid1(VALU_DEP_2)
	v_cndmask_b32_e64 v8, v2, 0x70, vcc_lo
	v_cndmask_b32_e32 v4, v4, v0, vcc_lo
	v_dual_add_nc_u32 v2, 21, v8 :: v_dual_add_nc_u32 v9, 20, v8
	s_delay_alu instid0(VALU_DEP_1) | instskip(NEXT) | instid1(VALU_DEP_2)
	v_lshlrev_b64_e64 v[2:3], v2, -1
	v_lshlrev_b64_e64 v[16:17], v9, 1
	s_delay_alu instid0(VALU_DEP_2) | instskip(NEXT) | instid1(VALU_DEP_3)
	v_bfi_b32 v19, v3, 0, 0
	v_bfi_b32 v18, v2, 0, v4
	v_lshrrev_b64 v[2:3], v8, v[4:5]
	s_delay_alu instid0(VALU_DEP_1) | instskip(NEXT) | instid1(VALU_DEP_3)
	v_mov_b64_e32 v[4:5], v[2:3]
	v_cmpx_eq_u64_e64 v[18:19], v[16:17]
; %bb.5953:                             ;   in Loop: Header=BB6_5693 Depth=2
	v_bfe_u32 v4, v2, 21, 1
	v_mov_b32_e32 v5, v1
	s_delay_alu instid0(VALU_DEP_1) | instskip(NEXT) | instid1(VALU_DEP_1)
	v_add_nc_u64_e32 v[4:5], v[2:3], v[4:5]
	v_add_nc_u64_e32 v[4:5], -1, v[4:5]
; %bb.5954:                             ;   in Loop: Header=BB6_5693 Depth=2
	s_or_b32 exec_lo, exec_lo, s41
	v_add_nc_u32_e32 v0, 0xffffff81, v7
	s_delay_alu instid0(VALU_DEP_2) | instskip(SKIP_2) | instid1(VALU_DEP_3)
	v_and_b32_e32 v4, 0x1fffff, v4
	v_lshrrev_b32_e32 v3, 23, v2
	s_mov_b32 s10, exec_lo
	v_cndmask_b32_e64 v0, v0, 0xffffff82, vcc_lo
	s_delay_alu instid0(VALU_DEP_1) | instskip(SKIP_1) | instid1(VALU_DEP_2)
	v_add3_u32 v5, v8, v0, v3
	v_add_nc_u32_e32 v0, v4, v2
                                        ; implicit-def: $vgpr2_vgpr3
                                        ; implicit-def: $vgpr4
	v_add_nc_u32_e32 v7, 14, v5
	s_delay_alu instid0(VALU_DEP_1)
	v_cmpx_ne_u32_e32 0, v7
	s_xor_b32 s10, exec_lo, s10
; %bb.5955:                             ;   in Loop: Header=BB6_5693 Depth=2
	s_delay_alu instid0(VALU_DEP_3) | instskip(SKIP_1) | instid1(VALU_DEP_1)
	v_cmp_lt_u64_e32 vcc_lo, 0xffffff, v[0:1]
	v_add_nc_u32_e32 v2, 15, v5
	v_cndmask_b32_e32 v4, v7, v2, vcc_lo
	v_cndmask_b32_e64 v2, 0, 1, vcc_lo
	s_delay_alu instid0(VALU_DEP_1)
	v_lshrrev_b64 v[2:3], v2, v[0:1]
; %bb.5956:                             ;   in Loop: Header=BB6_5693 Depth=2
	s_and_not1_saveexec_b32 s10, s10
; %bb.5957:                             ;   in Loop: Header=BB6_5693 Depth=2
	v_mov_b64_e32 v[2:3], v[0:1]
	v_bfe_u32 v4, v0, 23, 1
; %bb.5958:                             ;   in Loop: Header=BB6_5693 Depth=2
	s_or_b32 exec_lo, exec_lo, s10
	s_delay_alu instid0(VALU_DEP_2) | instskip(NEXT) | instid1(VALU_DEP_2)
	v_lshrrev_b64 v[2:3], 21, v[2:3]
	v_cmp_gt_i32_e32 vcc_lo, 32, v4
	v_cmp_ne_u32_e64 s10, 0, v4
                                        ; implicit-def: $vgpr108
	s_delay_alu instid0(VALU_DEP_3) | instskip(NEXT) | instid1(VALU_DEP_1)
	v_dual_cndmask_b32 v3, 0, v3 :: v_dual_cndmask_b32 v2, 3, v2
	v_cmp_ne_u64_e32 vcc_lo, 0, v[2:3]
	s_or_b32 s10, s10, vcc_lo
	s_delay_alu instid0(SALU_CYCLE_1) | instskip(NEXT) | instid1(SALU_CYCLE_1)
	s_and_saveexec_b32 s41, s10
	s_xor_b32 s10, exec_lo, s41
; %bb.5959:                             ;   in Loop: Header=BB6_5693 Depth=2
	v_min_i32_e32 v0, 31, v4
	s_delay_alu instid0(VALU_DEP_1) | instskip(NEXT) | instid1(VALU_DEP_1)
	v_lshl_or_b32 v0, v0, 2, v6
                                        ; implicit-def: $vgpr6
	v_and_or_b32 v108, v2, 3, v0
; %bb.5960:                             ;   in Loop: Header=BB6_5693 Depth=2
	s_and_not1_saveexec_b32 s10, s10
; %bb.5961:                             ;   in Loop: Header=BB6_5693 Depth=2
	v_mov_b32_e32 v108, v6
; %bb.5962:                             ;   in Loop: Header=BB6_5693 Depth=2
	s_or_b32 exec_lo, exec_lo, s10
.LBB6_5963:                             ;   in Loop: Header=BB6_5693 Depth=2
	s_delay_alu instid0(SALU_CYCLE_1)
	s_or_b32 exec_lo, exec_lo, s40
                                        ; implicit-def: $vgpr6
.LBB6_5964:                             ;   in Loop: Header=BB6_5693 Depth=2
	s_and_not1_saveexec_b32 s10, s29
; %bb.5965:                             ;   in Loop: Header=BB6_5693 Depth=2
	v_or_b32_e32 v108, 0x7b, v6
; %bb.5966:                             ;   in Loop: Header=BB6_5693 Depth=2
	s_or_b32 exec_lo, exec_lo, s10
                                        ; implicit-def: $vgpr2
.LBB6_5967:                             ;   in Loop: Header=BB6_5693 Depth=2
	s_and_not1_saveexec_b32 s10, s11
	s_cbranch_execz .LBB6_5973
; %bb.5968:                             ;   in Loop: Header=BB6_5693 Depth=2
	s_mov_b32 s11, exec_lo
                                        ; implicit-def: $vgpr108
	v_cmpx_ne_u64_e32 0, v[0:1]
	s_xor_b32 s11, exec_lo, s11
; %bb.5969:                             ;   in Loop: Header=BB6_5693 Depth=2
	v_lshrrev_b32_e32 v0, 24, v2
                                        ; implicit-def: $vgpr2
	s_delay_alu instid0(VALU_DEP_1)
	v_or_b32_e32 v108, 0x7f, v0
; %bb.5970:                             ;   in Loop: Header=BB6_5693 Depth=2
	s_and_not1_saveexec_b32 s11, s11
; %bb.5971:                             ;   in Loop: Header=BB6_5693 Depth=2
	v_cmp_lt_i32_e32 vcc_lo, -1, v2
	v_cndmask_b32_e64 v108, -4, 0x7c, vcc_lo
; %bb.5972:                             ;   in Loop: Header=BB6_5693 Depth=2
	s_or_b32 exec_lo, exec_lo, s11
.LBB6_5973:                             ;   in Loop: Header=BB6_5693 Depth=2
	s_delay_alu instid0(SALU_CYCLE_1)
	s_or_b32 exec_lo, exec_lo, s10
	flat_load_i8 v2, v[10:11] offset:256 th:TH_LOAD_NT
	v_mov_b32_e32 v3, 0
	s_mov_b32 s10, exec_lo
	s_wait_loadcnt_dscnt 0x0
	v_cmpx_ne_u16_e32 0, v2
	s_cbranch_execz .LBB6_5983
; %bb.5974:                             ;   in Loop: Header=BB6_5693 Depth=2
	v_bfrev_b32_e32 v3, 1
	s_mov_b32 s11, exec_lo
	v_cmpx_ne_u16_e32 0xff80, v2
	s_cbranch_execz .LBB6_5982
; %bb.5975:                             ;   in Loop: Header=BB6_5693 Depth=2
	v_and_b32_e32 v3, 0x7c, v2
	v_and_b32_e32 v0, 3, v2
	s_delay_alu instid0(VALU_DEP_2) | instskip(SKIP_1) | instid1(SALU_CYCLE_1)
	v_cmp_ne_u32_e32 vcc_lo, 0x7c, v3
                                        ; implicit-def: $vgpr3
	s_and_saveexec_b32 s29, vcc_lo
	s_xor_b32 s29, exec_lo, s29
	s_cbranch_execz .LBB6_5979
; %bb.5976:                             ;   in Loop: Header=BB6_5693 Depth=2
	v_and_b32_e32 v3, 0xff, v2
	s_mov_b32 s40, exec_lo
	s_delay_alu instid0(VALU_DEP_1) | instskip(NEXT) | instid1(VALU_DEP_1)
	v_bfe_u32 v3, v3, 2, 5
	v_cmpx_eq_u32_e32 0, v3
	s_cbranch_execz .LBB6_5978
; %bb.5977:                             ;   in Loop: Header=BB6_5693 Depth=2
	v_clz_i32_u32_e32 v0, v0
	v_mov_b32_e32 v3, v1
	s_delay_alu instid0(VALU_DEP_2) | instskip(NEXT) | instid1(VALU_DEP_1)
	v_min_u32_e32 v0, 32, v0
	v_subrev_nc_u32_e32 v4, 29, v0
	s_delay_alu instid0(VALU_DEP_1) | instskip(SKIP_1) | instid1(VALU_DEP_2)
	v_lshlrev_b64_e32 v[4:5], v4, v[2:3]
	v_sub_nc_u32_e32 v3, 30, v0
	v_and_b32_e32 v0, 3, v4
.LBB6_5978:                             ;   in Loop: Header=BB6_5693 Depth=2
	s_or_b32 exec_lo, exec_lo, s40
	v_bfe_i32 v2, v2, 0, 16
	s_delay_alu instid0(VALU_DEP_1) | instskip(NEXT) | instid1(VALU_DEP_1)
	v_and_b32_e32 v2, 0x80000000, v2
	v_lshl_add_u32 v2, v3, 23, v2
	s_delay_alu instid0(VALU_DEP_1) | instskip(NEXT) | instid1(VALU_DEP_1)
	v_lshl_or_b32 v0, v0, 21, v2
                                        ; implicit-def: $vgpr2
	v_add_nc_u32_e32 v3, 0x38000000, v0
                                        ; implicit-def: $vgpr0
.LBB6_5979:                             ;   in Loop: Header=BB6_5693 Depth=2
	s_and_not1_saveexec_b32 s29, s29
; %bb.5980:                             ;   in Loop: Header=BB6_5693 Depth=2
	v_cmp_lt_i16_e32 vcc_lo, -1, v2
	v_mov_b32_e32 v2, 0x7f800000
	s_delay_alu instid0(VALU_DEP_1) | instskip(SKIP_1) | instid1(VALU_DEP_2)
	v_cndmask_b32_e32 v2, 0xff800000, v2, vcc_lo
	v_cmp_eq_u32_e32 vcc_lo, 0, v0
	v_cndmask_b32_e32 v3, 0x7f800001, v2, vcc_lo
; %bb.5981:                             ;   in Loop: Header=BB6_5693 Depth=2
	s_or_b32 exec_lo, exec_lo, s29
.LBB6_5982:                             ;   in Loop: Header=BB6_5693 Depth=2
	s_delay_alu instid0(SALU_CYCLE_1)
	s_or_b32 exec_lo, exec_lo, s11
.LBB6_5983:                             ;   in Loop: Header=BB6_5693 Depth=2
	s_delay_alu instid0(SALU_CYCLE_1) | instskip(NEXT) | instid1(VALU_DEP_1)
	s_or_b32 exec_lo, exec_lo, s10
	v_dual_mul_f32 v2, s28, v3 :: v_dual_mov_b32 v5, v1
                                        ; implicit-def: $vgpr106
	s_mov_b32 s10, exec_lo
	s_delay_alu instid0(VALU_DEP_1) | instskip(SKIP_1) | instid1(VALU_DEP_2)
	v_and_b32_e32 v4, 0x7f800000, v2
	v_and_b32_e32 v0, 0x7fffff, v2
	v_cmpx_ne_u64_e32 0x7f800000, v[4:5]
	s_xor_b32 s11, exec_lo, s10
	s_cbranch_execz .LBB6_6001
; %bb.5984:                             ;   in Loop: Header=BB6_5693 Depth=2
	v_dual_mov_b32 v5, v1 :: v_dual_lshrrev_b32 v3, 24, v2
	v_and_b32_e32 v4, 0x7fffffff, v2
                                        ; implicit-def: $vgpr106
	s_mov_b32 s10, exec_lo
	s_delay_alu instid0(VALU_DEP_2) | instskip(NEXT) | instid1(VALU_DEP_2)
	v_and_b32_e32 v6, 0x80, v3
	v_cmpx_gt_u64_e32 0x47600001, v[4:5]
	s_xor_b32 s29, exec_lo, s10
	s_cbranch_execz .LBB6_5998
; %bb.5985:                             ;   in Loop: Header=BB6_5693 Depth=2
	v_mov_b32_e32 v106, 0
	s_mov_b32 s40, exec_lo
	v_cmpx_ne_u32_e32 0, v2
	s_cbranch_execz .LBB6_5997
; %bb.5986:                             ;   in Loop: Header=BB6_5693 Depth=2
	v_bfe_u32 v7, v2, 23, 8
	v_or_b32_e32 v4, 0x800000, v0
	s_mov_b32 s41, exec_lo
	s_delay_alu instid0(VALU_DEP_2) | instskip(SKIP_1) | instid1(VALU_DEP_2)
	v_dual_mov_b32 v5, v1 :: v_dual_sub_nc_u32 v2, 0x71, v7
	v_cmp_gt_u32_e32 vcc_lo, 0x72, v7
	v_cndmask_b32_e32 v2, 0, v2, vcc_lo
	v_cmp_eq_u32_e32 vcc_lo, 0, v7
	s_delay_alu instid0(VALU_DEP_2) | instskip(SKIP_1) | instid1(VALU_DEP_2)
	v_cndmask_b32_e64 v8, v2, 0x70, vcc_lo
	v_cndmask_b32_e32 v4, v4, v0, vcc_lo
	v_dual_add_nc_u32 v2, 21, v8 :: v_dual_add_nc_u32 v9, 20, v8
	s_delay_alu instid0(VALU_DEP_1) | instskip(NEXT) | instid1(VALU_DEP_2)
	v_lshlrev_b64_e64 v[2:3], v2, -1
	v_lshlrev_b64_e64 v[16:17], v9, 1
	s_delay_alu instid0(VALU_DEP_2) | instskip(NEXT) | instid1(VALU_DEP_3)
	v_bfi_b32 v19, v3, 0, 0
	v_bfi_b32 v18, v2, 0, v4
	v_lshrrev_b64 v[2:3], v8, v[4:5]
	s_delay_alu instid0(VALU_DEP_1) | instskip(NEXT) | instid1(VALU_DEP_3)
	v_mov_b64_e32 v[4:5], v[2:3]
	v_cmpx_eq_u64_e64 v[18:19], v[16:17]
; %bb.5987:                             ;   in Loop: Header=BB6_5693 Depth=2
	v_bfe_u32 v4, v2, 21, 1
	v_mov_b32_e32 v5, v1
	s_delay_alu instid0(VALU_DEP_1) | instskip(NEXT) | instid1(VALU_DEP_1)
	v_add_nc_u64_e32 v[4:5], v[2:3], v[4:5]
	v_add_nc_u64_e32 v[4:5], -1, v[4:5]
; %bb.5988:                             ;   in Loop: Header=BB6_5693 Depth=2
	s_or_b32 exec_lo, exec_lo, s41
	v_add_nc_u32_e32 v0, 0xffffff81, v7
	s_delay_alu instid0(VALU_DEP_2) | instskip(SKIP_2) | instid1(VALU_DEP_3)
	v_and_b32_e32 v4, 0x1fffff, v4
	v_lshrrev_b32_e32 v3, 23, v2
	s_mov_b32 s10, exec_lo
	v_cndmask_b32_e64 v0, v0, 0xffffff82, vcc_lo
	s_delay_alu instid0(VALU_DEP_1) | instskip(SKIP_1) | instid1(VALU_DEP_2)
	v_add3_u32 v5, v8, v0, v3
	v_add_nc_u32_e32 v0, v4, v2
                                        ; implicit-def: $vgpr2_vgpr3
                                        ; implicit-def: $vgpr4
	v_add_nc_u32_e32 v7, 14, v5
	s_delay_alu instid0(VALU_DEP_1)
	v_cmpx_ne_u32_e32 0, v7
	s_xor_b32 s10, exec_lo, s10
; %bb.5989:                             ;   in Loop: Header=BB6_5693 Depth=2
	s_delay_alu instid0(VALU_DEP_3) | instskip(SKIP_1) | instid1(VALU_DEP_1)
	v_cmp_lt_u64_e32 vcc_lo, 0xffffff, v[0:1]
	v_add_nc_u32_e32 v2, 15, v5
	v_cndmask_b32_e32 v4, v7, v2, vcc_lo
	v_cndmask_b32_e64 v2, 0, 1, vcc_lo
	s_delay_alu instid0(VALU_DEP_1)
	v_lshrrev_b64 v[2:3], v2, v[0:1]
; %bb.5990:                             ;   in Loop: Header=BB6_5693 Depth=2
	s_and_not1_saveexec_b32 s10, s10
; %bb.5991:                             ;   in Loop: Header=BB6_5693 Depth=2
	v_mov_b64_e32 v[2:3], v[0:1]
	v_bfe_u32 v4, v0, 23, 1
; %bb.5992:                             ;   in Loop: Header=BB6_5693 Depth=2
	s_or_b32 exec_lo, exec_lo, s10
	s_delay_alu instid0(VALU_DEP_2) | instskip(NEXT) | instid1(VALU_DEP_2)
	v_lshrrev_b64 v[2:3], 21, v[2:3]
	v_cmp_gt_i32_e32 vcc_lo, 32, v4
	v_cmp_ne_u32_e64 s10, 0, v4
                                        ; implicit-def: $vgpr106
	s_delay_alu instid0(VALU_DEP_3) | instskip(NEXT) | instid1(VALU_DEP_1)
	v_dual_cndmask_b32 v3, 0, v3 :: v_dual_cndmask_b32 v2, 3, v2
	v_cmp_ne_u64_e32 vcc_lo, 0, v[2:3]
	s_or_b32 s10, s10, vcc_lo
	s_delay_alu instid0(SALU_CYCLE_1) | instskip(NEXT) | instid1(SALU_CYCLE_1)
	s_and_saveexec_b32 s41, s10
	s_xor_b32 s10, exec_lo, s41
; %bb.5993:                             ;   in Loop: Header=BB6_5693 Depth=2
	v_min_i32_e32 v0, 31, v4
	s_delay_alu instid0(VALU_DEP_1) | instskip(NEXT) | instid1(VALU_DEP_1)
	v_lshl_or_b32 v0, v0, 2, v6
                                        ; implicit-def: $vgpr6
	v_and_or_b32 v106, v2, 3, v0
; %bb.5994:                             ;   in Loop: Header=BB6_5693 Depth=2
	s_and_not1_saveexec_b32 s10, s10
; %bb.5995:                             ;   in Loop: Header=BB6_5693 Depth=2
	v_mov_b32_e32 v106, v6
; %bb.5996:                             ;   in Loop: Header=BB6_5693 Depth=2
	s_or_b32 exec_lo, exec_lo, s10
.LBB6_5997:                             ;   in Loop: Header=BB6_5693 Depth=2
	s_delay_alu instid0(SALU_CYCLE_1)
	s_or_b32 exec_lo, exec_lo, s40
                                        ; implicit-def: $vgpr6
.LBB6_5998:                             ;   in Loop: Header=BB6_5693 Depth=2
	s_and_not1_saveexec_b32 s10, s29
; %bb.5999:                             ;   in Loop: Header=BB6_5693 Depth=2
	v_or_b32_e32 v106, 0x7b, v6
; %bb.6000:                             ;   in Loop: Header=BB6_5693 Depth=2
	s_or_b32 exec_lo, exec_lo, s10
                                        ; implicit-def: $vgpr2
.LBB6_6001:                             ;   in Loop: Header=BB6_5693 Depth=2
	s_and_not1_saveexec_b32 s10, s11
	s_cbranch_execz .LBB6_6007
; %bb.6002:                             ;   in Loop: Header=BB6_5693 Depth=2
	s_mov_b32 s11, exec_lo
                                        ; implicit-def: $vgpr106
	v_cmpx_ne_u64_e32 0, v[0:1]
	s_xor_b32 s11, exec_lo, s11
; %bb.6003:                             ;   in Loop: Header=BB6_5693 Depth=2
	v_lshrrev_b32_e32 v0, 24, v2
                                        ; implicit-def: $vgpr2
	s_delay_alu instid0(VALU_DEP_1)
	v_or_b32_e32 v106, 0x7f, v0
; %bb.6004:                             ;   in Loop: Header=BB6_5693 Depth=2
	s_and_not1_saveexec_b32 s11, s11
; %bb.6005:                             ;   in Loop: Header=BB6_5693 Depth=2
	v_cmp_lt_i32_e32 vcc_lo, -1, v2
	v_cndmask_b32_e64 v106, -4, 0x7c, vcc_lo
; %bb.6006:                             ;   in Loop: Header=BB6_5693 Depth=2
	s_or_b32 exec_lo, exec_lo, s11
.LBB6_6007:                             ;   in Loop: Header=BB6_5693 Depth=2
	s_delay_alu instid0(SALU_CYCLE_1)
	s_or_b32 exec_lo, exec_lo, s10
	flat_load_i8 v2, v[10:11] offset:288 th:TH_LOAD_NT
	v_mov_b32_e32 v3, 0
	s_mov_b32 s10, exec_lo
	s_wait_loadcnt_dscnt 0x0
	v_cmpx_ne_u16_e32 0, v2
	s_cbranch_execz .LBB6_6017
; %bb.6008:                             ;   in Loop: Header=BB6_5693 Depth=2
	v_bfrev_b32_e32 v3, 1
	s_mov_b32 s11, exec_lo
	v_cmpx_ne_u16_e32 0xff80, v2
	s_cbranch_execz .LBB6_6016
; %bb.6009:                             ;   in Loop: Header=BB6_5693 Depth=2
	v_and_b32_e32 v3, 0x7c, v2
	v_and_b32_e32 v0, 3, v2
	s_delay_alu instid0(VALU_DEP_2) | instskip(SKIP_1) | instid1(SALU_CYCLE_1)
	v_cmp_ne_u32_e32 vcc_lo, 0x7c, v3
                                        ; implicit-def: $vgpr3
	s_and_saveexec_b32 s29, vcc_lo
	s_xor_b32 s29, exec_lo, s29
	s_cbranch_execz .LBB6_6013
; %bb.6010:                             ;   in Loop: Header=BB6_5693 Depth=2
	v_and_b32_e32 v3, 0xff, v2
	s_mov_b32 s40, exec_lo
	s_delay_alu instid0(VALU_DEP_1) | instskip(NEXT) | instid1(VALU_DEP_1)
	v_bfe_u32 v3, v3, 2, 5
	v_cmpx_eq_u32_e32 0, v3
	s_cbranch_execz .LBB6_6012
; %bb.6011:                             ;   in Loop: Header=BB6_5693 Depth=2
	v_clz_i32_u32_e32 v0, v0
	v_mov_b32_e32 v3, v1
	s_delay_alu instid0(VALU_DEP_2) | instskip(NEXT) | instid1(VALU_DEP_1)
	v_min_u32_e32 v0, 32, v0
	v_subrev_nc_u32_e32 v4, 29, v0
	s_delay_alu instid0(VALU_DEP_1) | instskip(SKIP_1) | instid1(VALU_DEP_2)
	v_lshlrev_b64_e32 v[4:5], v4, v[2:3]
	v_sub_nc_u32_e32 v3, 30, v0
	v_and_b32_e32 v0, 3, v4
.LBB6_6012:                             ;   in Loop: Header=BB6_5693 Depth=2
	s_or_b32 exec_lo, exec_lo, s40
	v_bfe_i32 v2, v2, 0, 16
	s_delay_alu instid0(VALU_DEP_1) | instskip(NEXT) | instid1(VALU_DEP_1)
	v_and_b32_e32 v2, 0x80000000, v2
	v_lshl_add_u32 v2, v3, 23, v2
	s_delay_alu instid0(VALU_DEP_1) | instskip(NEXT) | instid1(VALU_DEP_1)
	v_lshl_or_b32 v0, v0, 21, v2
                                        ; implicit-def: $vgpr2
	v_add_nc_u32_e32 v3, 0x38000000, v0
                                        ; implicit-def: $vgpr0
.LBB6_6013:                             ;   in Loop: Header=BB6_5693 Depth=2
	s_and_not1_saveexec_b32 s29, s29
; %bb.6014:                             ;   in Loop: Header=BB6_5693 Depth=2
	v_cmp_lt_i16_e32 vcc_lo, -1, v2
	v_mov_b32_e32 v2, 0x7f800000
	s_delay_alu instid0(VALU_DEP_1) | instskip(SKIP_1) | instid1(VALU_DEP_2)
	v_cndmask_b32_e32 v2, 0xff800000, v2, vcc_lo
	v_cmp_eq_u32_e32 vcc_lo, 0, v0
	v_cndmask_b32_e32 v3, 0x7f800001, v2, vcc_lo
; %bb.6015:                             ;   in Loop: Header=BB6_5693 Depth=2
	s_or_b32 exec_lo, exec_lo, s29
.LBB6_6016:                             ;   in Loop: Header=BB6_5693 Depth=2
	s_delay_alu instid0(SALU_CYCLE_1)
	s_or_b32 exec_lo, exec_lo, s11
.LBB6_6017:                             ;   in Loop: Header=BB6_5693 Depth=2
	s_delay_alu instid0(SALU_CYCLE_1) | instskip(NEXT) | instid1(VALU_DEP_1)
	s_or_b32 exec_lo, exec_lo, s10
	v_dual_mul_f32 v2, s28, v3 :: v_dual_mov_b32 v5, v1
                                        ; implicit-def: $vgpr104
	s_mov_b32 s10, exec_lo
	s_delay_alu instid0(VALU_DEP_1) | instskip(SKIP_1) | instid1(VALU_DEP_2)
	v_and_b32_e32 v4, 0x7f800000, v2
	v_and_b32_e32 v0, 0x7fffff, v2
	v_cmpx_ne_u64_e32 0x7f800000, v[4:5]
	s_xor_b32 s11, exec_lo, s10
	s_cbranch_execz .LBB6_6035
; %bb.6018:                             ;   in Loop: Header=BB6_5693 Depth=2
	v_dual_mov_b32 v5, v1 :: v_dual_lshrrev_b32 v3, 24, v2
	v_and_b32_e32 v4, 0x7fffffff, v2
                                        ; implicit-def: $vgpr104
	s_mov_b32 s10, exec_lo
	s_delay_alu instid0(VALU_DEP_2) | instskip(NEXT) | instid1(VALU_DEP_2)
	v_and_b32_e32 v6, 0x80, v3
	v_cmpx_gt_u64_e32 0x47600001, v[4:5]
	s_xor_b32 s29, exec_lo, s10
	s_cbranch_execz .LBB6_6032
; %bb.6019:                             ;   in Loop: Header=BB6_5693 Depth=2
	v_mov_b32_e32 v104, 0
	s_mov_b32 s40, exec_lo
	v_cmpx_ne_u32_e32 0, v2
	s_cbranch_execz .LBB6_6031
; %bb.6020:                             ;   in Loop: Header=BB6_5693 Depth=2
	v_bfe_u32 v7, v2, 23, 8
	v_or_b32_e32 v4, 0x800000, v0
	s_mov_b32 s41, exec_lo
	s_delay_alu instid0(VALU_DEP_2) | instskip(SKIP_1) | instid1(VALU_DEP_2)
	v_dual_mov_b32 v5, v1 :: v_dual_sub_nc_u32 v2, 0x71, v7
	v_cmp_gt_u32_e32 vcc_lo, 0x72, v7
	v_cndmask_b32_e32 v2, 0, v2, vcc_lo
	v_cmp_eq_u32_e32 vcc_lo, 0, v7
	s_delay_alu instid0(VALU_DEP_2) | instskip(SKIP_1) | instid1(VALU_DEP_2)
	v_cndmask_b32_e64 v8, v2, 0x70, vcc_lo
	v_cndmask_b32_e32 v4, v4, v0, vcc_lo
	v_dual_add_nc_u32 v2, 21, v8 :: v_dual_add_nc_u32 v9, 20, v8
	s_delay_alu instid0(VALU_DEP_1) | instskip(NEXT) | instid1(VALU_DEP_2)
	v_lshlrev_b64_e64 v[2:3], v2, -1
	v_lshlrev_b64_e64 v[16:17], v9, 1
	s_delay_alu instid0(VALU_DEP_2) | instskip(NEXT) | instid1(VALU_DEP_3)
	v_bfi_b32 v19, v3, 0, 0
	v_bfi_b32 v18, v2, 0, v4
	v_lshrrev_b64 v[2:3], v8, v[4:5]
	s_delay_alu instid0(VALU_DEP_1) | instskip(NEXT) | instid1(VALU_DEP_3)
	v_mov_b64_e32 v[4:5], v[2:3]
	v_cmpx_eq_u64_e64 v[18:19], v[16:17]
; %bb.6021:                             ;   in Loop: Header=BB6_5693 Depth=2
	v_bfe_u32 v4, v2, 21, 1
	v_mov_b32_e32 v5, v1
	s_delay_alu instid0(VALU_DEP_1) | instskip(NEXT) | instid1(VALU_DEP_1)
	v_add_nc_u64_e32 v[4:5], v[2:3], v[4:5]
	v_add_nc_u64_e32 v[4:5], -1, v[4:5]
; %bb.6022:                             ;   in Loop: Header=BB6_5693 Depth=2
	s_or_b32 exec_lo, exec_lo, s41
	v_add_nc_u32_e32 v0, 0xffffff81, v7
	s_delay_alu instid0(VALU_DEP_2) | instskip(SKIP_2) | instid1(VALU_DEP_3)
	v_and_b32_e32 v4, 0x1fffff, v4
	v_lshrrev_b32_e32 v3, 23, v2
	s_mov_b32 s10, exec_lo
	v_cndmask_b32_e64 v0, v0, 0xffffff82, vcc_lo
	s_delay_alu instid0(VALU_DEP_1) | instskip(SKIP_1) | instid1(VALU_DEP_2)
	v_add3_u32 v5, v8, v0, v3
	v_add_nc_u32_e32 v0, v4, v2
                                        ; implicit-def: $vgpr2_vgpr3
                                        ; implicit-def: $vgpr4
	v_add_nc_u32_e32 v7, 14, v5
	s_delay_alu instid0(VALU_DEP_1)
	v_cmpx_ne_u32_e32 0, v7
	s_xor_b32 s10, exec_lo, s10
; %bb.6023:                             ;   in Loop: Header=BB6_5693 Depth=2
	s_delay_alu instid0(VALU_DEP_3) | instskip(SKIP_1) | instid1(VALU_DEP_1)
	v_cmp_lt_u64_e32 vcc_lo, 0xffffff, v[0:1]
	v_add_nc_u32_e32 v2, 15, v5
	v_cndmask_b32_e32 v4, v7, v2, vcc_lo
	v_cndmask_b32_e64 v2, 0, 1, vcc_lo
	s_delay_alu instid0(VALU_DEP_1)
	v_lshrrev_b64 v[2:3], v2, v[0:1]
; %bb.6024:                             ;   in Loop: Header=BB6_5693 Depth=2
	s_and_not1_saveexec_b32 s10, s10
; %bb.6025:                             ;   in Loop: Header=BB6_5693 Depth=2
	v_mov_b64_e32 v[2:3], v[0:1]
	v_bfe_u32 v4, v0, 23, 1
; %bb.6026:                             ;   in Loop: Header=BB6_5693 Depth=2
	s_or_b32 exec_lo, exec_lo, s10
	s_delay_alu instid0(VALU_DEP_2) | instskip(NEXT) | instid1(VALU_DEP_2)
	v_lshrrev_b64 v[2:3], 21, v[2:3]
	v_cmp_gt_i32_e32 vcc_lo, 32, v4
	v_cmp_ne_u32_e64 s10, 0, v4
                                        ; implicit-def: $vgpr104
	s_delay_alu instid0(VALU_DEP_3) | instskip(NEXT) | instid1(VALU_DEP_1)
	v_dual_cndmask_b32 v3, 0, v3 :: v_dual_cndmask_b32 v2, 3, v2
	v_cmp_ne_u64_e32 vcc_lo, 0, v[2:3]
	s_or_b32 s10, s10, vcc_lo
	s_delay_alu instid0(SALU_CYCLE_1) | instskip(NEXT) | instid1(SALU_CYCLE_1)
	s_and_saveexec_b32 s41, s10
	s_xor_b32 s10, exec_lo, s41
; %bb.6027:                             ;   in Loop: Header=BB6_5693 Depth=2
	v_min_i32_e32 v0, 31, v4
	s_delay_alu instid0(VALU_DEP_1) | instskip(NEXT) | instid1(VALU_DEP_1)
	v_lshl_or_b32 v0, v0, 2, v6
                                        ; implicit-def: $vgpr6
	v_and_or_b32 v104, v2, 3, v0
; %bb.6028:                             ;   in Loop: Header=BB6_5693 Depth=2
	s_and_not1_saveexec_b32 s10, s10
; %bb.6029:                             ;   in Loop: Header=BB6_5693 Depth=2
	v_mov_b32_e32 v104, v6
; %bb.6030:                             ;   in Loop: Header=BB6_5693 Depth=2
	s_or_b32 exec_lo, exec_lo, s10
.LBB6_6031:                             ;   in Loop: Header=BB6_5693 Depth=2
	s_delay_alu instid0(SALU_CYCLE_1)
	s_or_b32 exec_lo, exec_lo, s40
                                        ; implicit-def: $vgpr6
.LBB6_6032:                             ;   in Loop: Header=BB6_5693 Depth=2
	s_and_not1_saveexec_b32 s10, s29
; %bb.6033:                             ;   in Loop: Header=BB6_5693 Depth=2
	v_or_b32_e32 v104, 0x7b, v6
; %bb.6034:                             ;   in Loop: Header=BB6_5693 Depth=2
	s_or_b32 exec_lo, exec_lo, s10
                                        ; implicit-def: $vgpr2
.LBB6_6035:                             ;   in Loop: Header=BB6_5693 Depth=2
	s_and_not1_saveexec_b32 s10, s11
	s_cbranch_execz .LBB6_6041
; %bb.6036:                             ;   in Loop: Header=BB6_5693 Depth=2
	s_mov_b32 s11, exec_lo
                                        ; implicit-def: $vgpr104
	v_cmpx_ne_u64_e32 0, v[0:1]
	s_xor_b32 s11, exec_lo, s11
; %bb.6037:                             ;   in Loop: Header=BB6_5693 Depth=2
	v_lshrrev_b32_e32 v0, 24, v2
                                        ; implicit-def: $vgpr2
	s_delay_alu instid0(VALU_DEP_1)
	v_or_b32_e32 v104, 0x7f, v0
; %bb.6038:                             ;   in Loop: Header=BB6_5693 Depth=2
	s_and_not1_saveexec_b32 s11, s11
; %bb.6039:                             ;   in Loop: Header=BB6_5693 Depth=2
	v_cmp_lt_i32_e32 vcc_lo, -1, v2
	v_cndmask_b32_e64 v104, -4, 0x7c, vcc_lo
; %bb.6040:                             ;   in Loop: Header=BB6_5693 Depth=2
	s_or_b32 exec_lo, exec_lo, s11
.LBB6_6041:                             ;   in Loop: Header=BB6_5693 Depth=2
	s_delay_alu instid0(SALU_CYCLE_1)
	s_or_b32 exec_lo, exec_lo, s10
	flat_load_i8 v2, v[10:11] offset:320 th:TH_LOAD_NT
	v_mov_b32_e32 v3, 0
	s_mov_b32 s10, exec_lo
	s_wait_loadcnt_dscnt 0x0
	v_cmpx_ne_u16_e32 0, v2
	s_cbranch_execz .LBB6_6051
; %bb.6042:                             ;   in Loop: Header=BB6_5693 Depth=2
	v_bfrev_b32_e32 v3, 1
	s_mov_b32 s11, exec_lo
	v_cmpx_ne_u16_e32 0xff80, v2
	s_cbranch_execz .LBB6_6050
; %bb.6043:                             ;   in Loop: Header=BB6_5693 Depth=2
	v_and_b32_e32 v3, 0x7c, v2
	v_and_b32_e32 v0, 3, v2
	s_delay_alu instid0(VALU_DEP_2) | instskip(SKIP_1) | instid1(SALU_CYCLE_1)
	v_cmp_ne_u32_e32 vcc_lo, 0x7c, v3
                                        ; implicit-def: $vgpr3
	s_and_saveexec_b32 s29, vcc_lo
	s_xor_b32 s29, exec_lo, s29
	s_cbranch_execz .LBB6_6047
; %bb.6044:                             ;   in Loop: Header=BB6_5693 Depth=2
	v_and_b32_e32 v3, 0xff, v2
	s_mov_b32 s40, exec_lo
	s_delay_alu instid0(VALU_DEP_1) | instskip(NEXT) | instid1(VALU_DEP_1)
	v_bfe_u32 v3, v3, 2, 5
	v_cmpx_eq_u32_e32 0, v3
	s_cbranch_execz .LBB6_6046
; %bb.6045:                             ;   in Loop: Header=BB6_5693 Depth=2
	v_clz_i32_u32_e32 v0, v0
	v_mov_b32_e32 v3, v1
	s_delay_alu instid0(VALU_DEP_2) | instskip(NEXT) | instid1(VALU_DEP_1)
	v_min_u32_e32 v0, 32, v0
	v_subrev_nc_u32_e32 v4, 29, v0
	s_delay_alu instid0(VALU_DEP_1) | instskip(SKIP_1) | instid1(VALU_DEP_2)
	v_lshlrev_b64_e32 v[4:5], v4, v[2:3]
	v_sub_nc_u32_e32 v3, 30, v0
	v_and_b32_e32 v0, 3, v4
.LBB6_6046:                             ;   in Loop: Header=BB6_5693 Depth=2
	s_or_b32 exec_lo, exec_lo, s40
	v_bfe_i32 v2, v2, 0, 16
	s_delay_alu instid0(VALU_DEP_1) | instskip(NEXT) | instid1(VALU_DEP_1)
	v_and_b32_e32 v2, 0x80000000, v2
	v_lshl_add_u32 v2, v3, 23, v2
	s_delay_alu instid0(VALU_DEP_1) | instskip(NEXT) | instid1(VALU_DEP_1)
	v_lshl_or_b32 v0, v0, 21, v2
                                        ; implicit-def: $vgpr2
	v_add_nc_u32_e32 v3, 0x38000000, v0
                                        ; implicit-def: $vgpr0
.LBB6_6047:                             ;   in Loop: Header=BB6_5693 Depth=2
	s_and_not1_saveexec_b32 s29, s29
; %bb.6048:                             ;   in Loop: Header=BB6_5693 Depth=2
	v_cmp_lt_i16_e32 vcc_lo, -1, v2
	v_mov_b32_e32 v2, 0x7f800000
	s_delay_alu instid0(VALU_DEP_1) | instskip(SKIP_1) | instid1(VALU_DEP_2)
	v_cndmask_b32_e32 v2, 0xff800000, v2, vcc_lo
	v_cmp_eq_u32_e32 vcc_lo, 0, v0
	v_cndmask_b32_e32 v3, 0x7f800001, v2, vcc_lo
; %bb.6049:                             ;   in Loop: Header=BB6_5693 Depth=2
	s_or_b32 exec_lo, exec_lo, s29
.LBB6_6050:                             ;   in Loop: Header=BB6_5693 Depth=2
	s_delay_alu instid0(SALU_CYCLE_1)
	s_or_b32 exec_lo, exec_lo, s11
.LBB6_6051:                             ;   in Loop: Header=BB6_5693 Depth=2
	s_delay_alu instid0(SALU_CYCLE_1) | instskip(NEXT) | instid1(VALU_DEP_1)
	s_or_b32 exec_lo, exec_lo, s10
	v_dual_mul_f32 v2, s28, v3 :: v_dual_mov_b32 v5, v1
                                        ; implicit-def: $vgpr92
	s_mov_b32 s10, exec_lo
	s_delay_alu instid0(VALU_DEP_1) | instskip(SKIP_1) | instid1(VALU_DEP_2)
	v_and_b32_e32 v4, 0x7f800000, v2
	v_and_b32_e32 v0, 0x7fffff, v2
	v_cmpx_ne_u64_e32 0x7f800000, v[4:5]
	s_xor_b32 s11, exec_lo, s10
	s_cbranch_execz .LBB6_6069
; %bb.6052:                             ;   in Loop: Header=BB6_5693 Depth=2
	v_dual_mov_b32 v5, v1 :: v_dual_lshrrev_b32 v3, 24, v2
	v_and_b32_e32 v4, 0x7fffffff, v2
                                        ; implicit-def: $vgpr92
	s_mov_b32 s10, exec_lo
	s_delay_alu instid0(VALU_DEP_2) | instskip(NEXT) | instid1(VALU_DEP_2)
	v_and_b32_e32 v6, 0x80, v3
	v_cmpx_gt_u64_e32 0x47600001, v[4:5]
	s_xor_b32 s29, exec_lo, s10
	s_cbranch_execz .LBB6_6066
; %bb.6053:                             ;   in Loop: Header=BB6_5693 Depth=2
	v_mov_b32_e32 v92, 0
	s_mov_b32 s40, exec_lo
	v_cmpx_ne_u32_e32 0, v2
	s_cbranch_execz .LBB6_6065
; %bb.6054:                             ;   in Loop: Header=BB6_5693 Depth=2
	v_bfe_u32 v7, v2, 23, 8
	v_or_b32_e32 v4, 0x800000, v0
	s_mov_b32 s41, exec_lo
	s_delay_alu instid0(VALU_DEP_2) | instskip(SKIP_1) | instid1(VALU_DEP_2)
	v_dual_mov_b32 v5, v1 :: v_dual_sub_nc_u32 v2, 0x71, v7
	v_cmp_gt_u32_e32 vcc_lo, 0x72, v7
	v_cndmask_b32_e32 v2, 0, v2, vcc_lo
	v_cmp_eq_u32_e32 vcc_lo, 0, v7
	s_delay_alu instid0(VALU_DEP_2) | instskip(SKIP_1) | instid1(VALU_DEP_2)
	v_cndmask_b32_e64 v8, v2, 0x70, vcc_lo
	v_cndmask_b32_e32 v4, v4, v0, vcc_lo
	v_dual_add_nc_u32 v2, 21, v8 :: v_dual_add_nc_u32 v9, 20, v8
	s_delay_alu instid0(VALU_DEP_1) | instskip(NEXT) | instid1(VALU_DEP_2)
	v_lshlrev_b64_e64 v[2:3], v2, -1
	v_lshlrev_b64_e64 v[16:17], v9, 1
	s_delay_alu instid0(VALU_DEP_2) | instskip(NEXT) | instid1(VALU_DEP_3)
	v_bfi_b32 v19, v3, 0, 0
	v_bfi_b32 v18, v2, 0, v4
	v_lshrrev_b64 v[2:3], v8, v[4:5]
	s_delay_alu instid0(VALU_DEP_1) | instskip(NEXT) | instid1(VALU_DEP_3)
	v_mov_b64_e32 v[4:5], v[2:3]
	v_cmpx_eq_u64_e64 v[18:19], v[16:17]
; %bb.6055:                             ;   in Loop: Header=BB6_5693 Depth=2
	v_bfe_u32 v4, v2, 21, 1
	v_mov_b32_e32 v5, v1
	s_delay_alu instid0(VALU_DEP_1) | instskip(NEXT) | instid1(VALU_DEP_1)
	v_add_nc_u64_e32 v[4:5], v[2:3], v[4:5]
	v_add_nc_u64_e32 v[4:5], -1, v[4:5]
; %bb.6056:                             ;   in Loop: Header=BB6_5693 Depth=2
	s_or_b32 exec_lo, exec_lo, s41
	v_add_nc_u32_e32 v0, 0xffffff81, v7
	s_delay_alu instid0(VALU_DEP_2) | instskip(SKIP_2) | instid1(VALU_DEP_3)
	v_and_b32_e32 v4, 0x1fffff, v4
	v_lshrrev_b32_e32 v3, 23, v2
	s_mov_b32 s10, exec_lo
	v_cndmask_b32_e64 v0, v0, 0xffffff82, vcc_lo
	s_delay_alu instid0(VALU_DEP_1) | instskip(SKIP_1) | instid1(VALU_DEP_2)
	v_add3_u32 v5, v8, v0, v3
	v_add_nc_u32_e32 v0, v4, v2
                                        ; implicit-def: $vgpr2_vgpr3
                                        ; implicit-def: $vgpr4
	v_add_nc_u32_e32 v7, 14, v5
	s_delay_alu instid0(VALU_DEP_1)
	v_cmpx_ne_u32_e32 0, v7
	s_xor_b32 s10, exec_lo, s10
; %bb.6057:                             ;   in Loop: Header=BB6_5693 Depth=2
	s_delay_alu instid0(VALU_DEP_3) | instskip(SKIP_1) | instid1(VALU_DEP_1)
	v_cmp_lt_u64_e32 vcc_lo, 0xffffff, v[0:1]
	v_add_nc_u32_e32 v2, 15, v5
	v_cndmask_b32_e32 v4, v7, v2, vcc_lo
	v_cndmask_b32_e64 v2, 0, 1, vcc_lo
	s_delay_alu instid0(VALU_DEP_1)
	v_lshrrev_b64 v[2:3], v2, v[0:1]
; %bb.6058:                             ;   in Loop: Header=BB6_5693 Depth=2
	s_and_not1_saveexec_b32 s10, s10
; %bb.6059:                             ;   in Loop: Header=BB6_5693 Depth=2
	v_mov_b64_e32 v[2:3], v[0:1]
	v_bfe_u32 v4, v0, 23, 1
; %bb.6060:                             ;   in Loop: Header=BB6_5693 Depth=2
	s_or_b32 exec_lo, exec_lo, s10
	s_delay_alu instid0(VALU_DEP_2) | instskip(NEXT) | instid1(VALU_DEP_2)
	v_lshrrev_b64 v[2:3], 21, v[2:3]
	v_cmp_gt_i32_e32 vcc_lo, 32, v4
	v_cmp_ne_u32_e64 s10, 0, v4
                                        ; implicit-def: $vgpr92
	s_delay_alu instid0(VALU_DEP_3) | instskip(NEXT) | instid1(VALU_DEP_1)
	v_dual_cndmask_b32 v3, 0, v3 :: v_dual_cndmask_b32 v2, 3, v2
	v_cmp_ne_u64_e32 vcc_lo, 0, v[2:3]
	s_or_b32 s10, s10, vcc_lo
	s_delay_alu instid0(SALU_CYCLE_1) | instskip(NEXT) | instid1(SALU_CYCLE_1)
	s_and_saveexec_b32 s41, s10
	s_xor_b32 s10, exec_lo, s41
; %bb.6061:                             ;   in Loop: Header=BB6_5693 Depth=2
	v_min_i32_e32 v0, 31, v4
	s_delay_alu instid0(VALU_DEP_1) | instskip(NEXT) | instid1(VALU_DEP_1)
	v_lshl_or_b32 v0, v0, 2, v6
                                        ; implicit-def: $vgpr6
	v_and_or_b32 v92, v2, 3, v0
; %bb.6062:                             ;   in Loop: Header=BB6_5693 Depth=2
	s_and_not1_saveexec_b32 s10, s10
; %bb.6063:                             ;   in Loop: Header=BB6_5693 Depth=2
	v_mov_b32_e32 v92, v6
; %bb.6064:                             ;   in Loop: Header=BB6_5693 Depth=2
	s_or_b32 exec_lo, exec_lo, s10
.LBB6_6065:                             ;   in Loop: Header=BB6_5693 Depth=2
	s_delay_alu instid0(SALU_CYCLE_1)
	s_or_b32 exec_lo, exec_lo, s40
                                        ; implicit-def: $vgpr6
.LBB6_6066:                             ;   in Loop: Header=BB6_5693 Depth=2
	s_and_not1_saveexec_b32 s10, s29
; %bb.6067:                             ;   in Loop: Header=BB6_5693 Depth=2
	v_or_b32_e32 v92, 0x7b, v6
; %bb.6068:                             ;   in Loop: Header=BB6_5693 Depth=2
	s_or_b32 exec_lo, exec_lo, s10
                                        ; implicit-def: $vgpr2
.LBB6_6069:                             ;   in Loop: Header=BB6_5693 Depth=2
	s_and_not1_saveexec_b32 s10, s11
	s_cbranch_execz .LBB6_6075
; %bb.6070:                             ;   in Loop: Header=BB6_5693 Depth=2
	s_mov_b32 s11, exec_lo
                                        ; implicit-def: $vgpr92
	v_cmpx_ne_u64_e32 0, v[0:1]
	s_xor_b32 s11, exec_lo, s11
; %bb.6071:                             ;   in Loop: Header=BB6_5693 Depth=2
	v_lshrrev_b32_e32 v0, 24, v2
                                        ; implicit-def: $vgpr2
	s_delay_alu instid0(VALU_DEP_1)
	v_or_b32_e32 v92, 0x7f, v0
; %bb.6072:                             ;   in Loop: Header=BB6_5693 Depth=2
	s_and_not1_saveexec_b32 s11, s11
; %bb.6073:                             ;   in Loop: Header=BB6_5693 Depth=2
	v_cmp_lt_i32_e32 vcc_lo, -1, v2
	v_cndmask_b32_e64 v92, -4, 0x7c, vcc_lo
; %bb.6074:                             ;   in Loop: Header=BB6_5693 Depth=2
	s_or_b32 exec_lo, exec_lo, s11
.LBB6_6075:                             ;   in Loop: Header=BB6_5693 Depth=2
	s_delay_alu instid0(SALU_CYCLE_1)
	s_or_b32 exec_lo, exec_lo, s10
	flat_load_i8 v2, v[10:11] offset:352 th:TH_LOAD_NT
	v_mov_b32_e32 v3, 0
	s_mov_b32 s10, exec_lo
	s_wait_loadcnt_dscnt 0x0
	v_cmpx_ne_u16_e32 0, v2
	s_cbranch_execz .LBB6_6085
; %bb.6076:                             ;   in Loop: Header=BB6_5693 Depth=2
	v_bfrev_b32_e32 v3, 1
	s_mov_b32 s11, exec_lo
	v_cmpx_ne_u16_e32 0xff80, v2
	s_cbranch_execz .LBB6_6084
; %bb.6077:                             ;   in Loop: Header=BB6_5693 Depth=2
	v_and_b32_e32 v3, 0x7c, v2
	v_and_b32_e32 v0, 3, v2
	s_delay_alu instid0(VALU_DEP_2) | instskip(SKIP_1) | instid1(SALU_CYCLE_1)
	v_cmp_ne_u32_e32 vcc_lo, 0x7c, v3
                                        ; implicit-def: $vgpr3
	s_and_saveexec_b32 s29, vcc_lo
	s_xor_b32 s29, exec_lo, s29
	s_cbranch_execz .LBB6_6081
; %bb.6078:                             ;   in Loop: Header=BB6_5693 Depth=2
	v_and_b32_e32 v3, 0xff, v2
	s_mov_b32 s40, exec_lo
	s_delay_alu instid0(VALU_DEP_1) | instskip(NEXT) | instid1(VALU_DEP_1)
	v_bfe_u32 v3, v3, 2, 5
	v_cmpx_eq_u32_e32 0, v3
	s_cbranch_execz .LBB6_6080
; %bb.6079:                             ;   in Loop: Header=BB6_5693 Depth=2
	v_clz_i32_u32_e32 v0, v0
	v_mov_b32_e32 v3, v1
	s_delay_alu instid0(VALU_DEP_2) | instskip(NEXT) | instid1(VALU_DEP_1)
	v_min_u32_e32 v0, 32, v0
	v_subrev_nc_u32_e32 v4, 29, v0
	s_delay_alu instid0(VALU_DEP_1) | instskip(SKIP_1) | instid1(VALU_DEP_2)
	v_lshlrev_b64_e32 v[4:5], v4, v[2:3]
	v_sub_nc_u32_e32 v3, 30, v0
	v_and_b32_e32 v0, 3, v4
.LBB6_6080:                             ;   in Loop: Header=BB6_5693 Depth=2
	s_or_b32 exec_lo, exec_lo, s40
	v_bfe_i32 v2, v2, 0, 16
	s_delay_alu instid0(VALU_DEP_1) | instskip(NEXT) | instid1(VALU_DEP_1)
	v_and_b32_e32 v2, 0x80000000, v2
	v_lshl_add_u32 v2, v3, 23, v2
	s_delay_alu instid0(VALU_DEP_1) | instskip(NEXT) | instid1(VALU_DEP_1)
	v_lshl_or_b32 v0, v0, 21, v2
                                        ; implicit-def: $vgpr2
	v_add_nc_u32_e32 v3, 0x38000000, v0
                                        ; implicit-def: $vgpr0
.LBB6_6081:                             ;   in Loop: Header=BB6_5693 Depth=2
	s_and_not1_saveexec_b32 s29, s29
; %bb.6082:                             ;   in Loop: Header=BB6_5693 Depth=2
	v_cmp_lt_i16_e32 vcc_lo, -1, v2
	v_mov_b32_e32 v2, 0x7f800000
	s_delay_alu instid0(VALU_DEP_1) | instskip(SKIP_1) | instid1(VALU_DEP_2)
	v_cndmask_b32_e32 v2, 0xff800000, v2, vcc_lo
	v_cmp_eq_u32_e32 vcc_lo, 0, v0
	v_cndmask_b32_e32 v3, 0x7f800001, v2, vcc_lo
; %bb.6083:                             ;   in Loop: Header=BB6_5693 Depth=2
	s_or_b32 exec_lo, exec_lo, s29
.LBB6_6084:                             ;   in Loop: Header=BB6_5693 Depth=2
	s_delay_alu instid0(SALU_CYCLE_1)
	s_or_b32 exec_lo, exec_lo, s11
.LBB6_6085:                             ;   in Loop: Header=BB6_5693 Depth=2
	s_delay_alu instid0(SALU_CYCLE_1) | instskip(NEXT) | instid1(VALU_DEP_1)
	s_or_b32 exec_lo, exec_lo, s10
	v_dual_mul_f32 v2, s28, v3 :: v_dual_mov_b32 v5, v1
                                        ; implicit-def: $vgpr90
	s_mov_b32 s10, exec_lo
	s_delay_alu instid0(VALU_DEP_1) | instskip(SKIP_1) | instid1(VALU_DEP_2)
	v_and_b32_e32 v4, 0x7f800000, v2
	v_and_b32_e32 v0, 0x7fffff, v2
	v_cmpx_ne_u64_e32 0x7f800000, v[4:5]
	s_xor_b32 s11, exec_lo, s10
	s_cbranch_execz .LBB6_6103
; %bb.6086:                             ;   in Loop: Header=BB6_5693 Depth=2
	v_dual_mov_b32 v5, v1 :: v_dual_lshrrev_b32 v3, 24, v2
	v_and_b32_e32 v4, 0x7fffffff, v2
                                        ; implicit-def: $vgpr90
	s_mov_b32 s10, exec_lo
	s_delay_alu instid0(VALU_DEP_2) | instskip(NEXT) | instid1(VALU_DEP_2)
	v_and_b32_e32 v6, 0x80, v3
	v_cmpx_gt_u64_e32 0x47600001, v[4:5]
	s_xor_b32 s29, exec_lo, s10
	s_cbranch_execz .LBB6_6100
; %bb.6087:                             ;   in Loop: Header=BB6_5693 Depth=2
	v_mov_b32_e32 v90, 0
	s_mov_b32 s40, exec_lo
	v_cmpx_ne_u32_e32 0, v2
	s_cbranch_execz .LBB6_6099
; %bb.6088:                             ;   in Loop: Header=BB6_5693 Depth=2
	v_bfe_u32 v7, v2, 23, 8
	v_or_b32_e32 v4, 0x800000, v0
	s_mov_b32 s41, exec_lo
	s_delay_alu instid0(VALU_DEP_2) | instskip(SKIP_1) | instid1(VALU_DEP_2)
	v_dual_mov_b32 v5, v1 :: v_dual_sub_nc_u32 v2, 0x71, v7
	v_cmp_gt_u32_e32 vcc_lo, 0x72, v7
	v_cndmask_b32_e32 v2, 0, v2, vcc_lo
	v_cmp_eq_u32_e32 vcc_lo, 0, v7
	s_delay_alu instid0(VALU_DEP_2) | instskip(SKIP_1) | instid1(VALU_DEP_2)
	v_cndmask_b32_e64 v8, v2, 0x70, vcc_lo
	v_cndmask_b32_e32 v4, v4, v0, vcc_lo
	v_dual_add_nc_u32 v2, 21, v8 :: v_dual_add_nc_u32 v9, 20, v8
	s_delay_alu instid0(VALU_DEP_1) | instskip(NEXT) | instid1(VALU_DEP_2)
	v_lshlrev_b64_e64 v[2:3], v2, -1
	v_lshlrev_b64_e64 v[16:17], v9, 1
	s_delay_alu instid0(VALU_DEP_2) | instskip(NEXT) | instid1(VALU_DEP_3)
	v_bfi_b32 v19, v3, 0, 0
	v_bfi_b32 v18, v2, 0, v4
	v_lshrrev_b64 v[2:3], v8, v[4:5]
	s_delay_alu instid0(VALU_DEP_1) | instskip(NEXT) | instid1(VALU_DEP_3)
	v_mov_b64_e32 v[4:5], v[2:3]
	v_cmpx_eq_u64_e64 v[18:19], v[16:17]
; %bb.6089:                             ;   in Loop: Header=BB6_5693 Depth=2
	v_bfe_u32 v4, v2, 21, 1
	v_mov_b32_e32 v5, v1
	s_delay_alu instid0(VALU_DEP_1) | instskip(NEXT) | instid1(VALU_DEP_1)
	v_add_nc_u64_e32 v[4:5], v[2:3], v[4:5]
	v_add_nc_u64_e32 v[4:5], -1, v[4:5]
; %bb.6090:                             ;   in Loop: Header=BB6_5693 Depth=2
	s_or_b32 exec_lo, exec_lo, s41
	v_add_nc_u32_e32 v0, 0xffffff81, v7
	s_delay_alu instid0(VALU_DEP_2) | instskip(SKIP_2) | instid1(VALU_DEP_3)
	v_and_b32_e32 v4, 0x1fffff, v4
	v_lshrrev_b32_e32 v3, 23, v2
	s_mov_b32 s10, exec_lo
	v_cndmask_b32_e64 v0, v0, 0xffffff82, vcc_lo
	s_delay_alu instid0(VALU_DEP_1) | instskip(SKIP_1) | instid1(VALU_DEP_2)
	v_add3_u32 v5, v8, v0, v3
	v_add_nc_u32_e32 v0, v4, v2
                                        ; implicit-def: $vgpr2_vgpr3
                                        ; implicit-def: $vgpr4
	v_add_nc_u32_e32 v7, 14, v5
	s_delay_alu instid0(VALU_DEP_1)
	v_cmpx_ne_u32_e32 0, v7
	s_xor_b32 s10, exec_lo, s10
; %bb.6091:                             ;   in Loop: Header=BB6_5693 Depth=2
	s_delay_alu instid0(VALU_DEP_3) | instskip(SKIP_1) | instid1(VALU_DEP_1)
	v_cmp_lt_u64_e32 vcc_lo, 0xffffff, v[0:1]
	v_add_nc_u32_e32 v2, 15, v5
	v_cndmask_b32_e32 v4, v7, v2, vcc_lo
	v_cndmask_b32_e64 v2, 0, 1, vcc_lo
	s_delay_alu instid0(VALU_DEP_1)
	v_lshrrev_b64 v[2:3], v2, v[0:1]
; %bb.6092:                             ;   in Loop: Header=BB6_5693 Depth=2
	s_and_not1_saveexec_b32 s10, s10
; %bb.6093:                             ;   in Loop: Header=BB6_5693 Depth=2
	v_mov_b64_e32 v[2:3], v[0:1]
	v_bfe_u32 v4, v0, 23, 1
; %bb.6094:                             ;   in Loop: Header=BB6_5693 Depth=2
	s_or_b32 exec_lo, exec_lo, s10
	s_delay_alu instid0(VALU_DEP_2) | instskip(NEXT) | instid1(VALU_DEP_2)
	v_lshrrev_b64 v[2:3], 21, v[2:3]
	v_cmp_gt_i32_e32 vcc_lo, 32, v4
	v_cmp_ne_u32_e64 s10, 0, v4
                                        ; implicit-def: $vgpr90
	s_delay_alu instid0(VALU_DEP_3) | instskip(NEXT) | instid1(VALU_DEP_1)
	v_dual_cndmask_b32 v3, 0, v3 :: v_dual_cndmask_b32 v2, 3, v2
	v_cmp_ne_u64_e32 vcc_lo, 0, v[2:3]
	s_or_b32 s10, s10, vcc_lo
	s_delay_alu instid0(SALU_CYCLE_1) | instskip(NEXT) | instid1(SALU_CYCLE_1)
	s_and_saveexec_b32 s41, s10
	s_xor_b32 s10, exec_lo, s41
; %bb.6095:                             ;   in Loop: Header=BB6_5693 Depth=2
	v_min_i32_e32 v0, 31, v4
	s_delay_alu instid0(VALU_DEP_1) | instskip(NEXT) | instid1(VALU_DEP_1)
	v_lshl_or_b32 v0, v0, 2, v6
                                        ; implicit-def: $vgpr6
	v_and_or_b32 v90, v2, 3, v0
; %bb.6096:                             ;   in Loop: Header=BB6_5693 Depth=2
	s_and_not1_saveexec_b32 s10, s10
; %bb.6097:                             ;   in Loop: Header=BB6_5693 Depth=2
	v_mov_b32_e32 v90, v6
; %bb.6098:                             ;   in Loop: Header=BB6_5693 Depth=2
	s_or_b32 exec_lo, exec_lo, s10
.LBB6_6099:                             ;   in Loop: Header=BB6_5693 Depth=2
	s_delay_alu instid0(SALU_CYCLE_1)
	s_or_b32 exec_lo, exec_lo, s40
                                        ; implicit-def: $vgpr6
.LBB6_6100:                             ;   in Loop: Header=BB6_5693 Depth=2
	s_and_not1_saveexec_b32 s10, s29
; %bb.6101:                             ;   in Loop: Header=BB6_5693 Depth=2
	v_or_b32_e32 v90, 0x7b, v6
; %bb.6102:                             ;   in Loop: Header=BB6_5693 Depth=2
	s_or_b32 exec_lo, exec_lo, s10
                                        ; implicit-def: $vgpr2
.LBB6_6103:                             ;   in Loop: Header=BB6_5693 Depth=2
	s_and_not1_saveexec_b32 s10, s11
	s_cbranch_execz .LBB6_6109
; %bb.6104:                             ;   in Loop: Header=BB6_5693 Depth=2
	s_mov_b32 s11, exec_lo
                                        ; implicit-def: $vgpr90
	v_cmpx_ne_u64_e32 0, v[0:1]
	s_xor_b32 s11, exec_lo, s11
; %bb.6105:                             ;   in Loop: Header=BB6_5693 Depth=2
	v_lshrrev_b32_e32 v0, 24, v2
                                        ; implicit-def: $vgpr2
	s_delay_alu instid0(VALU_DEP_1)
	v_or_b32_e32 v90, 0x7f, v0
; %bb.6106:                             ;   in Loop: Header=BB6_5693 Depth=2
	s_and_not1_saveexec_b32 s11, s11
; %bb.6107:                             ;   in Loop: Header=BB6_5693 Depth=2
	v_cmp_lt_i32_e32 vcc_lo, -1, v2
	v_cndmask_b32_e64 v90, -4, 0x7c, vcc_lo
; %bb.6108:                             ;   in Loop: Header=BB6_5693 Depth=2
	s_or_b32 exec_lo, exec_lo, s11
.LBB6_6109:                             ;   in Loop: Header=BB6_5693 Depth=2
	s_delay_alu instid0(SALU_CYCLE_1)
	s_or_b32 exec_lo, exec_lo, s10
	flat_load_i8 v2, v[10:11] offset:384 th:TH_LOAD_NT
	v_mov_b32_e32 v3, 0
	s_mov_b32 s10, exec_lo
	s_wait_loadcnt_dscnt 0x0
	v_cmpx_ne_u16_e32 0, v2
	s_cbranch_execz .LBB6_6119
; %bb.6110:                             ;   in Loop: Header=BB6_5693 Depth=2
	v_bfrev_b32_e32 v3, 1
	s_mov_b32 s11, exec_lo
	v_cmpx_ne_u16_e32 0xff80, v2
	s_cbranch_execz .LBB6_6118
; %bb.6111:                             ;   in Loop: Header=BB6_5693 Depth=2
	v_and_b32_e32 v3, 0x7c, v2
	v_and_b32_e32 v0, 3, v2
	s_delay_alu instid0(VALU_DEP_2) | instskip(SKIP_1) | instid1(SALU_CYCLE_1)
	v_cmp_ne_u32_e32 vcc_lo, 0x7c, v3
                                        ; implicit-def: $vgpr3
	s_and_saveexec_b32 s29, vcc_lo
	s_xor_b32 s29, exec_lo, s29
	s_cbranch_execz .LBB6_6115
; %bb.6112:                             ;   in Loop: Header=BB6_5693 Depth=2
	v_and_b32_e32 v3, 0xff, v2
	s_mov_b32 s40, exec_lo
	s_delay_alu instid0(VALU_DEP_1) | instskip(NEXT) | instid1(VALU_DEP_1)
	v_bfe_u32 v3, v3, 2, 5
	v_cmpx_eq_u32_e32 0, v3
	s_cbranch_execz .LBB6_6114
; %bb.6113:                             ;   in Loop: Header=BB6_5693 Depth=2
	v_clz_i32_u32_e32 v0, v0
	v_mov_b32_e32 v3, v1
	s_delay_alu instid0(VALU_DEP_2) | instskip(NEXT) | instid1(VALU_DEP_1)
	v_min_u32_e32 v0, 32, v0
	v_subrev_nc_u32_e32 v4, 29, v0
	s_delay_alu instid0(VALU_DEP_1) | instskip(SKIP_1) | instid1(VALU_DEP_2)
	v_lshlrev_b64_e32 v[4:5], v4, v[2:3]
	v_sub_nc_u32_e32 v3, 30, v0
	v_and_b32_e32 v0, 3, v4
.LBB6_6114:                             ;   in Loop: Header=BB6_5693 Depth=2
	s_or_b32 exec_lo, exec_lo, s40
	v_bfe_i32 v2, v2, 0, 16
	s_delay_alu instid0(VALU_DEP_1) | instskip(NEXT) | instid1(VALU_DEP_1)
	v_and_b32_e32 v2, 0x80000000, v2
	v_lshl_add_u32 v2, v3, 23, v2
	s_delay_alu instid0(VALU_DEP_1) | instskip(NEXT) | instid1(VALU_DEP_1)
	v_lshl_or_b32 v0, v0, 21, v2
                                        ; implicit-def: $vgpr2
	v_add_nc_u32_e32 v3, 0x38000000, v0
                                        ; implicit-def: $vgpr0
.LBB6_6115:                             ;   in Loop: Header=BB6_5693 Depth=2
	s_and_not1_saveexec_b32 s29, s29
; %bb.6116:                             ;   in Loop: Header=BB6_5693 Depth=2
	v_cmp_lt_i16_e32 vcc_lo, -1, v2
	v_mov_b32_e32 v2, 0x7f800000
	s_delay_alu instid0(VALU_DEP_1) | instskip(SKIP_1) | instid1(VALU_DEP_2)
	v_cndmask_b32_e32 v2, 0xff800000, v2, vcc_lo
	v_cmp_eq_u32_e32 vcc_lo, 0, v0
	v_cndmask_b32_e32 v3, 0x7f800001, v2, vcc_lo
; %bb.6117:                             ;   in Loop: Header=BB6_5693 Depth=2
	s_or_b32 exec_lo, exec_lo, s29
.LBB6_6118:                             ;   in Loop: Header=BB6_5693 Depth=2
	s_delay_alu instid0(SALU_CYCLE_1)
	s_or_b32 exec_lo, exec_lo, s11
.LBB6_6119:                             ;   in Loop: Header=BB6_5693 Depth=2
	s_delay_alu instid0(SALU_CYCLE_1) | instskip(NEXT) | instid1(VALU_DEP_1)
	s_or_b32 exec_lo, exec_lo, s10
	v_dual_mul_f32 v2, s28, v3 :: v_dual_mov_b32 v5, v1
                                        ; implicit-def: $vgpr88
	s_mov_b32 s10, exec_lo
	s_delay_alu instid0(VALU_DEP_1) | instskip(SKIP_1) | instid1(VALU_DEP_2)
	v_and_b32_e32 v4, 0x7f800000, v2
	v_and_b32_e32 v0, 0x7fffff, v2
	v_cmpx_ne_u64_e32 0x7f800000, v[4:5]
	s_xor_b32 s11, exec_lo, s10
	s_cbranch_execz .LBB6_6137
; %bb.6120:                             ;   in Loop: Header=BB6_5693 Depth=2
	v_dual_mov_b32 v5, v1 :: v_dual_lshrrev_b32 v3, 24, v2
	v_and_b32_e32 v4, 0x7fffffff, v2
                                        ; implicit-def: $vgpr88
	s_mov_b32 s10, exec_lo
	s_delay_alu instid0(VALU_DEP_2) | instskip(NEXT) | instid1(VALU_DEP_2)
	v_and_b32_e32 v6, 0x80, v3
	v_cmpx_gt_u64_e32 0x47600001, v[4:5]
	s_xor_b32 s29, exec_lo, s10
	s_cbranch_execz .LBB6_6134
; %bb.6121:                             ;   in Loop: Header=BB6_5693 Depth=2
	v_mov_b32_e32 v88, 0
	s_mov_b32 s40, exec_lo
	v_cmpx_ne_u32_e32 0, v2
	s_cbranch_execz .LBB6_6133
; %bb.6122:                             ;   in Loop: Header=BB6_5693 Depth=2
	v_bfe_u32 v7, v2, 23, 8
	v_or_b32_e32 v4, 0x800000, v0
	s_mov_b32 s41, exec_lo
	s_delay_alu instid0(VALU_DEP_2) | instskip(SKIP_1) | instid1(VALU_DEP_2)
	v_dual_mov_b32 v5, v1 :: v_dual_sub_nc_u32 v2, 0x71, v7
	v_cmp_gt_u32_e32 vcc_lo, 0x72, v7
	v_cndmask_b32_e32 v2, 0, v2, vcc_lo
	v_cmp_eq_u32_e32 vcc_lo, 0, v7
	s_delay_alu instid0(VALU_DEP_2) | instskip(SKIP_1) | instid1(VALU_DEP_2)
	v_cndmask_b32_e64 v8, v2, 0x70, vcc_lo
	v_cndmask_b32_e32 v4, v4, v0, vcc_lo
	v_dual_add_nc_u32 v2, 21, v8 :: v_dual_add_nc_u32 v9, 20, v8
	s_delay_alu instid0(VALU_DEP_1) | instskip(NEXT) | instid1(VALU_DEP_2)
	v_lshlrev_b64_e64 v[2:3], v2, -1
	v_lshlrev_b64_e64 v[16:17], v9, 1
	s_delay_alu instid0(VALU_DEP_2) | instskip(NEXT) | instid1(VALU_DEP_3)
	v_bfi_b32 v19, v3, 0, 0
	v_bfi_b32 v18, v2, 0, v4
	v_lshrrev_b64 v[2:3], v8, v[4:5]
	s_delay_alu instid0(VALU_DEP_1) | instskip(NEXT) | instid1(VALU_DEP_3)
	v_mov_b64_e32 v[4:5], v[2:3]
	v_cmpx_eq_u64_e64 v[18:19], v[16:17]
; %bb.6123:                             ;   in Loop: Header=BB6_5693 Depth=2
	v_bfe_u32 v4, v2, 21, 1
	v_mov_b32_e32 v5, v1
	s_delay_alu instid0(VALU_DEP_1) | instskip(NEXT) | instid1(VALU_DEP_1)
	v_add_nc_u64_e32 v[4:5], v[2:3], v[4:5]
	v_add_nc_u64_e32 v[4:5], -1, v[4:5]
; %bb.6124:                             ;   in Loop: Header=BB6_5693 Depth=2
	s_or_b32 exec_lo, exec_lo, s41
	v_add_nc_u32_e32 v0, 0xffffff81, v7
	s_delay_alu instid0(VALU_DEP_2) | instskip(SKIP_2) | instid1(VALU_DEP_3)
	v_and_b32_e32 v4, 0x1fffff, v4
	v_lshrrev_b32_e32 v3, 23, v2
	s_mov_b32 s10, exec_lo
	v_cndmask_b32_e64 v0, v0, 0xffffff82, vcc_lo
	s_delay_alu instid0(VALU_DEP_1) | instskip(SKIP_1) | instid1(VALU_DEP_2)
	v_add3_u32 v5, v8, v0, v3
	v_add_nc_u32_e32 v0, v4, v2
                                        ; implicit-def: $vgpr2_vgpr3
                                        ; implicit-def: $vgpr4
	v_add_nc_u32_e32 v7, 14, v5
	s_delay_alu instid0(VALU_DEP_1)
	v_cmpx_ne_u32_e32 0, v7
	s_xor_b32 s10, exec_lo, s10
; %bb.6125:                             ;   in Loop: Header=BB6_5693 Depth=2
	s_delay_alu instid0(VALU_DEP_3) | instskip(SKIP_1) | instid1(VALU_DEP_1)
	v_cmp_lt_u64_e32 vcc_lo, 0xffffff, v[0:1]
	v_add_nc_u32_e32 v2, 15, v5
	v_cndmask_b32_e32 v4, v7, v2, vcc_lo
	v_cndmask_b32_e64 v2, 0, 1, vcc_lo
	s_delay_alu instid0(VALU_DEP_1)
	v_lshrrev_b64 v[2:3], v2, v[0:1]
; %bb.6126:                             ;   in Loop: Header=BB6_5693 Depth=2
	s_and_not1_saveexec_b32 s10, s10
; %bb.6127:                             ;   in Loop: Header=BB6_5693 Depth=2
	v_mov_b64_e32 v[2:3], v[0:1]
	v_bfe_u32 v4, v0, 23, 1
; %bb.6128:                             ;   in Loop: Header=BB6_5693 Depth=2
	s_or_b32 exec_lo, exec_lo, s10
	s_delay_alu instid0(VALU_DEP_2) | instskip(NEXT) | instid1(VALU_DEP_2)
	v_lshrrev_b64 v[2:3], 21, v[2:3]
	v_cmp_gt_i32_e32 vcc_lo, 32, v4
	v_cmp_ne_u32_e64 s10, 0, v4
                                        ; implicit-def: $vgpr88
	s_delay_alu instid0(VALU_DEP_3) | instskip(NEXT) | instid1(VALU_DEP_1)
	v_dual_cndmask_b32 v3, 0, v3 :: v_dual_cndmask_b32 v2, 3, v2
	v_cmp_ne_u64_e32 vcc_lo, 0, v[2:3]
	s_or_b32 s10, s10, vcc_lo
	s_delay_alu instid0(SALU_CYCLE_1) | instskip(NEXT) | instid1(SALU_CYCLE_1)
	s_and_saveexec_b32 s41, s10
	s_xor_b32 s10, exec_lo, s41
; %bb.6129:                             ;   in Loop: Header=BB6_5693 Depth=2
	v_min_i32_e32 v0, 31, v4
	s_delay_alu instid0(VALU_DEP_1) | instskip(NEXT) | instid1(VALU_DEP_1)
	v_lshl_or_b32 v0, v0, 2, v6
                                        ; implicit-def: $vgpr6
	v_and_or_b32 v88, v2, 3, v0
; %bb.6130:                             ;   in Loop: Header=BB6_5693 Depth=2
	s_and_not1_saveexec_b32 s10, s10
; %bb.6131:                             ;   in Loop: Header=BB6_5693 Depth=2
	v_mov_b32_e32 v88, v6
; %bb.6132:                             ;   in Loop: Header=BB6_5693 Depth=2
	s_or_b32 exec_lo, exec_lo, s10
.LBB6_6133:                             ;   in Loop: Header=BB6_5693 Depth=2
	s_delay_alu instid0(SALU_CYCLE_1)
	s_or_b32 exec_lo, exec_lo, s40
                                        ; implicit-def: $vgpr6
.LBB6_6134:                             ;   in Loop: Header=BB6_5693 Depth=2
	s_and_not1_saveexec_b32 s10, s29
; %bb.6135:                             ;   in Loop: Header=BB6_5693 Depth=2
	v_or_b32_e32 v88, 0x7b, v6
; %bb.6136:                             ;   in Loop: Header=BB6_5693 Depth=2
	s_or_b32 exec_lo, exec_lo, s10
                                        ; implicit-def: $vgpr2
.LBB6_6137:                             ;   in Loop: Header=BB6_5693 Depth=2
	s_and_not1_saveexec_b32 s10, s11
	s_cbranch_execz .LBB6_6143
; %bb.6138:                             ;   in Loop: Header=BB6_5693 Depth=2
	s_mov_b32 s11, exec_lo
                                        ; implicit-def: $vgpr88
	v_cmpx_ne_u64_e32 0, v[0:1]
	s_xor_b32 s11, exec_lo, s11
; %bb.6139:                             ;   in Loop: Header=BB6_5693 Depth=2
	v_lshrrev_b32_e32 v0, 24, v2
                                        ; implicit-def: $vgpr2
	s_delay_alu instid0(VALU_DEP_1)
	v_or_b32_e32 v88, 0x7f, v0
; %bb.6140:                             ;   in Loop: Header=BB6_5693 Depth=2
	s_and_not1_saveexec_b32 s11, s11
; %bb.6141:                             ;   in Loop: Header=BB6_5693 Depth=2
	v_cmp_lt_i32_e32 vcc_lo, -1, v2
	v_cndmask_b32_e64 v88, -4, 0x7c, vcc_lo
; %bb.6142:                             ;   in Loop: Header=BB6_5693 Depth=2
	s_or_b32 exec_lo, exec_lo, s11
.LBB6_6143:                             ;   in Loop: Header=BB6_5693 Depth=2
	s_delay_alu instid0(SALU_CYCLE_1)
	s_or_b32 exec_lo, exec_lo, s10
	flat_load_i8 v2, v[10:11] offset:416 th:TH_LOAD_NT
	v_mov_b32_e32 v3, 0
	s_mov_b32 s10, exec_lo
	s_wait_loadcnt_dscnt 0x0
	v_cmpx_ne_u16_e32 0, v2
	s_cbranch_execz .LBB6_6153
; %bb.6144:                             ;   in Loop: Header=BB6_5693 Depth=2
	v_bfrev_b32_e32 v3, 1
	s_mov_b32 s11, exec_lo
	v_cmpx_ne_u16_e32 0xff80, v2
	s_cbranch_execz .LBB6_6152
; %bb.6145:                             ;   in Loop: Header=BB6_5693 Depth=2
	v_and_b32_e32 v3, 0x7c, v2
	v_and_b32_e32 v0, 3, v2
	s_delay_alu instid0(VALU_DEP_2) | instskip(SKIP_1) | instid1(SALU_CYCLE_1)
	v_cmp_ne_u32_e32 vcc_lo, 0x7c, v3
                                        ; implicit-def: $vgpr3
	s_and_saveexec_b32 s29, vcc_lo
	s_xor_b32 s29, exec_lo, s29
	s_cbranch_execz .LBB6_6149
; %bb.6146:                             ;   in Loop: Header=BB6_5693 Depth=2
	v_and_b32_e32 v3, 0xff, v2
	s_mov_b32 s40, exec_lo
	s_delay_alu instid0(VALU_DEP_1) | instskip(NEXT) | instid1(VALU_DEP_1)
	v_bfe_u32 v3, v3, 2, 5
	v_cmpx_eq_u32_e32 0, v3
	s_cbranch_execz .LBB6_6148
; %bb.6147:                             ;   in Loop: Header=BB6_5693 Depth=2
	v_clz_i32_u32_e32 v0, v0
	v_mov_b32_e32 v3, v1
	s_delay_alu instid0(VALU_DEP_2) | instskip(NEXT) | instid1(VALU_DEP_1)
	v_min_u32_e32 v0, 32, v0
	v_subrev_nc_u32_e32 v4, 29, v0
	s_delay_alu instid0(VALU_DEP_1) | instskip(SKIP_1) | instid1(VALU_DEP_2)
	v_lshlrev_b64_e32 v[4:5], v4, v[2:3]
	v_sub_nc_u32_e32 v3, 30, v0
	v_and_b32_e32 v0, 3, v4
.LBB6_6148:                             ;   in Loop: Header=BB6_5693 Depth=2
	s_or_b32 exec_lo, exec_lo, s40
	v_bfe_i32 v2, v2, 0, 16
	s_delay_alu instid0(VALU_DEP_1) | instskip(NEXT) | instid1(VALU_DEP_1)
	v_and_b32_e32 v2, 0x80000000, v2
	v_lshl_add_u32 v2, v3, 23, v2
	s_delay_alu instid0(VALU_DEP_1) | instskip(NEXT) | instid1(VALU_DEP_1)
	v_lshl_or_b32 v0, v0, 21, v2
                                        ; implicit-def: $vgpr2
	v_add_nc_u32_e32 v3, 0x38000000, v0
                                        ; implicit-def: $vgpr0
.LBB6_6149:                             ;   in Loop: Header=BB6_5693 Depth=2
	s_and_not1_saveexec_b32 s29, s29
; %bb.6150:                             ;   in Loop: Header=BB6_5693 Depth=2
	v_cmp_lt_i16_e32 vcc_lo, -1, v2
	v_mov_b32_e32 v2, 0x7f800000
	s_delay_alu instid0(VALU_DEP_1) | instskip(SKIP_1) | instid1(VALU_DEP_2)
	v_cndmask_b32_e32 v2, 0xff800000, v2, vcc_lo
	v_cmp_eq_u32_e32 vcc_lo, 0, v0
	v_cndmask_b32_e32 v3, 0x7f800001, v2, vcc_lo
; %bb.6151:                             ;   in Loop: Header=BB6_5693 Depth=2
	s_or_b32 exec_lo, exec_lo, s29
.LBB6_6152:                             ;   in Loop: Header=BB6_5693 Depth=2
	s_delay_alu instid0(SALU_CYCLE_1)
	s_or_b32 exec_lo, exec_lo, s11
.LBB6_6153:                             ;   in Loop: Header=BB6_5693 Depth=2
	s_delay_alu instid0(SALU_CYCLE_1) | instskip(NEXT) | instid1(VALU_DEP_1)
	s_or_b32 exec_lo, exec_lo, s10
	v_dual_mul_f32 v2, s28, v3 :: v_dual_mov_b32 v5, v1
                                        ; implicit-def: $vgpr76
	s_mov_b32 s10, exec_lo
	s_delay_alu instid0(VALU_DEP_1) | instskip(SKIP_1) | instid1(VALU_DEP_2)
	v_and_b32_e32 v4, 0x7f800000, v2
	v_and_b32_e32 v0, 0x7fffff, v2
	v_cmpx_ne_u64_e32 0x7f800000, v[4:5]
	s_xor_b32 s11, exec_lo, s10
	s_cbranch_execz .LBB6_6171
; %bb.6154:                             ;   in Loop: Header=BB6_5693 Depth=2
	v_dual_mov_b32 v5, v1 :: v_dual_lshrrev_b32 v3, 24, v2
	v_and_b32_e32 v4, 0x7fffffff, v2
                                        ; implicit-def: $vgpr76
	s_mov_b32 s10, exec_lo
	s_delay_alu instid0(VALU_DEP_2) | instskip(NEXT) | instid1(VALU_DEP_2)
	v_and_b32_e32 v6, 0x80, v3
	v_cmpx_gt_u64_e32 0x47600001, v[4:5]
	s_xor_b32 s29, exec_lo, s10
	s_cbranch_execz .LBB6_6168
; %bb.6155:                             ;   in Loop: Header=BB6_5693 Depth=2
	v_mov_b32_e32 v76, 0
	s_mov_b32 s40, exec_lo
	v_cmpx_ne_u32_e32 0, v2
	s_cbranch_execz .LBB6_6167
; %bb.6156:                             ;   in Loop: Header=BB6_5693 Depth=2
	v_bfe_u32 v7, v2, 23, 8
	v_or_b32_e32 v4, 0x800000, v0
	s_mov_b32 s41, exec_lo
	s_delay_alu instid0(VALU_DEP_2) | instskip(SKIP_1) | instid1(VALU_DEP_2)
	v_dual_mov_b32 v5, v1 :: v_dual_sub_nc_u32 v2, 0x71, v7
	v_cmp_gt_u32_e32 vcc_lo, 0x72, v7
	v_cndmask_b32_e32 v2, 0, v2, vcc_lo
	v_cmp_eq_u32_e32 vcc_lo, 0, v7
	s_delay_alu instid0(VALU_DEP_2) | instskip(SKIP_1) | instid1(VALU_DEP_2)
	v_cndmask_b32_e64 v8, v2, 0x70, vcc_lo
	v_cndmask_b32_e32 v4, v4, v0, vcc_lo
	v_dual_add_nc_u32 v2, 21, v8 :: v_dual_add_nc_u32 v9, 20, v8
	s_delay_alu instid0(VALU_DEP_1) | instskip(NEXT) | instid1(VALU_DEP_2)
	v_lshlrev_b64_e64 v[2:3], v2, -1
	v_lshlrev_b64_e64 v[16:17], v9, 1
	s_delay_alu instid0(VALU_DEP_2) | instskip(NEXT) | instid1(VALU_DEP_3)
	v_bfi_b32 v19, v3, 0, 0
	v_bfi_b32 v18, v2, 0, v4
	v_lshrrev_b64 v[2:3], v8, v[4:5]
	s_delay_alu instid0(VALU_DEP_1) | instskip(NEXT) | instid1(VALU_DEP_3)
	v_mov_b64_e32 v[4:5], v[2:3]
	v_cmpx_eq_u64_e64 v[18:19], v[16:17]
; %bb.6157:                             ;   in Loop: Header=BB6_5693 Depth=2
	v_bfe_u32 v4, v2, 21, 1
	v_mov_b32_e32 v5, v1
	s_delay_alu instid0(VALU_DEP_1) | instskip(NEXT) | instid1(VALU_DEP_1)
	v_add_nc_u64_e32 v[4:5], v[2:3], v[4:5]
	v_add_nc_u64_e32 v[4:5], -1, v[4:5]
; %bb.6158:                             ;   in Loop: Header=BB6_5693 Depth=2
	s_or_b32 exec_lo, exec_lo, s41
	v_add_nc_u32_e32 v0, 0xffffff81, v7
	s_delay_alu instid0(VALU_DEP_2) | instskip(SKIP_2) | instid1(VALU_DEP_3)
	v_and_b32_e32 v4, 0x1fffff, v4
	v_lshrrev_b32_e32 v3, 23, v2
	s_mov_b32 s10, exec_lo
	v_cndmask_b32_e64 v0, v0, 0xffffff82, vcc_lo
	s_delay_alu instid0(VALU_DEP_1) | instskip(SKIP_1) | instid1(VALU_DEP_2)
	v_add3_u32 v5, v8, v0, v3
	v_add_nc_u32_e32 v0, v4, v2
                                        ; implicit-def: $vgpr2_vgpr3
                                        ; implicit-def: $vgpr4
	v_add_nc_u32_e32 v7, 14, v5
	s_delay_alu instid0(VALU_DEP_1)
	v_cmpx_ne_u32_e32 0, v7
	s_xor_b32 s10, exec_lo, s10
; %bb.6159:                             ;   in Loop: Header=BB6_5693 Depth=2
	s_delay_alu instid0(VALU_DEP_3) | instskip(SKIP_1) | instid1(VALU_DEP_1)
	v_cmp_lt_u64_e32 vcc_lo, 0xffffff, v[0:1]
	v_add_nc_u32_e32 v2, 15, v5
	v_cndmask_b32_e32 v4, v7, v2, vcc_lo
	v_cndmask_b32_e64 v2, 0, 1, vcc_lo
	s_delay_alu instid0(VALU_DEP_1)
	v_lshrrev_b64 v[2:3], v2, v[0:1]
; %bb.6160:                             ;   in Loop: Header=BB6_5693 Depth=2
	s_and_not1_saveexec_b32 s10, s10
; %bb.6161:                             ;   in Loop: Header=BB6_5693 Depth=2
	v_mov_b64_e32 v[2:3], v[0:1]
	v_bfe_u32 v4, v0, 23, 1
; %bb.6162:                             ;   in Loop: Header=BB6_5693 Depth=2
	s_or_b32 exec_lo, exec_lo, s10
	s_delay_alu instid0(VALU_DEP_2) | instskip(NEXT) | instid1(VALU_DEP_2)
	v_lshrrev_b64 v[2:3], 21, v[2:3]
	v_cmp_gt_i32_e32 vcc_lo, 32, v4
	v_cmp_ne_u32_e64 s10, 0, v4
                                        ; implicit-def: $vgpr76
	s_delay_alu instid0(VALU_DEP_3) | instskip(NEXT) | instid1(VALU_DEP_1)
	v_dual_cndmask_b32 v3, 0, v3 :: v_dual_cndmask_b32 v2, 3, v2
	v_cmp_ne_u64_e32 vcc_lo, 0, v[2:3]
	s_or_b32 s10, s10, vcc_lo
	s_delay_alu instid0(SALU_CYCLE_1) | instskip(NEXT) | instid1(SALU_CYCLE_1)
	s_and_saveexec_b32 s41, s10
	s_xor_b32 s10, exec_lo, s41
; %bb.6163:                             ;   in Loop: Header=BB6_5693 Depth=2
	v_min_i32_e32 v0, 31, v4
	s_delay_alu instid0(VALU_DEP_1) | instskip(NEXT) | instid1(VALU_DEP_1)
	v_lshl_or_b32 v0, v0, 2, v6
                                        ; implicit-def: $vgpr6
	v_and_or_b32 v76, v2, 3, v0
; %bb.6164:                             ;   in Loop: Header=BB6_5693 Depth=2
	s_and_not1_saveexec_b32 s10, s10
; %bb.6165:                             ;   in Loop: Header=BB6_5693 Depth=2
	v_mov_b32_e32 v76, v6
; %bb.6166:                             ;   in Loop: Header=BB6_5693 Depth=2
	s_or_b32 exec_lo, exec_lo, s10
.LBB6_6167:                             ;   in Loop: Header=BB6_5693 Depth=2
	s_delay_alu instid0(SALU_CYCLE_1)
	s_or_b32 exec_lo, exec_lo, s40
                                        ; implicit-def: $vgpr6
.LBB6_6168:                             ;   in Loop: Header=BB6_5693 Depth=2
	s_and_not1_saveexec_b32 s10, s29
; %bb.6169:                             ;   in Loop: Header=BB6_5693 Depth=2
	v_or_b32_e32 v76, 0x7b, v6
; %bb.6170:                             ;   in Loop: Header=BB6_5693 Depth=2
	s_or_b32 exec_lo, exec_lo, s10
                                        ; implicit-def: $vgpr2
.LBB6_6171:                             ;   in Loop: Header=BB6_5693 Depth=2
	s_and_not1_saveexec_b32 s10, s11
	s_cbranch_execz .LBB6_6177
; %bb.6172:                             ;   in Loop: Header=BB6_5693 Depth=2
	s_mov_b32 s11, exec_lo
                                        ; implicit-def: $vgpr76
	v_cmpx_ne_u64_e32 0, v[0:1]
	s_xor_b32 s11, exec_lo, s11
; %bb.6173:                             ;   in Loop: Header=BB6_5693 Depth=2
	v_lshrrev_b32_e32 v0, 24, v2
                                        ; implicit-def: $vgpr2
	s_delay_alu instid0(VALU_DEP_1)
	v_or_b32_e32 v76, 0x7f, v0
; %bb.6174:                             ;   in Loop: Header=BB6_5693 Depth=2
	s_and_not1_saveexec_b32 s11, s11
; %bb.6175:                             ;   in Loop: Header=BB6_5693 Depth=2
	v_cmp_lt_i32_e32 vcc_lo, -1, v2
	v_cndmask_b32_e64 v76, -4, 0x7c, vcc_lo
; %bb.6176:                             ;   in Loop: Header=BB6_5693 Depth=2
	s_or_b32 exec_lo, exec_lo, s11
.LBB6_6177:                             ;   in Loop: Header=BB6_5693 Depth=2
	s_delay_alu instid0(SALU_CYCLE_1)
	s_or_b32 exec_lo, exec_lo, s10
	flat_load_i8 v2, v[10:11] offset:448 th:TH_LOAD_NT
	v_mov_b32_e32 v3, 0
	s_mov_b32 s10, exec_lo
	s_wait_loadcnt_dscnt 0x0
	v_cmpx_ne_u16_e32 0, v2
	s_cbranch_execz .LBB6_6187
; %bb.6178:                             ;   in Loop: Header=BB6_5693 Depth=2
	v_bfrev_b32_e32 v3, 1
	s_mov_b32 s11, exec_lo
	v_cmpx_ne_u16_e32 0xff80, v2
	s_cbranch_execz .LBB6_6186
; %bb.6179:                             ;   in Loop: Header=BB6_5693 Depth=2
	v_and_b32_e32 v3, 0x7c, v2
	v_and_b32_e32 v0, 3, v2
	s_delay_alu instid0(VALU_DEP_2) | instskip(SKIP_1) | instid1(SALU_CYCLE_1)
	v_cmp_ne_u32_e32 vcc_lo, 0x7c, v3
                                        ; implicit-def: $vgpr3
	s_and_saveexec_b32 s29, vcc_lo
	s_xor_b32 s29, exec_lo, s29
	s_cbranch_execz .LBB6_6183
; %bb.6180:                             ;   in Loop: Header=BB6_5693 Depth=2
	v_and_b32_e32 v3, 0xff, v2
	s_mov_b32 s40, exec_lo
	s_delay_alu instid0(VALU_DEP_1) | instskip(NEXT) | instid1(VALU_DEP_1)
	v_bfe_u32 v3, v3, 2, 5
	v_cmpx_eq_u32_e32 0, v3
	s_cbranch_execz .LBB6_6182
; %bb.6181:                             ;   in Loop: Header=BB6_5693 Depth=2
	v_clz_i32_u32_e32 v0, v0
	v_mov_b32_e32 v3, v1
	s_delay_alu instid0(VALU_DEP_2) | instskip(NEXT) | instid1(VALU_DEP_1)
	v_min_u32_e32 v0, 32, v0
	v_subrev_nc_u32_e32 v4, 29, v0
	s_delay_alu instid0(VALU_DEP_1) | instskip(SKIP_1) | instid1(VALU_DEP_2)
	v_lshlrev_b64_e32 v[4:5], v4, v[2:3]
	v_sub_nc_u32_e32 v3, 30, v0
	v_and_b32_e32 v0, 3, v4
.LBB6_6182:                             ;   in Loop: Header=BB6_5693 Depth=2
	s_or_b32 exec_lo, exec_lo, s40
	v_bfe_i32 v2, v2, 0, 16
	s_delay_alu instid0(VALU_DEP_1) | instskip(NEXT) | instid1(VALU_DEP_1)
	v_and_b32_e32 v2, 0x80000000, v2
	v_lshl_add_u32 v2, v3, 23, v2
	s_delay_alu instid0(VALU_DEP_1) | instskip(NEXT) | instid1(VALU_DEP_1)
	v_lshl_or_b32 v0, v0, 21, v2
                                        ; implicit-def: $vgpr2
	v_add_nc_u32_e32 v3, 0x38000000, v0
                                        ; implicit-def: $vgpr0
.LBB6_6183:                             ;   in Loop: Header=BB6_5693 Depth=2
	s_and_not1_saveexec_b32 s29, s29
; %bb.6184:                             ;   in Loop: Header=BB6_5693 Depth=2
	v_cmp_lt_i16_e32 vcc_lo, -1, v2
	v_mov_b32_e32 v2, 0x7f800000
	s_delay_alu instid0(VALU_DEP_1) | instskip(SKIP_1) | instid1(VALU_DEP_2)
	v_cndmask_b32_e32 v2, 0xff800000, v2, vcc_lo
	v_cmp_eq_u32_e32 vcc_lo, 0, v0
	v_cndmask_b32_e32 v3, 0x7f800001, v2, vcc_lo
; %bb.6185:                             ;   in Loop: Header=BB6_5693 Depth=2
	s_or_b32 exec_lo, exec_lo, s29
.LBB6_6186:                             ;   in Loop: Header=BB6_5693 Depth=2
	s_delay_alu instid0(SALU_CYCLE_1)
	s_or_b32 exec_lo, exec_lo, s11
.LBB6_6187:                             ;   in Loop: Header=BB6_5693 Depth=2
	s_delay_alu instid0(SALU_CYCLE_1) | instskip(NEXT) | instid1(VALU_DEP_1)
	s_or_b32 exec_lo, exec_lo, s10
	v_dual_mul_f32 v2, s28, v3 :: v_dual_mov_b32 v5, v1
                                        ; implicit-def: $vgpr74
	s_mov_b32 s10, exec_lo
	s_delay_alu instid0(VALU_DEP_1) | instskip(SKIP_1) | instid1(VALU_DEP_2)
	v_and_b32_e32 v4, 0x7f800000, v2
	v_and_b32_e32 v0, 0x7fffff, v2
	v_cmpx_ne_u64_e32 0x7f800000, v[4:5]
	s_xor_b32 s11, exec_lo, s10
	s_cbranch_execz .LBB6_6205
; %bb.6188:                             ;   in Loop: Header=BB6_5693 Depth=2
	v_dual_mov_b32 v5, v1 :: v_dual_lshrrev_b32 v3, 24, v2
	v_and_b32_e32 v4, 0x7fffffff, v2
                                        ; implicit-def: $vgpr74
	s_mov_b32 s10, exec_lo
	s_delay_alu instid0(VALU_DEP_2) | instskip(NEXT) | instid1(VALU_DEP_2)
	v_and_b32_e32 v6, 0x80, v3
	v_cmpx_gt_u64_e32 0x47600001, v[4:5]
	s_xor_b32 s29, exec_lo, s10
	s_cbranch_execz .LBB6_6202
; %bb.6189:                             ;   in Loop: Header=BB6_5693 Depth=2
	v_mov_b32_e32 v74, 0
	s_mov_b32 s40, exec_lo
	v_cmpx_ne_u32_e32 0, v2
	s_cbranch_execz .LBB6_6201
; %bb.6190:                             ;   in Loop: Header=BB6_5693 Depth=2
	v_bfe_u32 v7, v2, 23, 8
	v_or_b32_e32 v4, 0x800000, v0
	s_mov_b32 s41, exec_lo
	s_delay_alu instid0(VALU_DEP_2) | instskip(SKIP_1) | instid1(VALU_DEP_2)
	v_dual_mov_b32 v5, v1 :: v_dual_sub_nc_u32 v2, 0x71, v7
	v_cmp_gt_u32_e32 vcc_lo, 0x72, v7
	v_cndmask_b32_e32 v2, 0, v2, vcc_lo
	v_cmp_eq_u32_e32 vcc_lo, 0, v7
	s_delay_alu instid0(VALU_DEP_2) | instskip(SKIP_1) | instid1(VALU_DEP_2)
	v_cndmask_b32_e64 v8, v2, 0x70, vcc_lo
	v_cndmask_b32_e32 v4, v4, v0, vcc_lo
	v_dual_add_nc_u32 v2, 21, v8 :: v_dual_add_nc_u32 v9, 20, v8
	s_delay_alu instid0(VALU_DEP_1) | instskip(NEXT) | instid1(VALU_DEP_2)
	v_lshlrev_b64_e64 v[2:3], v2, -1
	v_lshlrev_b64_e64 v[16:17], v9, 1
	s_delay_alu instid0(VALU_DEP_2) | instskip(NEXT) | instid1(VALU_DEP_3)
	v_bfi_b32 v19, v3, 0, 0
	v_bfi_b32 v18, v2, 0, v4
	v_lshrrev_b64 v[2:3], v8, v[4:5]
	s_delay_alu instid0(VALU_DEP_1) | instskip(NEXT) | instid1(VALU_DEP_3)
	v_mov_b64_e32 v[4:5], v[2:3]
	v_cmpx_eq_u64_e64 v[18:19], v[16:17]
; %bb.6191:                             ;   in Loop: Header=BB6_5693 Depth=2
	v_bfe_u32 v4, v2, 21, 1
	v_mov_b32_e32 v5, v1
	s_delay_alu instid0(VALU_DEP_1) | instskip(NEXT) | instid1(VALU_DEP_1)
	v_add_nc_u64_e32 v[4:5], v[2:3], v[4:5]
	v_add_nc_u64_e32 v[4:5], -1, v[4:5]
; %bb.6192:                             ;   in Loop: Header=BB6_5693 Depth=2
	s_or_b32 exec_lo, exec_lo, s41
	v_add_nc_u32_e32 v0, 0xffffff81, v7
	s_delay_alu instid0(VALU_DEP_2) | instskip(SKIP_2) | instid1(VALU_DEP_3)
	v_and_b32_e32 v4, 0x1fffff, v4
	v_lshrrev_b32_e32 v3, 23, v2
	s_mov_b32 s10, exec_lo
	v_cndmask_b32_e64 v0, v0, 0xffffff82, vcc_lo
	s_delay_alu instid0(VALU_DEP_1) | instskip(SKIP_1) | instid1(VALU_DEP_2)
	v_add3_u32 v5, v8, v0, v3
	v_add_nc_u32_e32 v0, v4, v2
                                        ; implicit-def: $vgpr2_vgpr3
                                        ; implicit-def: $vgpr4
	v_add_nc_u32_e32 v7, 14, v5
	s_delay_alu instid0(VALU_DEP_1)
	v_cmpx_ne_u32_e32 0, v7
	s_xor_b32 s10, exec_lo, s10
; %bb.6193:                             ;   in Loop: Header=BB6_5693 Depth=2
	s_delay_alu instid0(VALU_DEP_3) | instskip(SKIP_1) | instid1(VALU_DEP_1)
	v_cmp_lt_u64_e32 vcc_lo, 0xffffff, v[0:1]
	v_add_nc_u32_e32 v2, 15, v5
	v_cndmask_b32_e32 v4, v7, v2, vcc_lo
	v_cndmask_b32_e64 v2, 0, 1, vcc_lo
	s_delay_alu instid0(VALU_DEP_1)
	v_lshrrev_b64 v[2:3], v2, v[0:1]
; %bb.6194:                             ;   in Loop: Header=BB6_5693 Depth=2
	s_and_not1_saveexec_b32 s10, s10
; %bb.6195:                             ;   in Loop: Header=BB6_5693 Depth=2
	v_mov_b64_e32 v[2:3], v[0:1]
	v_bfe_u32 v4, v0, 23, 1
; %bb.6196:                             ;   in Loop: Header=BB6_5693 Depth=2
	s_or_b32 exec_lo, exec_lo, s10
	s_delay_alu instid0(VALU_DEP_2) | instskip(NEXT) | instid1(VALU_DEP_2)
	v_lshrrev_b64 v[2:3], 21, v[2:3]
	v_cmp_gt_i32_e32 vcc_lo, 32, v4
	v_cmp_ne_u32_e64 s10, 0, v4
                                        ; implicit-def: $vgpr74
	s_delay_alu instid0(VALU_DEP_3) | instskip(NEXT) | instid1(VALU_DEP_1)
	v_dual_cndmask_b32 v3, 0, v3 :: v_dual_cndmask_b32 v2, 3, v2
	v_cmp_ne_u64_e32 vcc_lo, 0, v[2:3]
	s_or_b32 s10, s10, vcc_lo
	s_delay_alu instid0(SALU_CYCLE_1) | instskip(NEXT) | instid1(SALU_CYCLE_1)
	s_and_saveexec_b32 s41, s10
	s_xor_b32 s10, exec_lo, s41
; %bb.6197:                             ;   in Loop: Header=BB6_5693 Depth=2
	v_min_i32_e32 v0, 31, v4
	s_delay_alu instid0(VALU_DEP_1) | instskip(NEXT) | instid1(VALU_DEP_1)
	v_lshl_or_b32 v0, v0, 2, v6
                                        ; implicit-def: $vgpr6
	v_and_or_b32 v74, v2, 3, v0
; %bb.6198:                             ;   in Loop: Header=BB6_5693 Depth=2
	s_and_not1_saveexec_b32 s10, s10
; %bb.6199:                             ;   in Loop: Header=BB6_5693 Depth=2
	v_mov_b32_e32 v74, v6
; %bb.6200:                             ;   in Loop: Header=BB6_5693 Depth=2
	s_or_b32 exec_lo, exec_lo, s10
.LBB6_6201:                             ;   in Loop: Header=BB6_5693 Depth=2
	s_delay_alu instid0(SALU_CYCLE_1)
	s_or_b32 exec_lo, exec_lo, s40
                                        ; implicit-def: $vgpr6
.LBB6_6202:                             ;   in Loop: Header=BB6_5693 Depth=2
	s_and_not1_saveexec_b32 s10, s29
; %bb.6203:                             ;   in Loop: Header=BB6_5693 Depth=2
	v_or_b32_e32 v74, 0x7b, v6
; %bb.6204:                             ;   in Loop: Header=BB6_5693 Depth=2
	s_or_b32 exec_lo, exec_lo, s10
                                        ; implicit-def: $vgpr2
.LBB6_6205:                             ;   in Loop: Header=BB6_5693 Depth=2
	s_and_not1_saveexec_b32 s10, s11
	s_cbranch_execz .LBB6_6211
; %bb.6206:                             ;   in Loop: Header=BB6_5693 Depth=2
	s_mov_b32 s11, exec_lo
                                        ; implicit-def: $vgpr74
	v_cmpx_ne_u64_e32 0, v[0:1]
	s_xor_b32 s11, exec_lo, s11
; %bb.6207:                             ;   in Loop: Header=BB6_5693 Depth=2
	v_lshrrev_b32_e32 v0, 24, v2
                                        ; implicit-def: $vgpr2
	s_delay_alu instid0(VALU_DEP_1)
	v_or_b32_e32 v74, 0x7f, v0
; %bb.6208:                             ;   in Loop: Header=BB6_5693 Depth=2
	s_and_not1_saveexec_b32 s11, s11
; %bb.6209:                             ;   in Loop: Header=BB6_5693 Depth=2
	v_cmp_lt_i32_e32 vcc_lo, -1, v2
	v_cndmask_b32_e64 v74, -4, 0x7c, vcc_lo
; %bb.6210:                             ;   in Loop: Header=BB6_5693 Depth=2
	s_or_b32 exec_lo, exec_lo, s11
.LBB6_6211:                             ;   in Loop: Header=BB6_5693 Depth=2
	s_delay_alu instid0(SALU_CYCLE_1)
	s_or_b32 exec_lo, exec_lo, s10
	flat_load_i8 v2, v[10:11] offset:480 th:TH_LOAD_NT
	v_mov_b32_e32 v3, 0
	s_mov_b32 s10, exec_lo
	s_wait_loadcnt_dscnt 0x0
	v_cmpx_ne_u16_e32 0, v2
	s_cbranch_execz .LBB6_6221
; %bb.6212:                             ;   in Loop: Header=BB6_5693 Depth=2
	v_bfrev_b32_e32 v3, 1
	s_mov_b32 s11, exec_lo
	v_cmpx_ne_u16_e32 0xff80, v2
	s_cbranch_execz .LBB6_6220
; %bb.6213:                             ;   in Loop: Header=BB6_5693 Depth=2
	v_and_b32_e32 v3, 0x7c, v2
	v_and_b32_e32 v0, 3, v2
	s_delay_alu instid0(VALU_DEP_2) | instskip(SKIP_1) | instid1(SALU_CYCLE_1)
	v_cmp_ne_u32_e32 vcc_lo, 0x7c, v3
                                        ; implicit-def: $vgpr3
	s_and_saveexec_b32 s29, vcc_lo
	s_xor_b32 s29, exec_lo, s29
	s_cbranch_execz .LBB6_6217
; %bb.6214:                             ;   in Loop: Header=BB6_5693 Depth=2
	v_and_b32_e32 v3, 0xff, v2
	s_mov_b32 s40, exec_lo
	s_delay_alu instid0(VALU_DEP_1) | instskip(NEXT) | instid1(VALU_DEP_1)
	v_bfe_u32 v3, v3, 2, 5
	v_cmpx_eq_u32_e32 0, v3
	s_cbranch_execz .LBB6_6216
; %bb.6215:                             ;   in Loop: Header=BB6_5693 Depth=2
	v_clz_i32_u32_e32 v0, v0
	v_mov_b32_e32 v3, v1
	s_delay_alu instid0(VALU_DEP_2) | instskip(NEXT) | instid1(VALU_DEP_1)
	v_min_u32_e32 v0, 32, v0
	v_subrev_nc_u32_e32 v4, 29, v0
	s_delay_alu instid0(VALU_DEP_1) | instskip(SKIP_1) | instid1(VALU_DEP_2)
	v_lshlrev_b64_e32 v[4:5], v4, v[2:3]
	v_sub_nc_u32_e32 v3, 30, v0
	v_and_b32_e32 v0, 3, v4
.LBB6_6216:                             ;   in Loop: Header=BB6_5693 Depth=2
	s_or_b32 exec_lo, exec_lo, s40
	v_bfe_i32 v2, v2, 0, 16
	s_delay_alu instid0(VALU_DEP_1) | instskip(NEXT) | instid1(VALU_DEP_1)
	v_and_b32_e32 v2, 0x80000000, v2
	v_lshl_add_u32 v2, v3, 23, v2
	s_delay_alu instid0(VALU_DEP_1) | instskip(NEXT) | instid1(VALU_DEP_1)
	v_lshl_or_b32 v0, v0, 21, v2
                                        ; implicit-def: $vgpr2
	v_add_nc_u32_e32 v3, 0x38000000, v0
                                        ; implicit-def: $vgpr0
.LBB6_6217:                             ;   in Loop: Header=BB6_5693 Depth=2
	s_and_not1_saveexec_b32 s29, s29
; %bb.6218:                             ;   in Loop: Header=BB6_5693 Depth=2
	v_cmp_lt_i16_e32 vcc_lo, -1, v2
	v_mov_b32_e32 v2, 0x7f800000
	s_delay_alu instid0(VALU_DEP_1) | instskip(SKIP_1) | instid1(VALU_DEP_2)
	v_cndmask_b32_e32 v2, 0xff800000, v2, vcc_lo
	v_cmp_eq_u32_e32 vcc_lo, 0, v0
	v_cndmask_b32_e32 v3, 0x7f800001, v2, vcc_lo
; %bb.6219:                             ;   in Loop: Header=BB6_5693 Depth=2
	s_or_b32 exec_lo, exec_lo, s29
.LBB6_6220:                             ;   in Loop: Header=BB6_5693 Depth=2
	s_delay_alu instid0(SALU_CYCLE_1)
	s_or_b32 exec_lo, exec_lo, s11
.LBB6_6221:                             ;   in Loop: Header=BB6_5693 Depth=2
	s_delay_alu instid0(SALU_CYCLE_1) | instskip(NEXT) | instid1(VALU_DEP_1)
	s_or_b32 exec_lo, exec_lo, s10
	v_dual_mul_f32 v2, s28, v3 :: v_dual_mov_b32 v5, v1
                                        ; implicit-def: $vgpr72
	s_mov_b32 s10, exec_lo
	s_delay_alu instid0(VALU_DEP_1) | instskip(SKIP_1) | instid1(VALU_DEP_2)
	v_and_b32_e32 v4, 0x7f800000, v2
	v_and_b32_e32 v0, 0x7fffff, v2
	v_cmpx_ne_u64_e32 0x7f800000, v[4:5]
	s_xor_b32 s11, exec_lo, s10
	s_cbranch_execz .LBB6_6239
; %bb.6222:                             ;   in Loop: Header=BB6_5693 Depth=2
	v_dual_mov_b32 v5, v1 :: v_dual_lshrrev_b32 v3, 24, v2
	v_and_b32_e32 v4, 0x7fffffff, v2
                                        ; implicit-def: $vgpr72
	s_mov_b32 s10, exec_lo
	s_delay_alu instid0(VALU_DEP_2) | instskip(NEXT) | instid1(VALU_DEP_2)
	v_and_b32_e32 v6, 0x80, v3
	v_cmpx_gt_u64_e32 0x47600001, v[4:5]
	s_xor_b32 s29, exec_lo, s10
	s_cbranch_execz .LBB6_6236
; %bb.6223:                             ;   in Loop: Header=BB6_5693 Depth=2
	v_mov_b32_e32 v72, 0
	s_mov_b32 s40, exec_lo
	v_cmpx_ne_u32_e32 0, v2
	s_cbranch_execz .LBB6_6235
; %bb.6224:                             ;   in Loop: Header=BB6_5693 Depth=2
	v_bfe_u32 v7, v2, 23, 8
	v_or_b32_e32 v4, 0x800000, v0
	s_mov_b32 s41, exec_lo
	s_delay_alu instid0(VALU_DEP_2) | instskip(SKIP_1) | instid1(VALU_DEP_2)
	v_dual_mov_b32 v5, v1 :: v_dual_sub_nc_u32 v2, 0x71, v7
	v_cmp_gt_u32_e32 vcc_lo, 0x72, v7
	v_cndmask_b32_e32 v2, 0, v2, vcc_lo
	v_cmp_eq_u32_e32 vcc_lo, 0, v7
	s_delay_alu instid0(VALU_DEP_2) | instskip(SKIP_1) | instid1(VALU_DEP_2)
	v_cndmask_b32_e64 v8, v2, 0x70, vcc_lo
	v_cndmask_b32_e32 v4, v4, v0, vcc_lo
	v_dual_add_nc_u32 v2, 21, v8 :: v_dual_add_nc_u32 v9, 20, v8
	s_delay_alu instid0(VALU_DEP_1) | instskip(NEXT) | instid1(VALU_DEP_2)
	v_lshlrev_b64_e64 v[2:3], v2, -1
	v_lshlrev_b64_e64 v[16:17], v9, 1
	s_delay_alu instid0(VALU_DEP_2) | instskip(NEXT) | instid1(VALU_DEP_3)
	v_bfi_b32 v19, v3, 0, 0
	v_bfi_b32 v18, v2, 0, v4
	v_lshrrev_b64 v[2:3], v8, v[4:5]
	s_delay_alu instid0(VALU_DEP_1) | instskip(NEXT) | instid1(VALU_DEP_3)
	v_mov_b64_e32 v[4:5], v[2:3]
	v_cmpx_eq_u64_e64 v[18:19], v[16:17]
; %bb.6225:                             ;   in Loop: Header=BB6_5693 Depth=2
	v_bfe_u32 v4, v2, 21, 1
	v_mov_b32_e32 v5, v1
	s_delay_alu instid0(VALU_DEP_1) | instskip(NEXT) | instid1(VALU_DEP_1)
	v_add_nc_u64_e32 v[4:5], v[2:3], v[4:5]
	v_add_nc_u64_e32 v[4:5], -1, v[4:5]
; %bb.6226:                             ;   in Loop: Header=BB6_5693 Depth=2
	s_or_b32 exec_lo, exec_lo, s41
	v_add_nc_u32_e32 v0, 0xffffff81, v7
	s_delay_alu instid0(VALU_DEP_2) | instskip(SKIP_2) | instid1(VALU_DEP_3)
	v_and_b32_e32 v4, 0x1fffff, v4
	v_lshrrev_b32_e32 v3, 23, v2
	s_mov_b32 s10, exec_lo
	v_cndmask_b32_e64 v0, v0, 0xffffff82, vcc_lo
	s_delay_alu instid0(VALU_DEP_1) | instskip(SKIP_1) | instid1(VALU_DEP_2)
	v_add3_u32 v5, v8, v0, v3
	v_add_nc_u32_e32 v0, v4, v2
                                        ; implicit-def: $vgpr2_vgpr3
                                        ; implicit-def: $vgpr4
	v_add_nc_u32_e32 v7, 14, v5
	s_delay_alu instid0(VALU_DEP_1)
	v_cmpx_ne_u32_e32 0, v7
	s_xor_b32 s10, exec_lo, s10
; %bb.6227:                             ;   in Loop: Header=BB6_5693 Depth=2
	s_delay_alu instid0(VALU_DEP_3) | instskip(SKIP_1) | instid1(VALU_DEP_1)
	v_cmp_lt_u64_e32 vcc_lo, 0xffffff, v[0:1]
	v_add_nc_u32_e32 v2, 15, v5
	v_cndmask_b32_e32 v4, v7, v2, vcc_lo
	v_cndmask_b32_e64 v2, 0, 1, vcc_lo
	s_delay_alu instid0(VALU_DEP_1)
	v_lshrrev_b64 v[2:3], v2, v[0:1]
; %bb.6228:                             ;   in Loop: Header=BB6_5693 Depth=2
	s_and_not1_saveexec_b32 s10, s10
; %bb.6229:                             ;   in Loop: Header=BB6_5693 Depth=2
	v_mov_b64_e32 v[2:3], v[0:1]
	v_bfe_u32 v4, v0, 23, 1
; %bb.6230:                             ;   in Loop: Header=BB6_5693 Depth=2
	s_or_b32 exec_lo, exec_lo, s10
	s_delay_alu instid0(VALU_DEP_2) | instskip(NEXT) | instid1(VALU_DEP_2)
	v_lshrrev_b64 v[2:3], 21, v[2:3]
	v_cmp_gt_i32_e32 vcc_lo, 32, v4
	v_cmp_ne_u32_e64 s10, 0, v4
                                        ; implicit-def: $vgpr72
	s_delay_alu instid0(VALU_DEP_3) | instskip(NEXT) | instid1(VALU_DEP_1)
	v_dual_cndmask_b32 v3, 0, v3 :: v_dual_cndmask_b32 v2, 3, v2
	v_cmp_ne_u64_e32 vcc_lo, 0, v[2:3]
	s_or_b32 s10, s10, vcc_lo
	s_delay_alu instid0(SALU_CYCLE_1) | instskip(NEXT) | instid1(SALU_CYCLE_1)
	s_and_saveexec_b32 s41, s10
	s_xor_b32 s10, exec_lo, s41
; %bb.6231:                             ;   in Loop: Header=BB6_5693 Depth=2
	v_min_i32_e32 v0, 31, v4
	s_delay_alu instid0(VALU_DEP_1) | instskip(NEXT) | instid1(VALU_DEP_1)
	v_lshl_or_b32 v0, v0, 2, v6
                                        ; implicit-def: $vgpr6
	v_and_or_b32 v72, v2, 3, v0
; %bb.6232:                             ;   in Loop: Header=BB6_5693 Depth=2
	s_and_not1_saveexec_b32 s10, s10
; %bb.6233:                             ;   in Loop: Header=BB6_5693 Depth=2
	v_mov_b32_e32 v72, v6
; %bb.6234:                             ;   in Loop: Header=BB6_5693 Depth=2
	s_or_b32 exec_lo, exec_lo, s10
.LBB6_6235:                             ;   in Loop: Header=BB6_5693 Depth=2
	s_delay_alu instid0(SALU_CYCLE_1)
	s_or_b32 exec_lo, exec_lo, s40
                                        ; implicit-def: $vgpr6
.LBB6_6236:                             ;   in Loop: Header=BB6_5693 Depth=2
	s_and_not1_saveexec_b32 s10, s29
; %bb.6237:                             ;   in Loop: Header=BB6_5693 Depth=2
	v_or_b32_e32 v72, 0x7b, v6
; %bb.6238:                             ;   in Loop: Header=BB6_5693 Depth=2
	s_or_b32 exec_lo, exec_lo, s10
                                        ; implicit-def: $vgpr2
.LBB6_6239:                             ;   in Loop: Header=BB6_5693 Depth=2
	s_and_not1_saveexec_b32 s10, s11
	s_cbranch_execz .LBB6_6245
; %bb.6240:                             ;   in Loop: Header=BB6_5693 Depth=2
	s_mov_b32 s11, exec_lo
                                        ; implicit-def: $vgpr72
	v_cmpx_ne_u64_e32 0, v[0:1]
	s_xor_b32 s11, exec_lo, s11
; %bb.6241:                             ;   in Loop: Header=BB6_5693 Depth=2
	v_lshrrev_b32_e32 v0, 24, v2
                                        ; implicit-def: $vgpr2
	s_delay_alu instid0(VALU_DEP_1)
	v_or_b32_e32 v72, 0x7f, v0
; %bb.6242:                             ;   in Loop: Header=BB6_5693 Depth=2
	s_and_not1_saveexec_b32 s11, s11
; %bb.6243:                             ;   in Loop: Header=BB6_5693 Depth=2
	v_cmp_lt_i32_e32 vcc_lo, -1, v2
	v_cndmask_b32_e64 v72, -4, 0x7c, vcc_lo
; %bb.6244:                             ;   in Loop: Header=BB6_5693 Depth=2
	s_or_b32 exec_lo, exec_lo, s11
.LBB6_6245:                             ;   in Loop: Header=BB6_5693 Depth=2
	s_delay_alu instid0(SALU_CYCLE_1)
	s_or_b32 exec_lo, exec_lo, s10
	flat_load_i8 v2, v[10:11] offset:512 th:TH_LOAD_NT
	v_mov_b32_e32 v3, 0
	s_mov_b32 s10, exec_lo
	s_wait_loadcnt_dscnt 0x0
	v_cmpx_ne_u16_e32 0, v2
	s_cbranch_execz .LBB6_6255
; %bb.6246:                             ;   in Loop: Header=BB6_5693 Depth=2
	v_bfrev_b32_e32 v3, 1
	s_mov_b32 s11, exec_lo
	v_cmpx_ne_u16_e32 0xff80, v2
	s_cbranch_execz .LBB6_6254
; %bb.6247:                             ;   in Loop: Header=BB6_5693 Depth=2
	v_and_b32_e32 v3, 0x7c, v2
	v_and_b32_e32 v0, 3, v2
	s_delay_alu instid0(VALU_DEP_2) | instskip(SKIP_1) | instid1(SALU_CYCLE_1)
	v_cmp_ne_u32_e32 vcc_lo, 0x7c, v3
                                        ; implicit-def: $vgpr3
	s_and_saveexec_b32 s29, vcc_lo
	s_xor_b32 s29, exec_lo, s29
	s_cbranch_execz .LBB6_6251
; %bb.6248:                             ;   in Loop: Header=BB6_5693 Depth=2
	v_and_b32_e32 v3, 0xff, v2
	s_mov_b32 s40, exec_lo
	s_delay_alu instid0(VALU_DEP_1) | instskip(NEXT) | instid1(VALU_DEP_1)
	v_bfe_u32 v3, v3, 2, 5
	v_cmpx_eq_u32_e32 0, v3
	s_cbranch_execz .LBB6_6250
; %bb.6249:                             ;   in Loop: Header=BB6_5693 Depth=2
	v_clz_i32_u32_e32 v0, v0
	v_mov_b32_e32 v3, v1
	s_delay_alu instid0(VALU_DEP_2) | instskip(NEXT) | instid1(VALU_DEP_1)
	v_min_u32_e32 v0, 32, v0
	v_subrev_nc_u32_e32 v4, 29, v0
	s_delay_alu instid0(VALU_DEP_1) | instskip(SKIP_1) | instid1(VALU_DEP_2)
	v_lshlrev_b64_e32 v[4:5], v4, v[2:3]
	v_sub_nc_u32_e32 v3, 30, v0
	v_and_b32_e32 v0, 3, v4
.LBB6_6250:                             ;   in Loop: Header=BB6_5693 Depth=2
	s_or_b32 exec_lo, exec_lo, s40
	v_bfe_i32 v2, v2, 0, 16
	s_delay_alu instid0(VALU_DEP_1) | instskip(NEXT) | instid1(VALU_DEP_1)
	v_and_b32_e32 v2, 0x80000000, v2
	v_lshl_add_u32 v2, v3, 23, v2
	s_delay_alu instid0(VALU_DEP_1) | instskip(NEXT) | instid1(VALU_DEP_1)
	v_lshl_or_b32 v0, v0, 21, v2
                                        ; implicit-def: $vgpr2
	v_add_nc_u32_e32 v3, 0x38000000, v0
                                        ; implicit-def: $vgpr0
.LBB6_6251:                             ;   in Loop: Header=BB6_5693 Depth=2
	s_and_not1_saveexec_b32 s29, s29
; %bb.6252:                             ;   in Loop: Header=BB6_5693 Depth=2
	v_cmp_lt_i16_e32 vcc_lo, -1, v2
	v_mov_b32_e32 v2, 0x7f800000
	s_delay_alu instid0(VALU_DEP_1) | instskip(SKIP_1) | instid1(VALU_DEP_2)
	v_cndmask_b32_e32 v2, 0xff800000, v2, vcc_lo
	v_cmp_eq_u32_e32 vcc_lo, 0, v0
	v_cndmask_b32_e32 v3, 0x7f800001, v2, vcc_lo
; %bb.6253:                             ;   in Loop: Header=BB6_5693 Depth=2
	s_or_b32 exec_lo, exec_lo, s29
.LBB6_6254:                             ;   in Loop: Header=BB6_5693 Depth=2
	s_delay_alu instid0(SALU_CYCLE_1)
	s_or_b32 exec_lo, exec_lo, s11
.LBB6_6255:                             ;   in Loop: Header=BB6_5693 Depth=2
	s_delay_alu instid0(SALU_CYCLE_1) | instskip(NEXT) | instid1(VALU_DEP_1)
	s_or_b32 exec_lo, exec_lo, s10
	v_dual_mul_f32 v2, s28, v3 :: v_dual_mov_b32 v5, v1
                                        ; implicit-def: $vgpr62
	s_mov_b32 s10, exec_lo
	s_delay_alu instid0(VALU_DEP_1) | instskip(SKIP_1) | instid1(VALU_DEP_2)
	v_and_b32_e32 v4, 0x7f800000, v2
	v_and_b32_e32 v0, 0x7fffff, v2
	v_cmpx_ne_u64_e32 0x7f800000, v[4:5]
	s_xor_b32 s11, exec_lo, s10
	s_cbranch_execz .LBB6_6273
; %bb.6256:                             ;   in Loop: Header=BB6_5693 Depth=2
	v_dual_mov_b32 v5, v1 :: v_dual_lshrrev_b32 v3, 24, v2
	v_and_b32_e32 v4, 0x7fffffff, v2
                                        ; implicit-def: $vgpr62
	s_mov_b32 s10, exec_lo
	s_delay_alu instid0(VALU_DEP_2) | instskip(NEXT) | instid1(VALU_DEP_2)
	v_and_b32_e32 v6, 0x80, v3
	v_cmpx_gt_u64_e32 0x47600001, v[4:5]
	s_xor_b32 s29, exec_lo, s10
	s_cbranch_execz .LBB6_6270
; %bb.6257:                             ;   in Loop: Header=BB6_5693 Depth=2
	v_mov_b32_e32 v62, 0
	s_mov_b32 s40, exec_lo
	v_cmpx_ne_u32_e32 0, v2
	s_cbranch_execz .LBB6_6269
; %bb.6258:                             ;   in Loop: Header=BB6_5693 Depth=2
	v_bfe_u32 v7, v2, 23, 8
	v_or_b32_e32 v4, 0x800000, v0
	s_mov_b32 s41, exec_lo
	s_delay_alu instid0(VALU_DEP_2) | instskip(SKIP_1) | instid1(VALU_DEP_2)
	v_dual_mov_b32 v5, v1 :: v_dual_sub_nc_u32 v2, 0x71, v7
	v_cmp_gt_u32_e32 vcc_lo, 0x72, v7
	v_cndmask_b32_e32 v2, 0, v2, vcc_lo
	v_cmp_eq_u32_e32 vcc_lo, 0, v7
	s_delay_alu instid0(VALU_DEP_2) | instskip(SKIP_1) | instid1(VALU_DEP_2)
	v_cndmask_b32_e64 v8, v2, 0x70, vcc_lo
	v_cndmask_b32_e32 v4, v4, v0, vcc_lo
	v_dual_add_nc_u32 v2, 21, v8 :: v_dual_add_nc_u32 v9, 20, v8
	s_delay_alu instid0(VALU_DEP_1) | instskip(NEXT) | instid1(VALU_DEP_2)
	v_lshlrev_b64_e64 v[2:3], v2, -1
	v_lshlrev_b64_e64 v[16:17], v9, 1
	s_delay_alu instid0(VALU_DEP_2) | instskip(NEXT) | instid1(VALU_DEP_3)
	v_bfi_b32 v19, v3, 0, 0
	v_bfi_b32 v18, v2, 0, v4
	v_lshrrev_b64 v[2:3], v8, v[4:5]
	s_delay_alu instid0(VALU_DEP_1) | instskip(NEXT) | instid1(VALU_DEP_3)
	v_mov_b64_e32 v[4:5], v[2:3]
	v_cmpx_eq_u64_e64 v[18:19], v[16:17]
; %bb.6259:                             ;   in Loop: Header=BB6_5693 Depth=2
	v_bfe_u32 v4, v2, 21, 1
	v_mov_b32_e32 v5, v1
	s_delay_alu instid0(VALU_DEP_1) | instskip(NEXT) | instid1(VALU_DEP_1)
	v_add_nc_u64_e32 v[4:5], v[2:3], v[4:5]
	v_add_nc_u64_e32 v[4:5], -1, v[4:5]
; %bb.6260:                             ;   in Loop: Header=BB6_5693 Depth=2
	s_or_b32 exec_lo, exec_lo, s41
	v_add_nc_u32_e32 v0, 0xffffff81, v7
	s_delay_alu instid0(VALU_DEP_2) | instskip(SKIP_2) | instid1(VALU_DEP_3)
	v_and_b32_e32 v4, 0x1fffff, v4
	v_lshrrev_b32_e32 v3, 23, v2
	s_mov_b32 s10, exec_lo
	v_cndmask_b32_e64 v0, v0, 0xffffff82, vcc_lo
	s_delay_alu instid0(VALU_DEP_1) | instskip(SKIP_1) | instid1(VALU_DEP_2)
	v_add3_u32 v5, v8, v0, v3
	v_add_nc_u32_e32 v0, v4, v2
                                        ; implicit-def: $vgpr2_vgpr3
                                        ; implicit-def: $vgpr4
	v_add_nc_u32_e32 v7, 14, v5
	s_delay_alu instid0(VALU_DEP_1)
	v_cmpx_ne_u32_e32 0, v7
	s_xor_b32 s10, exec_lo, s10
; %bb.6261:                             ;   in Loop: Header=BB6_5693 Depth=2
	s_delay_alu instid0(VALU_DEP_3) | instskip(SKIP_1) | instid1(VALU_DEP_1)
	v_cmp_lt_u64_e32 vcc_lo, 0xffffff, v[0:1]
	v_add_nc_u32_e32 v2, 15, v5
	v_cndmask_b32_e32 v4, v7, v2, vcc_lo
	v_cndmask_b32_e64 v2, 0, 1, vcc_lo
	s_delay_alu instid0(VALU_DEP_1)
	v_lshrrev_b64 v[2:3], v2, v[0:1]
; %bb.6262:                             ;   in Loop: Header=BB6_5693 Depth=2
	s_and_not1_saveexec_b32 s10, s10
; %bb.6263:                             ;   in Loop: Header=BB6_5693 Depth=2
	v_mov_b64_e32 v[2:3], v[0:1]
	v_bfe_u32 v4, v0, 23, 1
; %bb.6264:                             ;   in Loop: Header=BB6_5693 Depth=2
	s_or_b32 exec_lo, exec_lo, s10
	s_delay_alu instid0(VALU_DEP_2) | instskip(NEXT) | instid1(VALU_DEP_2)
	v_lshrrev_b64 v[2:3], 21, v[2:3]
	v_cmp_gt_i32_e32 vcc_lo, 32, v4
	v_cmp_ne_u32_e64 s10, 0, v4
                                        ; implicit-def: $vgpr62
	s_delay_alu instid0(VALU_DEP_3) | instskip(NEXT) | instid1(VALU_DEP_1)
	v_dual_cndmask_b32 v3, 0, v3 :: v_dual_cndmask_b32 v2, 3, v2
	v_cmp_ne_u64_e32 vcc_lo, 0, v[2:3]
	s_or_b32 s10, s10, vcc_lo
	s_delay_alu instid0(SALU_CYCLE_1) | instskip(NEXT) | instid1(SALU_CYCLE_1)
	s_and_saveexec_b32 s41, s10
	s_xor_b32 s10, exec_lo, s41
; %bb.6265:                             ;   in Loop: Header=BB6_5693 Depth=2
	v_min_i32_e32 v0, 31, v4
	s_delay_alu instid0(VALU_DEP_1) | instskip(NEXT) | instid1(VALU_DEP_1)
	v_lshl_or_b32 v0, v0, 2, v6
                                        ; implicit-def: $vgpr6
	v_and_or_b32 v62, v2, 3, v0
; %bb.6266:                             ;   in Loop: Header=BB6_5693 Depth=2
	s_and_not1_saveexec_b32 s10, s10
; %bb.6267:                             ;   in Loop: Header=BB6_5693 Depth=2
	v_mov_b32_e32 v62, v6
; %bb.6268:                             ;   in Loop: Header=BB6_5693 Depth=2
	s_or_b32 exec_lo, exec_lo, s10
.LBB6_6269:                             ;   in Loop: Header=BB6_5693 Depth=2
	s_delay_alu instid0(SALU_CYCLE_1)
	s_or_b32 exec_lo, exec_lo, s40
                                        ; implicit-def: $vgpr6
.LBB6_6270:                             ;   in Loop: Header=BB6_5693 Depth=2
	s_and_not1_saveexec_b32 s10, s29
; %bb.6271:                             ;   in Loop: Header=BB6_5693 Depth=2
	v_or_b32_e32 v62, 0x7b, v6
; %bb.6272:                             ;   in Loop: Header=BB6_5693 Depth=2
	s_or_b32 exec_lo, exec_lo, s10
                                        ; implicit-def: $vgpr2
.LBB6_6273:                             ;   in Loop: Header=BB6_5693 Depth=2
	s_and_not1_saveexec_b32 s10, s11
	s_cbranch_execz .LBB6_6279
; %bb.6274:                             ;   in Loop: Header=BB6_5693 Depth=2
	s_mov_b32 s11, exec_lo
                                        ; implicit-def: $vgpr62
	v_cmpx_ne_u64_e32 0, v[0:1]
	s_xor_b32 s11, exec_lo, s11
; %bb.6275:                             ;   in Loop: Header=BB6_5693 Depth=2
	v_lshrrev_b32_e32 v0, 24, v2
                                        ; implicit-def: $vgpr2
	s_delay_alu instid0(VALU_DEP_1)
	v_or_b32_e32 v62, 0x7f, v0
; %bb.6276:                             ;   in Loop: Header=BB6_5693 Depth=2
	s_and_not1_saveexec_b32 s11, s11
; %bb.6277:                             ;   in Loop: Header=BB6_5693 Depth=2
	v_cmp_lt_i32_e32 vcc_lo, -1, v2
	v_cndmask_b32_e64 v62, -4, 0x7c, vcc_lo
; %bb.6278:                             ;   in Loop: Header=BB6_5693 Depth=2
	s_or_b32 exec_lo, exec_lo, s11
.LBB6_6279:                             ;   in Loop: Header=BB6_5693 Depth=2
	s_delay_alu instid0(SALU_CYCLE_1)
	s_or_b32 exec_lo, exec_lo, s10
	flat_load_i8 v2, v[10:11] offset:544 th:TH_LOAD_NT
	v_mov_b32_e32 v3, 0
	s_mov_b32 s10, exec_lo
	s_wait_loadcnt_dscnt 0x0
	v_cmpx_ne_u16_e32 0, v2
	s_cbranch_execz .LBB6_6289
; %bb.6280:                             ;   in Loop: Header=BB6_5693 Depth=2
	v_bfrev_b32_e32 v3, 1
	s_mov_b32 s11, exec_lo
	v_cmpx_ne_u16_e32 0xff80, v2
	s_cbranch_execz .LBB6_6288
; %bb.6281:                             ;   in Loop: Header=BB6_5693 Depth=2
	v_and_b32_e32 v3, 0x7c, v2
	v_and_b32_e32 v0, 3, v2
	s_delay_alu instid0(VALU_DEP_2) | instskip(SKIP_1) | instid1(SALU_CYCLE_1)
	v_cmp_ne_u32_e32 vcc_lo, 0x7c, v3
                                        ; implicit-def: $vgpr3
	s_and_saveexec_b32 s29, vcc_lo
	s_xor_b32 s29, exec_lo, s29
	s_cbranch_execz .LBB6_6285
; %bb.6282:                             ;   in Loop: Header=BB6_5693 Depth=2
	v_and_b32_e32 v3, 0xff, v2
	s_mov_b32 s40, exec_lo
	s_delay_alu instid0(VALU_DEP_1) | instskip(NEXT) | instid1(VALU_DEP_1)
	v_bfe_u32 v3, v3, 2, 5
	v_cmpx_eq_u32_e32 0, v3
	s_cbranch_execz .LBB6_6284
; %bb.6283:                             ;   in Loop: Header=BB6_5693 Depth=2
	v_clz_i32_u32_e32 v0, v0
	v_mov_b32_e32 v3, v1
	s_delay_alu instid0(VALU_DEP_2) | instskip(NEXT) | instid1(VALU_DEP_1)
	v_min_u32_e32 v0, 32, v0
	v_subrev_nc_u32_e32 v4, 29, v0
	s_delay_alu instid0(VALU_DEP_1) | instskip(SKIP_1) | instid1(VALU_DEP_2)
	v_lshlrev_b64_e32 v[4:5], v4, v[2:3]
	v_sub_nc_u32_e32 v3, 30, v0
	v_and_b32_e32 v0, 3, v4
.LBB6_6284:                             ;   in Loop: Header=BB6_5693 Depth=2
	s_or_b32 exec_lo, exec_lo, s40
	v_bfe_i32 v2, v2, 0, 16
	s_delay_alu instid0(VALU_DEP_1) | instskip(NEXT) | instid1(VALU_DEP_1)
	v_and_b32_e32 v2, 0x80000000, v2
	v_lshl_add_u32 v2, v3, 23, v2
	s_delay_alu instid0(VALU_DEP_1) | instskip(NEXT) | instid1(VALU_DEP_1)
	v_lshl_or_b32 v0, v0, 21, v2
                                        ; implicit-def: $vgpr2
	v_add_nc_u32_e32 v3, 0x38000000, v0
                                        ; implicit-def: $vgpr0
.LBB6_6285:                             ;   in Loop: Header=BB6_5693 Depth=2
	s_and_not1_saveexec_b32 s29, s29
; %bb.6286:                             ;   in Loop: Header=BB6_5693 Depth=2
	v_cmp_lt_i16_e32 vcc_lo, -1, v2
	v_mov_b32_e32 v2, 0x7f800000
	s_delay_alu instid0(VALU_DEP_1) | instskip(SKIP_1) | instid1(VALU_DEP_2)
	v_cndmask_b32_e32 v2, 0xff800000, v2, vcc_lo
	v_cmp_eq_u32_e32 vcc_lo, 0, v0
	v_cndmask_b32_e32 v3, 0x7f800001, v2, vcc_lo
; %bb.6287:                             ;   in Loop: Header=BB6_5693 Depth=2
	s_or_b32 exec_lo, exec_lo, s29
.LBB6_6288:                             ;   in Loop: Header=BB6_5693 Depth=2
	s_delay_alu instid0(SALU_CYCLE_1)
	s_or_b32 exec_lo, exec_lo, s11
.LBB6_6289:                             ;   in Loop: Header=BB6_5693 Depth=2
	s_delay_alu instid0(SALU_CYCLE_1) | instskip(NEXT) | instid1(VALU_DEP_1)
	s_or_b32 exec_lo, exec_lo, s10
	v_dual_mul_f32 v2, s28, v3 :: v_dual_mov_b32 v5, v1
                                        ; implicit-def: $vgpr58
	s_mov_b32 s10, exec_lo
	s_delay_alu instid0(VALU_DEP_1) | instskip(SKIP_1) | instid1(VALU_DEP_2)
	v_and_b32_e32 v4, 0x7f800000, v2
	v_and_b32_e32 v0, 0x7fffff, v2
	v_cmpx_ne_u64_e32 0x7f800000, v[4:5]
	s_xor_b32 s11, exec_lo, s10
	s_cbranch_execz .LBB6_6307
; %bb.6290:                             ;   in Loop: Header=BB6_5693 Depth=2
	v_dual_mov_b32 v5, v1 :: v_dual_lshrrev_b32 v3, 24, v2
	v_and_b32_e32 v4, 0x7fffffff, v2
                                        ; implicit-def: $vgpr58
	s_mov_b32 s10, exec_lo
	s_delay_alu instid0(VALU_DEP_2) | instskip(NEXT) | instid1(VALU_DEP_2)
	v_and_b32_e32 v6, 0x80, v3
	v_cmpx_gt_u64_e32 0x47600001, v[4:5]
	s_xor_b32 s29, exec_lo, s10
	s_cbranch_execz .LBB6_6304
; %bb.6291:                             ;   in Loop: Header=BB6_5693 Depth=2
	v_mov_b32_e32 v58, 0
	s_mov_b32 s40, exec_lo
	v_cmpx_ne_u32_e32 0, v2
	s_cbranch_execz .LBB6_6303
; %bb.6292:                             ;   in Loop: Header=BB6_5693 Depth=2
	v_bfe_u32 v7, v2, 23, 8
	v_or_b32_e32 v4, 0x800000, v0
	s_mov_b32 s41, exec_lo
	s_delay_alu instid0(VALU_DEP_2) | instskip(SKIP_1) | instid1(VALU_DEP_2)
	v_dual_mov_b32 v5, v1 :: v_dual_sub_nc_u32 v2, 0x71, v7
	v_cmp_gt_u32_e32 vcc_lo, 0x72, v7
	v_cndmask_b32_e32 v2, 0, v2, vcc_lo
	v_cmp_eq_u32_e32 vcc_lo, 0, v7
	s_delay_alu instid0(VALU_DEP_2) | instskip(SKIP_1) | instid1(VALU_DEP_2)
	v_cndmask_b32_e64 v8, v2, 0x70, vcc_lo
	v_cndmask_b32_e32 v4, v4, v0, vcc_lo
	v_dual_add_nc_u32 v2, 21, v8 :: v_dual_add_nc_u32 v9, 20, v8
	s_delay_alu instid0(VALU_DEP_1) | instskip(NEXT) | instid1(VALU_DEP_2)
	v_lshlrev_b64_e64 v[2:3], v2, -1
	v_lshlrev_b64_e64 v[16:17], v9, 1
	s_delay_alu instid0(VALU_DEP_2) | instskip(NEXT) | instid1(VALU_DEP_3)
	v_bfi_b32 v19, v3, 0, 0
	v_bfi_b32 v18, v2, 0, v4
	v_lshrrev_b64 v[2:3], v8, v[4:5]
	s_delay_alu instid0(VALU_DEP_1) | instskip(NEXT) | instid1(VALU_DEP_3)
	v_mov_b64_e32 v[4:5], v[2:3]
	v_cmpx_eq_u64_e64 v[18:19], v[16:17]
; %bb.6293:                             ;   in Loop: Header=BB6_5693 Depth=2
	v_bfe_u32 v4, v2, 21, 1
	v_mov_b32_e32 v5, v1
	s_delay_alu instid0(VALU_DEP_1) | instskip(NEXT) | instid1(VALU_DEP_1)
	v_add_nc_u64_e32 v[4:5], v[2:3], v[4:5]
	v_add_nc_u64_e32 v[4:5], -1, v[4:5]
; %bb.6294:                             ;   in Loop: Header=BB6_5693 Depth=2
	s_or_b32 exec_lo, exec_lo, s41
	v_add_nc_u32_e32 v0, 0xffffff81, v7
	s_delay_alu instid0(VALU_DEP_2) | instskip(SKIP_2) | instid1(VALU_DEP_3)
	v_and_b32_e32 v4, 0x1fffff, v4
	v_lshrrev_b32_e32 v3, 23, v2
	s_mov_b32 s10, exec_lo
	v_cndmask_b32_e64 v0, v0, 0xffffff82, vcc_lo
	s_delay_alu instid0(VALU_DEP_1) | instskip(SKIP_1) | instid1(VALU_DEP_2)
	v_add3_u32 v5, v8, v0, v3
	v_add_nc_u32_e32 v0, v4, v2
                                        ; implicit-def: $vgpr2_vgpr3
                                        ; implicit-def: $vgpr4
	v_add_nc_u32_e32 v7, 14, v5
	s_delay_alu instid0(VALU_DEP_1)
	v_cmpx_ne_u32_e32 0, v7
	s_xor_b32 s10, exec_lo, s10
; %bb.6295:                             ;   in Loop: Header=BB6_5693 Depth=2
	s_delay_alu instid0(VALU_DEP_3) | instskip(SKIP_1) | instid1(VALU_DEP_1)
	v_cmp_lt_u64_e32 vcc_lo, 0xffffff, v[0:1]
	v_add_nc_u32_e32 v2, 15, v5
	v_cndmask_b32_e32 v4, v7, v2, vcc_lo
	v_cndmask_b32_e64 v2, 0, 1, vcc_lo
	s_delay_alu instid0(VALU_DEP_1)
	v_lshrrev_b64 v[2:3], v2, v[0:1]
; %bb.6296:                             ;   in Loop: Header=BB6_5693 Depth=2
	s_and_not1_saveexec_b32 s10, s10
; %bb.6297:                             ;   in Loop: Header=BB6_5693 Depth=2
	v_mov_b64_e32 v[2:3], v[0:1]
	v_bfe_u32 v4, v0, 23, 1
; %bb.6298:                             ;   in Loop: Header=BB6_5693 Depth=2
	s_or_b32 exec_lo, exec_lo, s10
	s_delay_alu instid0(VALU_DEP_2) | instskip(NEXT) | instid1(VALU_DEP_2)
	v_lshrrev_b64 v[2:3], 21, v[2:3]
	v_cmp_gt_i32_e32 vcc_lo, 32, v4
	v_cmp_ne_u32_e64 s10, 0, v4
                                        ; implicit-def: $vgpr58
	s_delay_alu instid0(VALU_DEP_3) | instskip(NEXT) | instid1(VALU_DEP_1)
	v_dual_cndmask_b32 v3, 0, v3 :: v_dual_cndmask_b32 v2, 3, v2
	v_cmp_ne_u64_e32 vcc_lo, 0, v[2:3]
	s_or_b32 s10, s10, vcc_lo
	s_delay_alu instid0(SALU_CYCLE_1) | instskip(NEXT) | instid1(SALU_CYCLE_1)
	s_and_saveexec_b32 s41, s10
	s_xor_b32 s10, exec_lo, s41
; %bb.6299:                             ;   in Loop: Header=BB6_5693 Depth=2
	v_min_i32_e32 v0, 31, v4
	s_delay_alu instid0(VALU_DEP_1) | instskip(NEXT) | instid1(VALU_DEP_1)
	v_lshl_or_b32 v0, v0, 2, v6
                                        ; implicit-def: $vgpr6
	v_and_or_b32 v58, v2, 3, v0
; %bb.6300:                             ;   in Loop: Header=BB6_5693 Depth=2
	s_and_not1_saveexec_b32 s10, s10
; %bb.6301:                             ;   in Loop: Header=BB6_5693 Depth=2
	v_mov_b32_e32 v58, v6
; %bb.6302:                             ;   in Loop: Header=BB6_5693 Depth=2
	s_or_b32 exec_lo, exec_lo, s10
.LBB6_6303:                             ;   in Loop: Header=BB6_5693 Depth=2
	s_delay_alu instid0(SALU_CYCLE_1)
	s_or_b32 exec_lo, exec_lo, s40
                                        ; implicit-def: $vgpr6
.LBB6_6304:                             ;   in Loop: Header=BB6_5693 Depth=2
	s_and_not1_saveexec_b32 s10, s29
; %bb.6305:                             ;   in Loop: Header=BB6_5693 Depth=2
	v_or_b32_e32 v58, 0x7b, v6
; %bb.6306:                             ;   in Loop: Header=BB6_5693 Depth=2
	s_or_b32 exec_lo, exec_lo, s10
                                        ; implicit-def: $vgpr2
.LBB6_6307:                             ;   in Loop: Header=BB6_5693 Depth=2
	s_and_not1_saveexec_b32 s10, s11
	s_cbranch_execz .LBB6_6313
; %bb.6308:                             ;   in Loop: Header=BB6_5693 Depth=2
	s_mov_b32 s11, exec_lo
                                        ; implicit-def: $vgpr58
	v_cmpx_ne_u64_e32 0, v[0:1]
	s_xor_b32 s11, exec_lo, s11
; %bb.6309:                             ;   in Loop: Header=BB6_5693 Depth=2
	v_lshrrev_b32_e32 v0, 24, v2
                                        ; implicit-def: $vgpr2
	s_delay_alu instid0(VALU_DEP_1)
	v_or_b32_e32 v58, 0x7f, v0
; %bb.6310:                             ;   in Loop: Header=BB6_5693 Depth=2
	s_and_not1_saveexec_b32 s11, s11
; %bb.6311:                             ;   in Loop: Header=BB6_5693 Depth=2
	v_cmp_lt_i32_e32 vcc_lo, -1, v2
	v_cndmask_b32_e64 v58, -4, 0x7c, vcc_lo
; %bb.6312:                             ;   in Loop: Header=BB6_5693 Depth=2
	s_or_b32 exec_lo, exec_lo, s11
.LBB6_6313:                             ;   in Loop: Header=BB6_5693 Depth=2
	s_delay_alu instid0(SALU_CYCLE_1)
	s_or_b32 exec_lo, exec_lo, s10
	flat_load_i8 v2, v[10:11] offset:576 th:TH_LOAD_NT
	v_mov_b32_e32 v3, 0
	s_mov_b32 s10, exec_lo
	s_wait_loadcnt_dscnt 0x0
	v_cmpx_ne_u16_e32 0, v2
	s_cbranch_execz .LBB6_6323
; %bb.6314:                             ;   in Loop: Header=BB6_5693 Depth=2
	v_bfrev_b32_e32 v3, 1
	s_mov_b32 s11, exec_lo
	v_cmpx_ne_u16_e32 0xff80, v2
	s_cbranch_execz .LBB6_6322
; %bb.6315:                             ;   in Loop: Header=BB6_5693 Depth=2
	v_and_b32_e32 v3, 0x7c, v2
	v_and_b32_e32 v0, 3, v2
	s_delay_alu instid0(VALU_DEP_2) | instskip(SKIP_1) | instid1(SALU_CYCLE_1)
	v_cmp_ne_u32_e32 vcc_lo, 0x7c, v3
                                        ; implicit-def: $vgpr3
	s_and_saveexec_b32 s29, vcc_lo
	s_xor_b32 s29, exec_lo, s29
	s_cbranch_execz .LBB6_6319
; %bb.6316:                             ;   in Loop: Header=BB6_5693 Depth=2
	v_and_b32_e32 v3, 0xff, v2
	s_mov_b32 s40, exec_lo
	s_delay_alu instid0(VALU_DEP_1) | instskip(NEXT) | instid1(VALU_DEP_1)
	v_bfe_u32 v3, v3, 2, 5
	v_cmpx_eq_u32_e32 0, v3
	s_cbranch_execz .LBB6_6318
; %bb.6317:                             ;   in Loop: Header=BB6_5693 Depth=2
	v_clz_i32_u32_e32 v0, v0
	v_mov_b32_e32 v3, v1
	s_delay_alu instid0(VALU_DEP_2) | instskip(NEXT) | instid1(VALU_DEP_1)
	v_min_u32_e32 v0, 32, v0
	v_subrev_nc_u32_e32 v4, 29, v0
	s_delay_alu instid0(VALU_DEP_1) | instskip(SKIP_1) | instid1(VALU_DEP_2)
	v_lshlrev_b64_e32 v[4:5], v4, v[2:3]
	v_sub_nc_u32_e32 v3, 30, v0
	v_and_b32_e32 v0, 3, v4
.LBB6_6318:                             ;   in Loop: Header=BB6_5693 Depth=2
	s_or_b32 exec_lo, exec_lo, s40
	v_bfe_i32 v2, v2, 0, 16
	s_delay_alu instid0(VALU_DEP_1) | instskip(NEXT) | instid1(VALU_DEP_1)
	v_and_b32_e32 v2, 0x80000000, v2
	v_lshl_add_u32 v2, v3, 23, v2
	s_delay_alu instid0(VALU_DEP_1) | instskip(NEXT) | instid1(VALU_DEP_1)
	v_lshl_or_b32 v0, v0, 21, v2
                                        ; implicit-def: $vgpr2
	v_add_nc_u32_e32 v3, 0x38000000, v0
                                        ; implicit-def: $vgpr0
.LBB6_6319:                             ;   in Loop: Header=BB6_5693 Depth=2
	s_and_not1_saveexec_b32 s29, s29
; %bb.6320:                             ;   in Loop: Header=BB6_5693 Depth=2
	v_cmp_lt_i16_e32 vcc_lo, -1, v2
	v_mov_b32_e32 v2, 0x7f800000
	s_delay_alu instid0(VALU_DEP_1) | instskip(SKIP_1) | instid1(VALU_DEP_2)
	v_cndmask_b32_e32 v2, 0xff800000, v2, vcc_lo
	v_cmp_eq_u32_e32 vcc_lo, 0, v0
	v_cndmask_b32_e32 v3, 0x7f800001, v2, vcc_lo
; %bb.6321:                             ;   in Loop: Header=BB6_5693 Depth=2
	s_or_b32 exec_lo, exec_lo, s29
.LBB6_6322:                             ;   in Loop: Header=BB6_5693 Depth=2
	s_delay_alu instid0(SALU_CYCLE_1)
	s_or_b32 exec_lo, exec_lo, s11
.LBB6_6323:                             ;   in Loop: Header=BB6_5693 Depth=2
	s_delay_alu instid0(SALU_CYCLE_1) | instskip(NEXT) | instid1(VALU_DEP_1)
	s_or_b32 exec_lo, exec_lo, s10
	v_dual_mul_f32 v2, s28, v3 :: v_dual_mov_b32 v5, v1
                                        ; implicit-def: $vgpr56
	s_mov_b32 s10, exec_lo
	s_delay_alu instid0(VALU_DEP_1) | instskip(SKIP_1) | instid1(VALU_DEP_2)
	v_and_b32_e32 v4, 0x7f800000, v2
	v_and_b32_e32 v0, 0x7fffff, v2
	v_cmpx_ne_u64_e32 0x7f800000, v[4:5]
	s_xor_b32 s11, exec_lo, s10
	s_cbranch_execz .LBB6_6341
; %bb.6324:                             ;   in Loop: Header=BB6_5693 Depth=2
	v_dual_mov_b32 v5, v1 :: v_dual_lshrrev_b32 v3, 24, v2
	v_and_b32_e32 v4, 0x7fffffff, v2
                                        ; implicit-def: $vgpr56
	s_mov_b32 s10, exec_lo
	s_delay_alu instid0(VALU_DEP_2) | instskip(NEXT) | instid1(VALU_DEP_2)
	v_and_b32_e32 v6, 0x80, v3
	v_cmpx_gt_u64_e32 0x47600001, v[4:5]
	s_xor_b32 s29, exec_lo, s10
	s_cbranch_execz .LBB6_6338
; %bb.6325:                             ;   in Loop: Header=BB6_5693 Depth=2
	v_mov_b32_e32 v56, 0
	s_mov_b32 s40, exec_lo
	v_cmpx_ne_u32_e32 0, v2
	s_cbranch_execz .LBB6_6337
; %bb.6326:                             ;   in Loop: Header=BB6_5693 Depth=2
	v_bfe_u32 v7, v2, 23, 8
	v_or_b32_e32 v4, 0x800000, v0
	s_mov_b32 s41, exec_lo
	s_delay_alu instid0(VALU_DEP_2) | instskip(SKIP_1) | instid1(VALU_DEP_2)
	v_dual_mov_b32 v5, v1 :: v_dual_sub_nc_u32 v2, 0x71, v7
	v_cmp_gt_u32_e32 vcc_lo, 0x72, v7
	v_cndmask_b32_e32 v2, 0, v2, vcc_lo
	v_cmp_eq_u32_e32 vcc_lo, 0, v7
	s_delay_alu instid0(VALU_DEP_2) | instskip(SKIP_1) | instid1(VALU_DEP_2)
	v_cndmask_b32_e64 v8, v2, 0x70, vcc_lo
	v_cndmask_b32_e32 v4, v4, v0, vcc_lo
	v_dual_add_nc_u32 v2, 21, v8 :: v_dual_add_nc_u32 v9, 20, v8
	s_delay_alu instid0(VALU_DEP_1) | instskip(NEXT) | instid1(VALU_DEP_2)
	v_lshlrev_b64_e64 v[2:3], v2, -1
	v_lshlrev_b64_e64 v[16:17], v9, 1
	s_delay_alu instid0(VALU_DEP_2) | instskip(NEXT) | instid1(VALU_DEP_3)
	v_bfi_b32 v19, v3, 0, 0
	v_bfi_b32 v18, v2, 0, v4
	v_lshrrev_b64 v[2:3], v8, v[4:5]
	s_delay_alu instid0(VALU_DEP_1) | instskip(NEXT) | instid1(VALU_DEP_3)
	v_mov_b64_e32 v[4:5], v[2:3]
	v_cmpx_eq_u64_e64 v[18:19], v[16:17]
; %bb.6327:                             ;   in Loop: Header=BB6_5693 Depth=2
	v_bfe_u32 v4, v2, 21, 1
	v_mov_b32_e32 v5, v1
	s_delay_alu instid0(VALU_DEP_1) | instskip(NEXT) | instid1(VALU_DEP_1)
	v_add_nc_u64_e32 v[4:5], v[2:3], v[4:5]
	v_add_nc_u64_e32 v[4:5], -1, v[4:5]
; %bb.6328:                             ;   in Loop: Header=BB6_5693 Depth=2
	s_or_b32 exec_lo, exec_lo, s41
	v_add_nc_u32_e32 v0, 0xffffff81, v7
	s_delay_alu instid0(VALU_DEP_2) | instskip(SKIP_2) | instid1(VALU_DEP_3)
	v_and_b32_e32 v4, 0x1fffff, v4
	v_lshrrev_b32_e32 v3, 23, v2
	s_mov_b32 s10, exec_lo
	v_cndmask_b32_e64 v0, v0, 0xffffff82, vcc_lo
	s_delay_alu instid0(VALU_DEP_1) | instskip(SKIP_1) | instid1(VALU_DEP_2)
	v_add3_u32 v5, v8, v0, v3
	v_add_nc_u32_e32 v0, v4, v2
                                        ; implicit-def: $vgpr2_vgpr3
                                        ; implicit-def: $vgpr4
	v_add_nc_u32_e32 v7, 14, v5
	s_delay_alu instid0(VALU_DEP_1)
	v_cmpx_ne_u32_e32 0, v7
	s_xor_b32 s10, exec_lo, s10
; %bb.6329:                             ;   in Loop: Header=BB6_5693 Depth=2
	s_delay_alu instid0(VALU_DEP_3) | instskip(SKIP_1) | instid1(VALU_DEP_1)
	v_cmp_lt_u64_e32 vcc_lo, 0xffffff, v[0:1]
	v_add_nc_u32_e32 v2, 15, v5
	v_cndmask_b32_e32 v4, v7, v2, vcc_lo
	v_cndmask_b32_e64 v2, 0, 1, vcc_lo
	s_delay_alu instid0(VALU_DEP_1)
	v_lshrrev_b64 v[2:3], v2, v[0:1]
; %bb.6330:                             ;   in Loop: Header=BB6_5693 Depth=2
	s_and_not1_saveexec_b32 s10, s10
; %bb.6331:                             ;   in Loop: Header=BB6_5693 Depth=2
	v_mov_b64_e32 v[2:3], v[0:1]
	v_bfe_u32 v4, v0, 23, 1
; %bb.6332:                             ;   in Loop: Header=BB6_5693 Depth=2
	s_or_b32 exec_lo, exec_lo, s10
	s_delay_alu instid0(VALU_DEP_2) | instskip(NEXT) | instid1(VALU_DEP_2)
	v_lshrrev_b64 v[2:3], 21, v[2:3]
	v_cmp_gt_i32_e32 vcc_lo, 32, v4
	v_cmp_ne_u32_e64 s10, 0, v4
                                        ; implicit-def: $vgpr56
	s_delay_alu instid0(VALU_DEP_3) | instskip(NEXT) | instid1(VALU_DEP_1)
	v_dual_cndmask_b32 v3, 0, v3 :: v_dual_cndmask_b32 v2, 3, v2
	v_cmp_ne_u64_e32 vcc_lo, 0, v[2:3]
	s_or_b32 s10, s10, vcc_lo
	s_delay_alu instid0(SALU_CYCLE_1) | instskip(NEXT) | instid1(SALU_CYCLE_1)
	s_and_saveexec_b32 s41, s10
	s_xor_b32 s10, exec_lo, s41
; %bb.6333:                             ;   in Loop: Header=BB6_5693 Depth=2
	v_min_i32_e32 v0, 31, v4
	s_delay_alu instid0(VALU_DEP_1) | instskip(NEXT) | instid1(VALU_DEP_1)
	v_lshl_or_b32 v0, v0, 2, v6
                                        ; implicit-def: $vgpr6
	v_and_or_b32 v56, v2, 3, v0
; %bb.6334:                             ;   in Loop: Header=BB6_5693 Depth=2
	s_and_not1_saveexec_b32 s10, s10
; %bb.6335:                             ;   in Loop: Header=BB6_5693 Depth=2
	v_mov_b32_e32 v56, v6
; %bb.6336:                             ;   in Loop: Header=BB6_5693 Depth=2
	s_or_b32 exec_lo, exec_lo, s10
.LBB6_6337:                             ;   in Loop: Header=BB6_5693 Depth=2
	s_delay_alu instid0(SALU_CYCLE_1)
	s_or_b32 exec_lo, exec_lo, s40
                                        ; implicit-def: $vgpr6
.LBB6_6338:                             ;   in Loop: Header=BB6_5693 Depth=2
	s_and_not1_saveexec_b32 s10, s29
; %bb.6339:                             ;   in Loop: Header=BB6_5693 Depth=2
	v_or_b32_e32 v56, 0x7b, v6
; %bb.6340:                             ;   in Loop: Header=BB6_5693 Depth=2
	s_or_b32 exec_lo, exec_lo, s10
                                        ; implicit-def: $vgpr2
.LBB6_6341:                             ;   in Loop: Header=BB6_5693 Depth=2
	s_and_not1_saveexec_b32 s10, s11
	s_cbranch_execz .LBB6_6347
; %bb.6342:                             ;   in Loop: Header=BB6_5693 Depth=2
	s_mov_b32 s11, exec_lo
                                        ; implicit-def: $vgpr56
	v_cmpx_ne_u64_e32 0, v[0:1]
	s_xor_b32 s11, exec_lo, s11
; %bb.6343:                             ;   in Loop: Header=BB6_5693 Depth=2
	v_lshrrev_b32_e32 v0, 24, v2
                                        ; implicit-def: $vgpr2
	s_delay_alu instid0(VALU_DEP_1)
	v_or_b32_e32 v56, 0x7f, v0
; %bb.6344:                             ;   in Loop: Header=BB6_5693 Depth=2
	s_and_not1_saveexec_b32 s11, s11
; %bb.6345:                             ;   in Loop: Header=BB6_5693 Depth=2
	v_cmp_lt_i32_e32 vcc_lo, -1, v2
	v_cndmask_b32_e64 v56, -4, 0x7c, vcc_lo
; %bb.6346:                             ;   in Loop: Header=BB6_5693 Depth=2
	s_or_b32 exec_lo, exec_lo, s11
.LBB6_6347:                             ;   in Loop: Header=BB6_5693 Depth=2
	s_delay_alu instid0(SALU_CYCLE_1)
	s_or_b32 exec_lo, exec_lo, s10
	flat_load_i8 v2, v[10:11] offset:608 th:TH_LOAD_NT
	v_mov_b32_e32 v3, 0
	s_mov_b32 s10, exec_lo
	s_wait_loadcnt_dscnt 0x0
	v_cmpx_ne_u16_e32 0, v2
	s_cbranch_execz .LBB6_6357
; %bb.6348:                             ;   in Loop: Header=BB6_5693 Depth=2
	v_bfrev_b32_e32 v3, 1
	s_mov_b32 s11, exec_lo
	v_cmpx_ne_u16_e32 0xff80, v2
	s_cbranch_execz .LBB6_6356
; %bb.6349:                             ;   in Loop: Header=BB6_5693 Depth=2
	v_and_b32_e32 v3, 0x7c, v2
	v_and_b32_e32 v0, 3, v2
	s_delay_alu instid0(VALU_DEP_2) | instskip(SKIP_1) | instid1(SALU_CYCLE_1)
	v_cmp_ne_u32_e32 vcc_lo, 0x7c, v3
                                        ; implicit-def: $vgpr3
	s_and_saveexec_b32 s29, vcc_lo
	s_xor_b32 s29, exec_lo, s29
	s_cbranch_execz .LBB6_6353
; %bb.6350:                             ;   in Loop: Header=BB6_5693 Depth=2
	v_and_b32_e32 v3, 0xff, v2
	s_mov_b32 s40, exec_lo
	s_delay_alu instid0(VALU_DEP_1) | instskip(NEXT) | instid1(VALU_DEP_1)
	v_bfe_u32 v3, v3, 2, 5
	v_cmpx_eq_u32_e32 0, v3
	s_cbranch_execz .LBB6_6352
; %bb.6351:                             ;   in Loop: Header=BB6_5693 Depth=2
	v_clz_i32_u32_e32 v0, v0
	v_mov_b32_e32 v3, v1
	s_delay_alu instid0(VALU_DEP_2) | instskip(NEXT) | instid1(VALU_DEP_1)
	v_min_u32_e32 v0, 32, v0
	v_subrev_nc_u32_e32 v4, 29, v0
	s_delay_alu instid0(VALU_DEP_1) | instskip(SKIP_1) | instid1(VALU_DEP_2)
	v_lshlrev_b64_e32 v[4:5], v4, v[2:3]
	v_sub_nc_u32_e32 v3, 30, v0
	v_and_b32_e32 v0, 3, v4
.LBB6_6352:                             ;   in Loop: Header=BB6_5693 Depth=2
	s_or_b32 exec_lo, exec_lo, s40
	v_bfe_i32 v2, v2, 0, 16
	s_delay_alu instid0(VALU_DEP_1) | instskip(NEXT) | instid1(VALU_DEP_1)
	v_and_b32_e32 v2, 0x80000000, v2
	v_lshl_add_u32 v2, v3, 23, v2
	s_delay_alu instid0(VALU_DEP_1) | instskip(NEXT) | instid1(VALU_DEP_1)
	v_lshl_or_b32 v0, v0, 21, v2
                                        ; implicit-def: $vgpr2
	v_add_nc_u32_e32 v3, 0x38000000, v0
                                        ; implicit-def: $vgpr0
.LBB6_6353:                             ;   in Loop: Header=BB6_5693 Depth=2
	s_and_not1_saveexec_b32 s29, s29
; %bb.6354:                             ;   in Loop: Header=BB6_5693 Depth=2
	v_cmp_lt_i16_e32 vcc_lo, -1, v2
	v_mov_b32_e32 v2, 0x7f800000
	s_delay_alu instid0(VALU_DEP_1) | instskip(SKIP_1) | instid1(VALU_DEP_2)
	v_cndmask_b32_e32 v2, 0xff800000, v2, vcc_lo
	v_cmp_eq_u32_e32 vcc_lo, 0, v0
	v_cndmask_b32_e32 v3, 0x7f800001, v2, vcc_lo
; %bb.6355:                             ;   in Loop: Header=BB6_5693 Depth=2
	s_or_b32 exec_lo, exec_lo, s29
.LBB6_6356:                             ;   in Loop: Header=BB6_5693 Depth=2
	s_delay_alu instid0(SALU_CYCLE_1)
	s_or_b32 exec_lo, exec_lo, s11
.LBB6_6357:                             ;   in Loop: Header=BB6_5693 Depth=2
	s_delay_alu instid0(SALU_CYCLE_1) | instskip(NEXT) | instid1(VALU_DEP_1)
	s_or_b32 exec_lo, exec_lo, s10
	v_dual_mul_f32 v2, s28, v3 :: v_dual_mov_b32 v5, v1
                                        ; implicit-def: $vgpr46
	s_mov_b32 s10, exec_lo
	s_delay_alu instid0(VALU_DEP_1) | instskip(SKIP_1) | instid1(VALU_DEP_2)
	v_and_b32_e32 v4, 0x7f800000, v2
	v_and_b32_e32 v0, 0x7fffff, v2
	v_cmpx_ne_u64_e32 0x7f800000, v[4:5]
	s_xor_b32 s11, exec_lo, s10
	s_cbranch_execz .LBB6_6375
; %bb.6358:                             ;   in Loop: Header=BB6_5693 Depth=2
	v_dual_mov_b32 v5, v1 :: v_dual_lshrrev_b32 v3, 24, v2
	v_and_b32_e32 v4, 0x7fffffff, v2
                                        ; implicit-def: $vgpr46
	s_mov_b32 s10, exec_lo
	s_delay_alu instid0(VALU_DEP_2) | instskip(NEXT) | instid1(VALU_DEP_2)
	v_and_b32_e32 v6, 0x80, v3
	v_cmpx_gt_u64_e32 0x47600001, v[4:5]
	s_xor_b32 s29, exec_lo, s10
	s_cbranch_execz .LBB6_6372
; %bb.6359:                             ;   in Loop: Header=BB6_5693 Depth=2
	v_mov_b32_e32 v46, 0
	s_mov_b32 s40, exec_lo
	v_cmpx_ne_u32_e32 0, v2
	s_cbranch_execz .LBB6_6371
; %bb.6360:                             ;   in Loop: Header=BB6_5693 Depth=2
	v_bfe_u32 v7, v2, 23, 8
	v_or_b32_e32 v4, 0x800000, v0
	s_mov_b32 s41, exec_lo
	s_delay_alu instid0(VALU_DEP_2) | instskip(SKIP_1) | instid1(VALU_DEP_2)
	v_dual_mov_b32 v5, v1 :: v_dual_sub_nc_u32 v2, 0x71, v7
	v_cmp_gt_u32_e32 vcc_lo, 0x72, v7
	v_cndmask_b32_e32 v2, 0, v2, vcc_lo
	v_cmp_eq_u32_e32 vcc_lo, 0, v7
	s_delay_alu instid0(VALU_DEP_2) | instskip(SKIP_1) | instid1(VALU_DEP_2)
	v_cndmask_b32_e64 v8, v2, 0x70, vcc_lo
	v_cndmask_b32_e32 v4, v4, v0, vcc_lo
	v_dual_add_nc_u32 v2, 21, v8 :: v_dual_add_nc_u32 v9, 20, v8
	s_delay_alu instid0(VALU_DEP_1) | instskip(NEXT) | instid1(VALU_DEP_2)
	v_lshlrev_b64_e64 v[2:3], v2, -1
	v_lshlrev_b64_e64 v[16:17], v9, 1
	s_delay_alu instid0(VALU_DEP_2) | instskip(NEXT) | instid1(VALU_DEP_3)
	v_bfi_b32 v19, v3, 0, 0
	v_bfi_b32 v18, v2, 0, v4
	v_lshrrev_b64 v[2:3], v8, v[4:5]
	s_delay_alu instid0(VALU_DEP_1) | instskip(NEXT) | instid1(VALU_DEP_3)
	v_mov_b64_e32 v[4:5], v[2:3]
	v_cmpx_eq_u64_e64 v[18:19], v[16:17]
; %bb.6361:                             ;   in Loop: Header=BB6_5693 Depth=2
	v_bfe_u32 v4, v2, 21, 1
	v_mov_b32_e32 v5, v1
	s_delay_alu instid0(VALU_DEP_1) | instskip(NEXT) | instid1(VALU_DEP_1)
	v_add_nc_u64_e32 v[4:5], v[2:3], v[4:5]
	v_add_nc_u64_e32 v[4:5], -1, v[4:5]
; %bb.6362:                             ;   in Loop: Header=BB6_5693 Depth=2
	s_or_b32 exec_lo, exec_lo, s41
	v_add_nc_u32_e32 v0, 0xffffff81, v7
	s_delay_alu instid0(VALU_DEP_2) | instskip(SKIP_2) | instid1(VALU_DEP_3)
	v_and_b32_e32 v4, 0x1fffff, v4
	v_lshrrev_b32_e32 v3, 23, v2
	s_mov_b32 s10, exec_lo
	v_cndmask_b32_e64 v0, v0, 0xffffff82, vcc_lo
	s_delay_alu instid0(VALU_DEP_1) | instskip(SKIP_1) | instid1(VALU_DEP_2)
	v_add3_u32 v5, v8, v0, v3
	v_add_nc_u32_e32 v0, v4, v2
                                        ; implicit-def: $vgpr2_vgpr3
                                        ; implicit-def: $vgpr4
	v_add_nc_u32_e32 v7, 14, v5
	s_delay_alu instid0(VALU_DEP_1)
	v_cmpx_ne_u32_e32 0, v7
	s_xor_b32 s10, exec_lo, s10
; %bb.6363:                             ;   in Loop: Header=BB6_5693 Depth=2
	s_delay_alu instid0(VALU_DEP_3) | instskip(SKIP_1) | instid1(VALU_DEP_1)
	v_cmp_lt_u64_e32 vcc_lo, 0xffffff, v[0:1]
	v_add_nc_u32_e32 v2, 15, v5
	v_cndmask_b32_e32 v4, v7, v2, vcc_lo
	v_cndmask_b32_e64 v2, 0, 1, vcc_lo
	s_delay_alu instid0(VALU_DEP_1)
	v_lshrrev_b64 v[2:3], v2, v[0:1]
; %bb.6364:                             ;   in Loop: Header=BB6_5693 Depth=2
	s_and_not1_saveexec_b32 s10, s10
; %bb.6365:                             ;   in Loop: Header=BB6_5693 Depth=2
	v_mov_b64_e32 v[2:3], v[0:1]
	v_bfe_u32 v4, v0, 23, 1
; %bb.6366:                             ;   in Loop: Header=BB6_5693 Depth=2
	s_or_b32 exec_lo, exec_lo, s10
	s_delay_alu instid0(VALU_DEP_2) | instskip(NEXT) | instid1(VALU_DEP_2)
	v_lshrrev_b64 v[2:3], 21, v[2:3]
	v_cmp_gt_i32_e32 vcc_lo, 32, v4
	v_cmp_ne_u32_e64 s10, 0, v4
                                        ; implicit-def: $vgpr46
	s_delay_alu instid0(VALU_DEP_3) | instskip(NEXT) | instid1(VALU_DEP_1)
	v_dual_cndmask_b32 v3, 0, v3 :: v_dual_cndmask_b32 v2, 3, v2
	v_cmp_ne_u64_e32 vcc_lo, 0, v[2:3]
	s_or_b32 s10, s10, vcc_lo
	s_delay_alu instid0(SALU_CYCLE_1) | instskip(NEXT) | instid1(SALU_CYCLE_1)
	s_and_saveexec_b32 s41, s10
	s_xor_b32 s10, exec_lo, s41
; %bb.6367:                             ;   in Loop: Header=BB6_5693 Depth=2
	v_min_i32_e32 v0, 31, v4
	s_delay_alu instid0(VALU_DEP_1) | instskip(NEXT) | instid1(VALU_DEP_1)
	v_lshl_or_b32 v0, v0, 2, v6
                                        ; implicit-def: $vgpr6
	v_and_or_b32 v46, v2, 3, v0
; %bb.6368:                             ;   in Loop: Header=BB6_5693 Depth=2
	s_and_not1_saveexec_b32 s10, s10
; %bb.6369:                             ;   in Loop: Header=BB6_5693 Depth=2
	v_mov_b32_e32 v46, v6
; %bb.6370:                             ;   in Loop: Header=BB6_5693 Depth=2
	s_or_b32 exec_lo, exec_lo, s10
.LBB6_6371:                             ;   in Loop: Header=BB6_5693 Depth=2
	s_delay_alu instid0(SALU_CYCLE_1)
	s_or_b32 exec_lo, exec_lo, s40
                                        ; implicit-def: $vgpr6
.LBB6_6372:                             ;   in Loop: Header=BB6_5693 Depth=2
	s_and_not1_saveexec_b32 s10, s29
; %bb.6373:                             ;   in Loop: Header=BB6_5693 Depth=2
	v_or_b32_e32 v46, 0x7b, v6
; %bb.6374:                             ;   in Loop: Header=BB6_5693 Depth=2
	s_or_b32 exec_lo, exec_lo, s10
                                        ; implicit-def: $vgpr2
.LBB6_6375:                             ;   in Loop: Header=BB6_5693 Depth=2
	s_and_not1_saveexec_b32 s10, s11
	s_cbranch_execz .LBB6_6381
; %bb.6376:                             ;   in Loop: Header=BB6_5693 Depth=2
	s_mov_b32 s11, exec_lo
                                        ; implicit-def: $vgpr46
	v_cmpx_ne_u64_e32 0, v[0:1]
	s_xor_b32 s11, exec_lo, s11
; %bb.6377:                             ;   in Loop: Header=BB6_5693 Depth=2
	v_lshrrev_b32_e32 v0, 24, v2
                                        ; implicit-def: $vgpr2
	s_delay_alu instid0(VALU_DEP_1)
	v_or_b32_e32 v46, 0x7f, v0
; %bb.6378:                             ;   in Loop: Header=BB6_5693 Depth=2
	s_and_not1_saveexec_b32 s11, s11
; %bb.6379:                             ;   in Loop: Header=BB6_5693 Depth=2
	v_cmp_lt_i32_e32 vcc_lo, -1, v2
	v_cndmask_b32_e64 v46, -4, 0x7c, vcc_lo
; %bb.6380:                             ;   in Loop: Header=BB6_5693 Depth=2
	s_or_b32 exec_lo, exec_lo, s11
.LBB6_6381:                             ;   in Loop: Header=BB6_5693 Depth=2
	s_delay_alu instid0(SALU_CYCLE_1)
	s_or_b32 exec_lo, exec_lo, s10
	flat_load_i8 v2, v[10:11] offset:640 th:TH_LOAD_NT
	v_mov_b32_e32 v3, 0
	s_mov_b32 s10, exec_lo
	s_wait_loadcnt_dscnt 0x0
	v_cmpx_ne_u16_e32 0, v2
	s_cbranch_execz .LBB6_6391
; %bb.6382:                             ;   in Loop: Header=BB6_5693 Depth=2
	v_bfrev_b32_e32 v3, 1
	s_mov_b32 s11, exec_lo
	v_cmpx_ne_u16_e32 0xff80, v2
	s_cbranch_execz .LBB6_6390
; %bb.6383:                             ;   in Loop: Header=BB6_5693 Depth=2
	v_and_b32_e32 v3, 0x7c, v2
	v_and_b32_e32 v0, 3, v2
	s_delay_alu instid0(VALU_DEP_2) | instskip(SKIP_1) | instid1(SALU_CYCLE_1)
	v_cmp_ne_u32_e32 vcc_lo, 0x7c, v3
                                        ; implicit-def: $vgpr3
	s_and_saveexec_b32 s29, vcc_lo
	s_xor_b32 s29, exec_lo, s29
	s_cbranch_execz .LBB6_6387
; %bb.6384:                             ;   in Loop: Header=BB6_5693 Depth=2
	v_and_b32_e32 v3, 0xff, v2
	s_mov_b32 s40, exec_lo
	s_delay_alu instid0(VALU_DEP_1) | instskip(NEXT) | instid1(VALU_DEP_1)
	v_bfe_u32 v3, v3, 2, 5
	v_cmpx_eq_u32_e32 0, v3
	s_cbranch_execz .LBB6_6386
; %bb.6385:                             ;   in Loop: Header=BB6_5693 Depth=2
	v_clz_i32_u32_e32 v0, v0
	v_mov_b32_e32 v3, v1
	s_delay_alu instid0(VALU_DEP_2) | instskip(NEXT) | instid1(VALU_DEP_1)
	v_min_u32_e32 v0, 32, v0
	v_subrev_nc_u32_e32 v4, 29, v0
	s_delay_alu instid0(VALU_DEP_1) | instskip(SKIP_1) | instid1(VALU_DEP_2)
	v_lshlrev_b64_e32 v[4:5], v4, v[2:3]
	v_sub_nc_u32_e32 v3, 30, v0
	v_and_b32_e32 v0, 3, v4
.LBB6_6386:                             ;   in Loop: Header=BB6_5693 Depth=2
	s_or_b32 exec_lo, exec_lo, s40
	v_bfe_i32 v2, v2, 0, 16
	s_delay_alu instid0(VALU_DEP_1) | instskip(NEXT) | instid1(VALU_DEP_1)
	v_and_b32_e32 v2, 0x80000000, v2
	v_lshl_add_u32 v2, v3, 23, v2
	s_delay_alu instid0(VALU_DEP_1) | instskip(NEXT) | instid1(VALU_DEP_1)
	v_lshl_or_b32 v0, v0, 21, v2
                                        ; implicit-def: $vgpr2
	v_add_nc_u32_e32 v3, 0x38000000, v0
                                        ; implicit-def: $vgpr0
.LBB6_6387:                             ;   in Loop: Header=BB6_5693 Depth=2
	s_and_not1_saveexec_b32 s29, s29
; %bb.6388:                             ;   in Loop: Header=BB6_5693 Depth=2
	v_cmp_lt_i16_e32 vcc_lo, -1, v2
	v_mov_b32_e32 v2, 0x7f800000
	s_delay_alu instid0(VALU_DEP_1) | instskip(SKIP_1) | instid1(VALU_DEP_2)
	v_cndmask_b32_e32 v2, 0xff800000, v2, vcc_lo
	v_cmp_eq_u32_e32 vcc_lo, 0, v0
	v_cndmask_b32_e32 v3, 0x7f800001, v2, vcc_lo
; %bb.6389:                             ;   in Loop: Header=BB6_5693 Depth=2
	s_or_b32 exec_lo, exec_lo, s29
.LBB6_6390:                             ;   in Loop: Header=BB6_5693 Depth=2
	s_delay_alu instid0(SALU_CYCLE_1)
	s_or_b32 exec_lo, exec_lo, s11
.LBB6_6391:                             ;   in Loop: Header=BB6_5693 Depth=2
	s_delay_alu instid0(SALU_CYCLE_1) | instskip(NEXT) | instid1(VALU_DEP_1)
	s_or_b32 exec_lo, exec_lo, s10
	v_dual_mul_f32 v2, s28, v3 :: v_dual_mov_b32 v5, v1
                                        ; implicit-def: $vgpr44
	s_mov_b32 s10, exec_lo
	s_delay_alu instid0(VALU_DEP_1) | instskip(SKIP_1) | instid1(VALU_DEP_2)
	v_and_b32_e32 v4, 0x7f800000, v2
	v_and_b32_e32 v0, 0x7fffff, v2
	v_cmpx_ne_u64_e32 0x7f800000, v[4:5]
	s_xor_b32 s11, exec_lo, s10
	s_cbranch_execz .LBB6_6409
; %bb.6392:                             ;   in Loop: Header=BB6_5693 Depth=2
	v_dual_mov_b32 v5, v1 :: v_dual_lshrrev_b32 v3, 24, v2
	v_and_b32_e32 v4, 0x7fffffff, v2
                                        ; implicit-def: $vgpr44
	s_mov_b32 s10, exec_lo
	s_delay_alu instid0(VALU_DEP_2) | instskip(NEXT) | instid1(VALU_DEP_2)
	v_and_b32_e32 v6, 0x80, v3
	v_cmpx_gt_u64_e32 0x47600001, v[4:5]
	s_xor_b32 s29, exec_lo, s10
	s_cbranch_execz .LBB6_6406
; %bb.6393:                             ;   in Loop: Header=BB6_5693 Depth=2
	v_mov_b32_e32 v44, 0
	s_mov_b32 s40, exec_lo
	v_cmpx_ne_u32_e32 0, v2
	s_cbranch_execz .LBB6_6405
; %bb.6394:                             ;   in Loop: Header=BB6_5693 Depth=2
	v_bfe_u32 v7, v2, 23, 8
	v_or_b32_e32 v4, 0x800000, v0
	s_mov_b32 s41, exec_lo
	s_delay_alu instid0(VALU_DEP_2) | instskip(SKIP_1) | instid1(VALU_DEP_2)
	v_dual_mov_b32 v5, v1 :: v_dual_sub_nc_u32 v2, 0x71, v7
	v_cmp_gt_u32_e32 vcc_lo, 0x72, v7
	v_cndmask_b32_e32 v2, 0, v2, vcc_lo
	v_cmp_eq_u32_e32 vcc_lo, 0, v7
	s_delay_alu instid0(VALU_DEP_2) | instskip(SKIP_1) | instid1(VALU_DEP_2)
	v_cndmask_b32_e64 v8, v2, 0x70, vcc_lo
	v_cndmask_b32_e32 v4, v4, v0, vcc_lo
	v_dual_add_nc_u32 v2, 21, v8 :: v_dual_add_nc_u32 v9, 20, v8
	s_delay_alu instid0(VALU_DEP_1) | instskip(NEXT) | instid1(VALU_DEP_2)
	v_lshlrev_b64_e64 v[2:3], v2, -1
	v_lshlrev_b64_e64 v[16:17], v9, 1
	s_delay_alu instid0(VALU_DEP_2) | instskip(NEXT) | instid1(VALU_DEP_3)
	v_bfi_b32 v19, v3, 0, 0
	v_bfi_b32 v18, v2, 0, v4
	v_lshrrev_b64 v[2:3], v8, v[4:5]
	s_delay_alu instid0(VALU_DEP_1) | instskip(NEXT) | instid1(VALU_DEP_3)
	v_mov_b64_e32 v[4:5], v[2:3]
	v_cmpx_eq_u64_e64 v[18:19], v[16:17]
; %bb.6395:                             ;   in Loop: Header=BB6_5693 Depth=2
	v_bfe_u32 v4, v2, 21, 1
	v_mov_b32_e32 v5, v1
	s_delay_alu instid0(VALU_DEP_1) | instskip(NEXT) | instid1(VALU_DEP_1)
	v_add_nc_u64_e32 v[4:5], v[2:3], v[4:5]
	v_add_nc_u64_e32 v[4:5], -1, v[4:5]
; %bb.6396:                             ;   in Loop: Header=BB6_5693 Depth=2
	s_or_b32 exec_lo, exec_lo, s41
	v_add_nc_u32_e32 v0, 0xffffff81, v7
	s_delay_alu instid0(VALU_DEP_2) | instskip(SKIP_2) | instid1(VALU_DEP_3)
	v_and_b32_e32 v4, 0x1fffff, v4
	v_lshrrev_b32_e32 v3, 23, v2
	s_mov_b32 s10, exec_lo
	v_cndmask_b32_e64 v0, v0, 0xffffff82, vcc_lo
	s_delay_alu instid0(VALU_DEP_1) | instskip(SKIP_1) | instid1(VALU_DEP_2)
	v_add3_u32 v5, v8, v0, v3
	v_add_nc_u32_e32 v0, v4, v2
                                        ; implicit-def: $vgpr2_vgpr3
                                        ; implicit-def: $vgpr4
	v_add_nc_u32_e32 v7, 14, v5
	s_delay_alu instid0(VALU_DEP_1)
	v_cmpx_ne_u32_e32 0, v7
	s_xor_b32 s10, exec_lo, s10
; %bb.6397:                             ;   in Loop: Header=BB6_5693 Depth=2
	s_delay_alu instid0(VALU_DEP_3) | instskip(SKIP_1) | instid1(VALU_DEP_1)
	v_cmp_lt_u64_e32 vcc_lo, 0xffffff, v[0:1]
	v_add_nc_u32_e32 v2, 15, v5
	v_cndmask_b32_e32 v4, v7, v2, vcc_lo
	v_cndmask_b32_e64 v2, 0, 1, vcc_lo
	s_delay_alu instid0(VALU_DEP_1)
	v_lshrrev_b64 v[2:3], v2, v[0:1]
; %bb.6398:                             ;   in Loop: Header=BB6_5693 Depth=2
	s_and_not1_saveexec_b32 s10, s10
; %bb.6399:                             ;   in Loop: Header=BB6_5693 Depth=2
	v_mov_b64_e32 v[2:3], v[0:1]
	v_bfe_u32 v4, v0, 23, 1
; %bb.6400:                             ;   in Loop: Header=BB6_5693 Depth=2
	s_or_b32 exec_lo, exec_lo, s10
	s_delay_alu instid0(VALU_DEP_2) | instskip(NEXT) | instid1(VALU_DEP_2)
	v_lshrrev_b64 v[2:3], 21, v[2:3]
	v_cmp_gt_i32_e32 vcc_lo, 32, v4
	v_cmp_ne_u32_e64 s10, 0, v4
                                        ; implicit-def: $vgpr44
	s_delay_alu instid0(VALU_DEP_3) | instskip(NEXT) | instid1(VALU_DEP_1)
	v_dual_cndmask_b32 v3, 0, v3 :: v_dual_cndmask_b32 v2, 3, v2
	v_cmp_ne_u64_e32 vcc_lo, 0, v[2:3]
	s_or_b32 s10, s10, vcc_lo
	s_delay_alu instid0(SALU_CYCLE_1) | instskip(NEXT) | instid1(SALU_CYCLE_1)
	s_and_saveexec_b32 s41, s10
	s_xor_b32 s10, exec_lo, s41
; %bb.6401:                             ;   in Loop: Header=BB6_5693 Depth=2
	v_min_i32_e32 v0, 31, v4
	s_delay_alu instid0(VALU_DEP_1) | instskip(NEXT) | instid1(VALU_DEP_1)
	v_lshl_or_b32 v0, v0, 2, v6
                                        ; implicit-def: $vgpr6
	v_and_or_b32 v44, v2, 3, v0
; %bb.6402:                             ;   in Loop: Header=BB6_5693 Depth=2
	s_and_not1_saveexec_b32 s10, s10
; %bb.6403:                             ;   in Loop: Header=BB6_5693 Depth=2
	v_mov_b32_e32 v44, v6
; %bb.6404:                             ;   in Loop: Header=BB6_5693 Depth=2
	s_or_b32 exec_lo, exec_lo, s10
.LBB6_6405:                             ;   in Loop: Header=BB6_5693 Depth=2
	s_delay_alu instid0(SALU_CYCLE_1)
	s_or_b32 exec_lo, exec_lo, s40
                                        ; implicit-def: $vgpr6
.LBB6_6406:                             ;   in Loop: Header=BB6_5693 Depth=2
	s_and_not1_saveexec_b32 s10, s29
; %bb.6407:                             ;   in Loop: Header=BB6_5693 Depth=2
	v_or_b32_e32 v44, 0x7b, v6
; %bb.6408:                             ;   in Loop: Header=BB6_5693 Depth=2
	s_or_b32 exec_lo, exec_lo, s10
                                        ; implicit-def: $vgpr2
.LBB6_6409:                             ;   in Loop: Header=BB6_5693 Depth=2
	s_and_not1_saveexec_b32 s10, s11
	s_cbranch_execz .LBB6_6415
; %bb.6410:                             ;   in Loop: Header=BB6_5693 Depth=2
	s_mov_b32 s11, exec_lo
                                        ; implicit-def: $vgpr44
	v_cmpx_ne_u64_e32 0, v[0:1]
	s_xor_b32 s11, exec_lo, s11
; %bb.6411:                             ;   in Loop: Header=BB6_5693 Depth=2
	v_lshrrev_b32_e32 v0, 24, v2
                                        ; implicit-def: $vgpr2
	s_delay_alu instid0(VALU_DEP_1)
	v_or_b32_e32 v44, 0x7f, v0
; %bb.6412:                             ;   in Loop: Header=BB6_5693 Depth=2
	s_and_not1_saveexec_b32 s11, s11
; %bb.6413:                             ;   in Loop: Header=BB6_5693 Depth=2
	v_cmp_lt_i32_e32 vcc_lo, -1, v2
	v_cndmask_b32_e64 v44, -4, 0x7c, vcc_lo
; %bb.6414:                             ;   in Loop: Header=BB6_5693 Depth=2
	s_or_b32 exec_lo, exec_lo, s11
.LBB6_6415:                             ;   in Loop: Header=BB6_5693 Depth=2
	s_delay_alu instid0(SALU_CYCLE_1)
	s_or_b32 exec_lo, exec_lo, s10
	flat_load_i8 v2, v[10:11] offset:672 th:TH_LOAD_NT
	v_mov_b32_e32 v3, 0
	s_mov_b32 s10, exec_lo
	s_wait_loadcnt_dscnt 0x0
	v_cmpx_ne_u16_e32 0, v2
	s_cbranch_execz .LBB6_6425
; %bb.6416:                             ;   in Loop: Header=BB6_5693 Depth=2
	v_bfrev_b32_e32 v3, 1
	s_mov_b32 s11, exec_lo
	v_cmpx_ne_u16_e32 0xff80, v2
	s_cbranch_execz .LBB6_6424
; %bb.6417:                             ;   in Loop: Header=BB6_5693 Depth=2
	v_and_b32_e32 v3, 0x7c, v2
	v_and_b32_e32 v0, 3, v2
	s_delay_alu instid0(VALU_DEP_2) | instskip(SKIP_1) | instid1(SALU_CYCLE_1)
	v_cmp_ne_u32_e32 vcc_lo, 0x7c, v3
                                        ; implicit-def: $vgpr3
	s_and_saveexec_b32 s29, vcc_lo
	s_xor_b32 s29, exec_lo, s29
	s_cbranch_execz .LBB6_6421
; %bb.6418:                             ;   in Loop: Header=BB6_5693 Depth=2
	v_and_b32_e32 v3, 0xff, v2
	s_mov_b32 s40, exec_lo
	s_delay_alu instid0(VALU_DEP_1) | instskip(NEXT) | instid1(VALU_DEP_1)
	v_bfe_u32 v3, v3, 2, 5
	v_cmpx_eq_u32_e32 0, v3
	s_cbranch_execz .LBB6_6420
; %bb.6419:                             ;   in Loop: Header=BB6_5693 Depth=2
	v_clz_i32_u32_e32 v0, v0
	v_mov_b32_e32 v3, v1
	s_delay_alu instid0(VALU_DEP_2) | instskip(NEXT) | instid1(VALU_DEP_1)
	v_min_u32_e32 v0, 32, v0
	v_subrev_nc_u32_e32 v4, 29, v0
	s_delay_alu instid0(VALU_DEP_1) | instskip(SKIP_1) | instid1(VALU_DEP_2)
	v_lshlrev_b64_e32 v[4:5], v4, v[2:3]
	v_sub_nc_u32_e32 v3, 30, v0
	v_and_b32_e32 v0, 3, v4
.LBB6_6420:                             ;   in Loop: Header=BB6_5693 Depth=2
	s_or_b32 exec_lo, exec_lo, s40
	v_bfe_i32 v2, v2, 0, 16
	s_delay_alu instid0(VALU_DEP_1) | instskip(NEXT) | instid1(VALU_DEP_1)
	v_and_b32_e32 v2, 0x80000000, v2
	v_lshl_add_u32 v2, v3, 23, v2
	s_delay_alu instid0(VALU_DEP_1) | instskip(NEXT) | instid1(VALU_DEP_1)
	v_lshl_or_b32 v0, v0, 21, v2
                                        ; implicit-def: $vgpr2
	v_add_nc_u32_e32 v3, 0x38000000, v0
                                        ; implicit-def: $vgpr0
.LBB6_6421:                             ;   in Loop: Header=BB6_5693 Depth=2
	s_and_not1_saveexec_b32 s29, s29
; %bb.6422:                             ;   in Loop: Header=BB6_5693 Depth=2
	v_cmp_lt_i16_e32 vcc_lo, -1, v2
	v_mov_b32_e32 v2, 0x7f800000
	s_delay_alu instid0(VALU_DEP_1) | instskip(SKIP_1) | instid1(VALU_DEP_2)
	v_cndmask_b32_e32 v2, 0xff800000, v2, vcc_lo
	v_cmp_eq_u32_e32 vcc_lo, 0, v0
	v_cndmask_b32_e32 v3, 0x7f800001, v2, vcc_lo
; %bb.6423:                             ;   in Loop: Header=BB6_5693 Depth=2
	s_or_b32 exec_lo, exec_lo, s29
.LBB6_6424:                             ;   in Loop: Header=BB6_5693 Depth=2
	s_delay_alu instid0(SALU_CYCLE_1)
	s_or_b32 exec_lo, exec_lo, s11
.LBB6_6425:                             ;   in Loop: Header=BB6_5693 Depth=2
	s_delay_alu instid0(SALU_CYCLE_1) | instskip(NEXT) | instid1(VALU_DEP_1)
	s_or_b32 exec_lo, exec_lo, s10
	v_dual_mul_f32 v2, s28, v3 :: v_dual_mov_b32 v5, v1
                                        ; implicit-def: $vgpr42
	s_mov_b32 s10, exec_lo
	s_delay_alu instid0(VALU_DEP_1) | instskip(SKIP_1) | instid1(VALU_DEP_2)
	v_and_b32_e32 v4, 0x7f800000, v2
	v_and_b32_e32 v0, 0x7fffff, v2
	v_cmpx_ne_u64_e32 0x7f800000, v[4:5]
	s_xor_b32 s11, exec_lo, s10
	s_cbranch_execz .LBB6_6443
; %bb.6426:                             ;   in Loop: Header=BB6_5693 Depth=2
	v_dual_mov_b32 v5, v1 :: v_dual_lshrrev_b32 v3, 24, v2
	v_and_b32_e32 v4, 0x7fffffff, v2
                                        ; implicit-def: $vgpr42
	s_mov_b32 s10, exec_lo
	s_delay_alu instid0(VALU_DEP_2) | instskip(NEXT) | instid1(VALU_DEP_2)
	v_and_b32_e32 v6, 0x80, v3
	v_cmpx_gt_u64_e32 0x47600001, v[4:5]
	s_xor_b32 s29, exec_lo, s10
	s_cbranch_execz .LBB6_6440
; %bb.6427:                             ;   in Loop: Header=BB6_5693 Depth=2
	v_mov_b32_e32 v42, 0
	s_mov_b32 s40, exec_lo
	v_cmpx_ne_u32_e32 0, v2
	s_cbranch_execz .LBB6_6439
; %bb.6428:                             ;   in Loop: Header=BB6_5693 Depth=2
	v_bfe_u32 v7, v2, 23, 8
	v_or_b32_e32 v4, 0x800000, v0
	s_mov_b32 s41, exec_lo
	s_delay_alu instid0(VALU_DEP_2) | instskip(SKIP_1) | instid1(VALU_DEP_2)
	v_dual_mov_b32 v5, v1 :: v_dual_sub_nc_u32 v2, 0x71, v7
	v_cmp_gt_u32_e32 vcc_lo, 0x72, v7
	v_cndmask_b32_e32 v2, 0, v2, vcc_lo
	v_cmp_eq_u32_e32 vcc_lo, 0, v7
	s_delay_alu instid0(VALU_DEP_2) | instskip(SKIP_1) | instid1(VALU_DEP_2)
	v_cndmask_b32_e64 v8, v2, 0x70, vcc_lo
	v_cndmask_b32_e32 v4, v4, v0, vcc_lo
	v_dual_add_nc_u32 v2, 21, v8 :: v_dual_add_nc_u32 v9, 20, v8
	s_delay_alu instid0(VALU_DEP_1) | instskip(NEXT) | instid1(VALU_DEP_2)
	v_lshlrev_b64_e64 v[2:3], v2, -1
	v_lshlrev_b64_e64 v[16:17], v9, 1
	s_delay_alu instid0(VALU_DEP_2) | instskip(NEXT) | instid1(VALU_DEP_3)
	v_bfi_b32 v19, v3, 0, 0
	v_bfi_b32 v18, v2, 0, v4
	v_lshrrev_b64 v[2:3], v8, v[4:5]
	s_delay_alu instid0(VALU_DEP_1) | instskip(NEXT) | instid1(VALU_DEP_3)
	v_mov_b64_e32 v[4:5], v[2:3]
	v_cmpx_eq_u64_e64 v[18:19], v[16:17]
; %bb.6429:                             ;   in Loop: Header=BB6_5693 Depth=2
	v_bfe_u32 v4, v2, 21, 1
	v_mov_b32_e32 v5, v1
	s_delay_alu instid0(VALU_DEP_1) | instskip(NEXT) | instid1(VALU_DEP_1)
	v_add_nc_u64_e32 v[4:5], v[2:3], v[4:5]
	v_add_nc_u64_e32 v[4:5], -1, v[4:5]
; %bb.6430:                             ;   in Loop: Header=BB6_5693 Depth=2
	s_or_b32 exec_lo, exec_lo, s41
	v_add_nc_u32_e32 v0, 0xffffff81, v7
	s_delay_alu instid0(VALU_DEP_2) | instskip(SKIP_2) | instid1(VALU_DEP_3)
	v_and_b32_e32 v4, 0x1fffff, v4
	v_lshrrev_b32_e32 v3, 23, v2
	s_mov_b32 s10, exec_lo
	v_cndmask_b32_e64 v0, v0, 0xffffff82, vcc_lo
	s_delay_alu instid0(VALU_DEP_1) | instskip(SKIP_1) | instid1(VALU_DEP_2)
	v_add3_u32 v5, v8, v0, v3
	v_add_nc_u32_e32 v0, v4, v2
                                        ; implicit-def: $vgpr2_vgpr3
                                        ; implicit-def: $vgpr4
	v_add_nc_u32_e32 v7, 14, v5
	s_delay_alu instid0(VALU_DEP_1)
	v_cmpx_ne_u32_e32 0, v7
	s_xor_b32 s10, exec_lo, s10
; %bb.6431:                             ;   in Loop: Header=BB6_5693 Depth=2
	s_delay_alu instid0(VALU_DEP_3) | instskip(SKIP_1) | instid1(VALU_DEP_1)
	v_cmp_lt_u64_e32 vcc_lo, 0xffffff, v[0:1]
	v_add_nc_u32_e32 v2, 15, v5
	v_cndmask_b32_e32 v4, v7, v2, vcc_lo
	v_cndmask_b32_e64 v2, 0, 1, vcc_lo
	s_delay_alu instid0(VALU_DEP_1)
	v_lshrrev_b64 v[2:3], v2, v[0:1]
; %bb.6432:                             ;   in Loop: Header=BB6_5693 Depth=2
	s_and_not1_saveexec_b32 s10, s10
; %bb.6433:                             ;   in Loop: Header=BB6_5693 Depth=2
	v_mov_b64_e32 v[2:3], v[0:1]
	v_bfe_u32 v4, v0, 23, 1
; %bb.6434:                             ;   in Loop: Header=BB6_5693 Depth=2
	s_or_b32 exec_lo, exec_lo, s10
	s_delay_alu instid0(VALU_DEP_2) | instskip(NEXT) | instid1(VALU_DEP_2)
	v_lshrrev_b64 v[2:3], 21, v[2:3]
	v_cmp_gt_i32_e32 vcc_lo, 32, v4
	v_cmp_ne_u32_e64 s10, 0, v4
                                        ; implicit-def: $vgpr42
	s_delay_alu instid0(VALU_DEP_3) | instskip(NEXT) | instid1(VALU_DEP_1)
	v_dual_cndmask_b32 v3, 0, v3 :: v_dual_cndmask_b32 v2, 3, v2
	v_cmp_ne_u64_e32 vcc_lo, 0, v[2:3]
	s_or_b32 s10, s10, vcc_lo
	s_delay_alu instid0(SALU_CYCLE_1) | instskip(NEXT) | instid1(SALU_CYCLE_1)
	s_and_saveexec_b32 s41, s10
	s_xor_b32 s10, exec_lo, s41
; %bb.6435:                             ;   in Loop: Header=BB6_5693 Depth=2
	v_min_i32_e32 v0, 31, v4
	s_delay_alu instid0(VALU_DEP_1) | instskip(NEXT) | instid1(VALU_DEP_1)
	v_lshl_or_b32 v0, v0, 2, v6
                                        ; implicit-def: $vgpr6
	v_and_or_b32 v42, v2, 3, v0
; %bb.6436:                             ;   in Loop: Header=BB6_5693 Depth=2
	s_and_not1_saveexec_b32 s10, s10
; %bb.6437:                             ;   in Loop: Header=BB6_5693 Depth=2
	v_mov_b32_e32 v42, v6
; %bb.6438:                             ;   in Loop: Header=BB6_5693 Depth=2
	s_or_b32 exec_lo, exec_lo, s10
.LBB6_6439:                             ;   in Loop: Header=BB6_5693 Depth=2
	s_delay_alu instid0(SALU_CYCLE_1)
	s_or_b32 exec_lo, exec_lo, s40
                                        ; implicit-def: $vgpr6
.LBB6_6440:                             ;   in Loop: Header=BB6_5693 Depth=2
	s_and_not1_saveexec_b32 s10, s29
; %bb.6441:                             ;   in Loop: Header=BB6_5693 Depth=2
	v_or_b32_e32 v42, 0x7b, v6
; %bb.6442:                             ;   in Loop: Header=BB6_5693 Depth=2
	s_or_b32 exec_lo, exec_lo, s10
                                        ; implicit-def: $vgpr2
.LBB6_6443:                             ;   in Loop: Header=BB6_5693 Depth=2
	s_and_not1_saveexec_b32 s10, s11
	s_cbranch_execz .LBB6_6449
; %bb.6444:                             ;   in Loop: Header=BB6_5693 Depth=2
	s_mov_b32 s11, exec_lo
                                        ; implicit-def: $vgpr42
	v_cmpx_ne_u64_e32 0, v[0:1]
	s_xor_b32 s11, exec_lo, s11
; %bb.6445:                             ;   in Loop: Header=BB6_5693 Depth=2
	v_lshrrev_b32_e32 v0, 24, v2
                                        ; implicit-def: $vgpr2
	s_delay_alu instid0(VALU_DEP_1)
	v_or_b32_e32 v42, 0x7f, v0
; %bb.6446:                             ;   in Loop: Header=BB6_5693 Depth=2
	s_and_not1_saveexec_b32 s11, s11
; %bb.6447:                             ;   in Loop: Header=BB6_5693 Depth=2
	v_cmp_lt_i32_e32 vcc_lo, -1, v2
	v_cndmask_b32_e64 v42, -4, 0x7c, vcc_lo
; %bb.6448:                             ;   in Loop: Header=BB6_5693 Depth=2
	s_or_b32 exec_lo, exec_lo, s11
.LBB6_6449:                             ;   in Loop: Header=BB6_5693 Depth=2
	s_delay_alu instid0(SALU_CYCLE_1)
	s_or_b32 exec_lo, exec_lo, s10
	flat_load_i8 v2, v[10:11] offset:704 th:TH_LOAD_NT
	v_mov_b32_e32 v3, 0
	s_mov_b32 s10, exec_lo
	s_wait_loadcnt_dscnt 0x0
	v_cmpx_ne_u16_e32 0, v2
	s_cbranch_execz .LBB6_6459
; %bb.6450:                             ;   in Loop: Header=BB6_5693 Depth=2
	v_bfrev_b32_e32 v3, 1
	s_mov_b32 s11, exec_lo
	v_cmpx_ne_u16_e32 0xff80, v2
	s_cbranch_execz .LBB6_6458
; %bb.6451:                             ;   in Loop: Header=BB6_5693 Depth=2
	v_and_b32_e32 v3, 0x7c, v2
	v_and_b32_e32 v0, 3, v2
	s_delay_alu instid0(VALU_DEP_2) | instskip(SKIP_1) | instid1(SALU_CYCLE_1)
	v_cmp_ne_u32_e32 vcc_lo, 0x7c, v3
                                        ; implicit-def: $vgpr3
	s_and_saveexec_b32 s29, vcc_lo
	s_xor_b32 s29, exec_lo, s29
	s_cbranch_execz .LBB6_6455
; %bb.6452:                             ;   in Loop: Header=BB6_5693 Depth=2
	v_and_b32_e32 v3, 0xff, v2
	s_mov_b32 s40, exec_lo
	s_delay_alu instid0(VALU_DEP_1) | instskip(NEXT) | instid1(VALU_DEP_1)
	v_bfe_u32 v3, v3, 2, 5
	v_cmpx_eq_u32_e32 0, v3
	s_cbranch_execz .LBB6_6454
; %bb.6453:                             ;   in Loop: Header=BB6_5693 Depth=2
	v_clz_i32_u32_e32 v0, v0
	v_mov_b32_e32 v3, v1
	s_delay_alu instid0(VALU_DEP_2) | instskip(NEXT) | instid1(VALU_DEP_1)
	v_min_u32_e32 v0, 32, v0
	v_subrev_nc_u32_e32 v4, 29, v0
	s_delay_alu instid0(VALU_DEP_1) | instskip(SKIP_1) | instid1(VALU_DEP_2)
	v_lshlrev_b64_e32 v[4:5], v4, v[2:3]
	v_sub_nc_u32_e32 v3, 30, v0
	v_and_b32_e32 v0, 3, v4
.LBB6_6454:                             ;   in Loop: Header=BB6_5693 Depth=2
	s_or_b32 exec_lo, exec_lo, s40
	v_bfe_i32 v2, v2, 0, 16
	s_delay_alu instid0(VALU_DEP_1) | instskip(NEXT) | instid1(VALU_DEP_1)
	v_and_b32_e32 v2, 0x80000000, v2
	v_lshl_add_u32 v2, v3, 23, v2
	s_delay_alu instid0(VALU_DEP_1) | instskip(NEXT) | instid1(VALU_DEP_1)
	v_lshl_or_b32 v0, v0, 21, v2
                                        ; implicit-def: $vgpr2
	v_add_nc_u32_e32 v3, 0x38000000, v0
                                        ; implicit-def: $vgpr0
.LBB6_6455:                             ;   in Loop: Header=BB6_5693 Depth=2
	s_and_not1_saveexec_b32 s29, s29
; %bb.6456:                             ;   in Loop: Header=BB6_5693 Depth=2
	v_cmp_lt_i16_e32 vcc_lo, -1, v2
	v_mov_b32_e32 v2, 0x7f800000
	s_delay_alu instid0(VALU_DEP_1) | instskip(SKIP_1) | instid1(VALU_DEP_2)
	v_cndmask_b32_e32 v2, 0xff800000, v2, vcc_lo
	v_cmp_eq_u32_e32 vcc_lo, 0, v0
	v_cndmask_b32_e32 v3, 0x7f800001, v2, vcc_lo
; %bb.6457:                             ;   in Loop: Header=BB6_5693 Depth=2
	s_or_b32 exec_lo, exec_lo, s29
.LBB6_6458:                             ;   in Loop: Header=BB6_5693 Depth=2
	s_delay_alu instid0(SALU_CYCLE_1)
	s_or_b32 exec_lo, exec_lo, s11
.LBB6_6459:                             ;   in Loop: Header=BB6_5693 Depth=2
	s_delay_alu instid0(SALU_CYCLE_1) | instskip(NEXT) | instid1(VALU_DEP_1)
	s_or_b32 exec_lo, exec_lo, s10
	v_dual_mul_f32 v2, s28, v3 :: v_dual_mov_b32 v5, v1
                                        ; implicit-def: $vgpr118
	s_mov_b32 s10, exec_lo
	s_delay_alu instid0(VALU_DEP_1) | instskip(SKIP_1) | instid1(VALU_DEP_2)
	v_and_b32_e32 v4, 0x7f800000, v2
	v_and_b32_e32 v0, 0x7fffff, v2
	v_cmpx_ne_u64_e32 0x7f800000, v[4:5]
	s_xor_b32 s11, exec_lo, s10
	s_cbranch_execz .LBB6_6477
; %bb.6460:                             ;   in Loop: Header=BB6_5693 Depth=2
	v_dual_mov_b32 v5, v1 :: v_dual_lshrrev_b32 v3, 24, v2
	v_and_b32_e32 v4, 0x7fffffff, v2
                                        ; implicit-def: $vgpr118
	s_mov_b32 s10, exec_lo
	s_delay_alu instid0(VALU_DEP_2) | instskip(NEXT) | instid1(VALU_DEP_2)
	v_and_b32_e32 v6, 0x80, v3
	v_cmpx_gt_u64_e32 0x47600001, v[4:5]
	s_xor_b32 s29, exec_lo, s10
	s_cbranch_execz .LBB6_6474
; %bb.6461:                             ;   in Loop: Header=BB6_5693 Depth=2
	v_mov_b32_e32 v118, 0
	s_mov_b32 s40, exec_lo
	v_cmpx_ne_u32_e32 0, v2
	s_cbranch_execz .LBB6_6473
; %bb.6462:                             ;   in Loop: Header=BB6_5693 Depth=2
	v_bfe_u32 v7, v2, 23, 8
	v_or_b32_e32 v4, 0x800000, v0
	s_mov_b32 s41, exec_lo
	s_delay_alu instid0(VALU_DEP_2) | instskip(SKIP_1) | instid1(VALU_DEP_2)
	v_dual_mov_b32 v5, v1 :: v_dual_sub_nc_u32 v2, 0x71, v7
	v_cmp_gt_u32_e32 vcc_lo, 0x72, v7
	v_cndmask_b32_e32 v2, 0, v2, vcc_lo
	v_cmp_eq_u32_e32 vcc_lo, 0, v7
	s_delay_alu instid0(VALU_DEP_2) | instskip(SKIP_1) | instid1(VALU_DEP_2)
	v_cndmask_b32_e64 v8, v2, 0x70, vcc_lo
	v_cndmask_b32_e32 v4, v4, v0, vcc_lo
	v_dual_add_nc_u32 v2, 21, v8 :: v_dual_add_nc_u32 v9, 20, v8
	s_delay_alu instid0(VALU_DEP_1) | instskip(NEXT) | instid1(VALU_DEP_2)
	v_lshlrev_b64_e64 v[2:3], v2, -1
	v_lshlrev_b64_e64 v[16:17], v9, 1
	s_delay_alu instid0(VALU_DEP_2) | instskip(NEXT) | instid1(VALU_DEP_3)
	v_bfi_b32 v19, v3, 0, 0
	v_bfi_b32 v18, v2, 0, v4
	v_lshrrev_b64 v[2:3], v8, v[4:5]
	s_delay_alu instid0(VALU_DEP_1) | instskip(NEXT) | instid1(VALU_DEP_3)
	v_mov_b64_e32 v[4:5], v[2:3]
	v_cmpx_eq_u64_e64 v[18:19], v[16:17]
; %bb.6463:                             ;   in Loop: Header=BB6_5693 Depth=2
	v_bfe_u32 v4, v2, 21, 1
	v_mov_b32_e32 v5, v1
	s_delay_alu instid0(VALU_DEP_1) | instskip(NEXT) | instid1(VALU_DEP_1)
	v_add_nc_u64_e32 v[4:5], v[2:3], v[4:5]
	v_add_nc_u64_e32 v[4:5], -1, v[4:5]
; %bb.6464:                             ;   in Loop: Header=BB6_5693 Depth=2
	s_or_b32 exec_lo, exec_lo, s41
	v_add_nc_u32_e32 v0, 0xffffff81, v7
	s_delay_alu instid0(VALU_DEP_2) | instskip(SKIP_2) | instid1(VALU_DEP_3)
	v_and_b32_e32 v4, 0x1fffff, v4
	v_lshrrev_b32_e32 v3, 23, v2
	s_mov_b32 s10, exec_lo
	v_cndmask_b32_e64 v0, v0, 0xffffff82, vcc_lo
	s_delay_alu instid0(VALU_DEP_1) | instskip(SKIP_1) | instid1(VALU_DEP_2)
	v_add3_u32 v5, v8, v0, v3
	v_add_nc_u32_e32 v0, v4, v2
                                        ; implicit-def: $vgpr2_vgpr3
                                        ; implicit-def: $vgpr4
	v_add_nc_u32_e32 v7, 14, v5
	s_delay_alu instid0(VALU_DEP_1)
	v_cmpx_ne_u32_e32 0, v7
	s_xor_b32 s10, exec_lo, s10
; %bb.6465:                             ;   in Loop: Header=BB6_5693 Depth=2
	s_delay_alu instid0(VALU_DEP_3) | instskip(SKIP_1) | instid1(VALU_DEP_1)
	v_cmp_lt_u64_e32 vcc_lo, 0xffffff, v[0:1]
	v_add_nc_u32_e32 v2, 15, v5
	v_cndmask_b32_e32 v4, v7, v2, vcc_lo
	v_cndmask_b32_e64 v2, 0, 1, vcc_lo
	s_delay_alu instid0(VALU_DEP_1)
	v_lshrrev_b64 v[2:3], v2, v[0:1]
; %bb.6466:                             ;   in Loop: Header=BB6_5693 Depth=2
	s_and_not1_saveexec_b32 s10, s10
; %bb.6467:                             ;   in Loop: Header=BB6_5693 Depth=2
	v_mov_b64_e32 v[2:3], v[0:1]
	v_bfe_u32 v4, v0, 23, 1
; %bb.6468:                             ;   in Loop: Header=BB6_5693 Depth=2
	s_or_b32 exec_lo, exec_lo, s10
	s_delay_alu instid0(VALU_DEP_2) | instskip(NEXT) | instid1(VALU_DEP_2)
	v_lshrrev_b64 v[2:3], 21, v[2:3]
	v_cmp_gt_i32_e32 vcc_lo, 32, v4
	v_cmp_ne_u32_e64 s10, 0, v4
                                        ; implicit-def: $vgpr118
	s_delay_alu instid0(VALU_DEP_3) | instskip(NEXT) | instid1(VALU_DEP_1)
	v_dual_cndmask_b32 v3, 0, v3 :: v_dual_cndmask_b32 v2, 3, v2
	v_cmp_ne_u64_e32 vcc_lo, 0, v[2:3]
	s_or_b32 s10, s10, vcc_lo
	s_delay_alu instid0(SALU_CYCLE_1) | instskip(NEXT) | instid1(SALU_CYCLE_1)
	s_and_saveexec_b32 s41, s10
	s_xor_b32 s10, exec_lo, s41
; %bb.6469:                             ;   in Loop: Header=BB6_5693 Depth=2
	v_min_i32_e32 v0, 31, v4
	s_delay_alu instid0(VALU_DEP_1) | instskip(NEXT) | instid1(VALU_DEP_1)
	v_lshl_or_b32 v0, v0, 2, v6
                                        ; implicit-def: $vgpr6
	v_and_or_b32 v118, v2, 3, v0
; %bb.6470:                             ;   in Loop: Header=BB6_5693 Depth=2
	s_and_not1_saveexec_b32 s10, s10
; %bb.6471:                             ;   in Loop: Header=BB6_5693 Depth=2
	v_mov_b32_e32 v118, v6
; %bb.6472:                             ;   in Loop: Header=BB6_5693 Depth=2
	s_or_b32 exec_lo, exec_lo, s10
.LBB6_6473:                             ;   in Loop: Header=BB6_5693 Depth=2
	s_delay_alu instid0(SALU_CYCLE_1)
	s_or_b32 exec_lo, exec_lo, s40
                                        ; implicit-def: $vgpr6
.LBB6_6474:                             ;   in Loop: Header=BB6_5693 Depth=2
	s_and_not1_saveexec_b32 s10, s29
; %bb.6475:                             ;   in Loop: Header=BB6_5693 Depth=2
	v_or_b32_e32 v118, 0x7b, v6
; %bb.6476:                             ;   in Loop: Header=BB6_5693 Depth=2
	s_or_b32 exec_lo, exec_lo, s10
                                        ; implicit-def: $vgpr2
.LBB6_6477:                             ;   in Loop: Header=BB6_5693 Depth=2
	s_and_not1_saveexec_b32 s10, s11
	s_cbranch_execz .LBB6_6483
; %bb.6478:                             ;   in Loop: Header=BB6_5693 Depth=2
	s_mov_b32 s11, exec_lo
                                        ; implicit-def: $vgpr118
	v_cmpx_ne_u64_e32 0, v[0:1]
	s_xor_b32 s11, exec_lo, s11
; %bb.6479:                             ;   in Loop: Header=BB6_5693 Depth=2
	v_lshrrev_b32_e32 v0, 24, v2
                                        ; implicit-def: $vgpr2
	s_delay_alu instid0(VALU_DEP_1)
	v_or_b32_e32 v118, 0x7f, v0
; %bb.6480:                             ;   in Loop: Header=BB6_5693 Depth=2
	s_and_not1_saveexec_b32 s11, s11
; %bb.6481:                             ;   in Loop: Header=BB6_5693 Depth=2
	v_cmp_lt_i32_e32 vcc_lo, -1, v2
	v_cndmask_b32_e64 v118, -4, 0x7c, vcc_lo
; %bb.6482:                             ;   in Loop: Header=BB6_5693 Depth=2
	s_or_b32 exec_lo, exec_lo, s11
.LBB6_6483:                             ;   in Loop: Header=BB6_5693 Depth=2
	s_delay_alu instid0(SALU_CYCLE_1)
	s_or_b32 exec_lo, exec_lo, s10
	flat_load_i8 v2, v[10:11] offset:736 th:TH_LOAD_NT
	v_mov_b32_e32 v3, 0
	s_mov_b32 s10, exec_lo
	s_wait_loadcnt_dscnt 0x0
	v_cmpx_ne_u16_e32 0, v2
	s_cbranch_execz .LBB6_6493
; %bb.6484:                             ;   in Loop: Header=BB6_5693 Depth=2
	v_bfrev_b32_e32 v3, 1
	s_mov_b32 s11, exec_lo
	v_cmpx_ne_u16_e32 0xff80, v2
	s_cbranch_execz .LBB6_6492
; %bb.6485:                             ;   in Loop: Header=BB6_5693 Depth=2
	v_and_b32_e32 v3, 0x7c, v2
	v_and_b32_e32 v0, 3, v2
	s_delay_alu instid0(VALU_DEP_2) | instskip(SKIP_1) | instid1(SALU_CYCLE_1)
	v_cmp_ne_u32_e32 vcc_lo, 0x7c, v3
                                        ; implicit-def: $vgpr3
	s_and_saveexec_b32 s29, vcc_lo
	s_xor_b32 s29, exec_lo, s29
	s_cbranch_execz .LBB6_6489
; %bb.6486:                             ;   in Loop: Header=BB6_5693 Depth=2
	v_and_b32_e32 v3, 0xff, v2
	s_mov_b32 s40, exec_lo
	s_delay_alu instid0(VALU_DEP_1) | instskip(NEXT) | instid1(VALU_DEP_1)
	v_bfe_u32 v3, v3, 2, 5
	v_cmpx_eq_u32_e32 0, v3
	s_cbranch_execz .LBB6_6488
; %bb.6487:                             ;   in Loop: Header=BB6_5693 Depth=2
	v_clz_i32_u32_e32 v0, v0
	v_mov_b32_e32 v3, v1
	s_delay_alu instid0(VALU_DEP_2) | instskip(NEXT) | instid1(VALU_DEP_1)
	v_min_u32_e32 v0, 32, v0
	v_subrev_nc_u32_e32 v4, 29, v0
	s_delay_alu instid0(VALU_DEP_1) | instskip(SKIP_1) | instid1(VALU_DEP_2)
	v_lshlrev_b64_e32 v[4:5], v4, v[2:3]
	v_sub_nc_u32_e32 v3, 30, v0
	v_and_b32_e32 v0, 3, v4
.LBB6_6488:                             ;   in Loop: Header=BB6_5693 Depth=2
	s_or_b32 exec_lo, exec_lo, s40
	v_bfe_i32 v2, v2, 0, 16
	s_delay_alu instid0(VALU_DEP_1) | instskip(NEXT) | instid1(VALU_DEP_1)
	v_and_b32_e32 v2, 0x80000000, v2
	v_lshl_add_u32 v2, v3, 23, v2
	s_delay_alu instid0(VALU_DEP_1) | instskip(NEXT) | instid1(VALU_DEP_1)
	v_lshl_or_b32 v0, v0, 21, v2
                                        ; implicit-def: $vgpr2
	v_add_nc_u32_e32 v3, 0x38000000, v0
                                        ; implicit-def: $vgpr0
.LBB6_6489:                             ;   in Loop: Header=BB6_5693 Depth=2
	s_and_not1_saveexec_b32 s29, s29
; %bb.6490:                             ;   in Loop: Header=BB6_5693 Depth=2
	v_cmp_lt_i16_e32 vcc_lo, -1, v2
	v_mov_b32_e32 v2, 0x7f800000
	s_delay_alu instid0(VALU_DEP_1) | instskip(SKIP_1) | instid1(VALU_DEP_2)
	v_cndmask_b32_e32 v2, 0xff800000, v2, vcc_lo
	v_cmp_eq_u32_e32 vcc_lo, 0, v0
	v_cndmask_b32_e32 v3, 0x7f800001, v2, vcc_lo
; %bb.6491:                             ;   in Loop: Header=BB6_5693 Depth=2
	s_or_b32 exec_lo, exec_lo, s29
.LBB6_6492:                             ;   in Loop: Header=BB6_5693 Depth=2
	s_delay_alu instid0(SALU_CYCLE_1)
	s_or_b32 exec_lo, exec_lo, s11
.LBB6_6493:                             ;   in Loop: Header=BB6_5693 Depth=2
	s_delay_alu instid0(SALU_CYCLE_1) | instskip(NEXT) | instid1(VALU_DEP_1)
	s_or_b32 exec_lo, exec_lo, s10
	v_dual_mul_f32 v2, s28, v3 :: v_dual_mov_b32 v5, v1
                                        ; implicit-def: $vgpr116
	s_mov_b32 s10, exec_lo
	s_delay_alu instid0(VALU_DEP_1) | instskip(SKIP_1) | instid1(VALU_DEP_2)
	v_and_b32_e32 v4, 0x7f800000, v2
	v_and_b32_e32 v0, 0x7fffff, v2
	v_cmpx_ne_u64_e32 0x7f800000, v[4:5]
	s_xor_b32 s11, exec_lo, s10
	s_cbranch_execz .LBB6_6511
; %bb.6494:                             ;   in Loop: Header=BB6_5693 Depth=2
	v_dual_mov_b32 v5, v1 :: v_dual_lshrrev_b32 v3, 24, v2
	v_and_b32_e32 v4, 0x7fffffff, v2
                                        ; implicit-def: $vgpr116
	s_mov_b32 s10, exec_lo
	s_delay_alu instid0(VALU_DEP_2) | instskip(NEXT) | instid1(VALU_DEP_2)
	v_and_b32_e32 v6, 0x80, v3
	v_cmpx_gt_u64_e32 0x47600001, v[4:5]
	s_xor_b32 s29, exec_lo, s10
	s_cbranch_execz .LBB6_6508
; %bb.6495:                             ;   in Loop: Header=BB6_5693 Depth=2
	v_mov_b32_e32 v116, 0
	s_mov_b32 s40, exec_lo
	v_cmpx_ne_u32_e32 0, v2
	s_cbranch_execz .LBB6_6507
; %bb.6496:                             ;   in Loop: Header=BB6_5693 Depth=2
	v_bfe_u32 v7, v2, 23, 8
	v_or_b32_e32 v4, 0x800000, v0
	s_mov_b32 s41, exec_lo
	s_delay_alu instid0(VALU_DEP_2) | instskip(SKIP_1) | instid1(VALU_DEP_2)
	v_dual_mov_b32 v5, v1 :: v_dual_sub_nc_u32 v2, 0x71, v7
	v_cmp_gt_u32_e32 vcc_lo, 0x72, v7
	v_cndmask_b32_e32 v2, 0, v2, vcc_lo
	v_cmp_eq_u32_e32 vcc_lo, 0, v7
	s_delay_alu instid0(VALU_DEP_2) | instskip(SKIP_1) | instid1(VALU_DEP_2)
	v_cndmask_b32_e64 v8, v2, 0x70, vcc_lo
	v_cndmask_b32_e32 v4, v4, v0, vcc_lo
	v_dual_add_nc_u32 v2, 21, v8 :: v_dual_add_nc_u32 v9, 20, v8
	s_delay_alu instid0(VALU_DEP_1) | instskip(NEXT) | instid1(VALU_DEP_2)
	v_lshlrev_b64_e64 v[2:3], v2, -1
	v_lshlrev_b64_e64 v[16:17], v9, 1
	s_delay_alu instid0(VALU_DEP_2) | instskip(NEXT) | instid1(VALU_DEP_3)
	v_bfi_b32 v19, v3, 0, 0
	v_bfi_b32 v18, v2, 0, v4
	v_lshrrev_b64 v[2:3], v8, v[4:5]
	s_delay_alu instid0(VALU_DEP_1) | instskip(NEXT) | instid1(VALU_DEP_3)
	v_mov_b64_e32 v[4:5], v[2:3]
	v_cmpx_eq_u64_e64 v[18:19], v[16:17]
; %bb.6497:                             ;   in Loop: Header=BB6_5693 Depth=2
	v_bfe_u32 v4, v2, 21, 1
	v_mov_b32_e32 v5, v1
	s_delay_alu instid0(VALU_DEP_1) | instskip(NEXT) | instid1(VALU_DEP_1)
	v_add_nc_u64_e32 v[4:5], v[2:3], v[4:5]
	v_add_nc_u64_e32 v[4:5], -1, v[4:5]
; %bb.6498:                             ;   in Loop: Header=BB6_5693 Depth=2
	s_or_b32 exec_lo, exec_lo, s41
	v_add_nc_u32_e32 v0, 0xffffff81, v7
	s_delay_alu instid0(VALU_DEP_2) | instskip(SKIP_2) | instid1(VALU_DEP_3)
	v_and_b32_e32 v4, 0x1fffff, v4
	v_lshrrev_b32_e32 v3, 23, v2
	s_mov_b32 s10, exec_lo
	v_cndmask_b32_e64 v0, v0, 0xffffff82, vcc_lo
	s_delay_alu instid0(VALU_DEP_1) | instskip(SKIP_1) | instid1(VALU_DEP_2)
	v_add3_u32 v5, v8, v0, v3
	v_add_nc_u32_e32 v0, v4, v2
                                        ; implicit-def: $vgpr2_vgpr3
                                        ; implicit-def: $vgpr4
	v_add_nc_u32_e32 v7, 14, v5
	s_delay_alu instid0(VALU_DEP_1)
	v_cmpx_ne_u32_e32 0, v7
	s_xor_b32 s10, exec_lo, s10
; %bb.6499:                             ;   in Loop: Header=BB6_5693 Depth=2
	s_delay_alu instid0(VALU_DEP_3) | instskip(SKIP_1) | instid1(VALU_DEP_1)
	v_cmp_lt_u64_e32 vcc_lo, 0xffffff, v[0:1]
	v_add_nc_u32_e32 v2, 15, v5
	v_cndmask_b32_e32 v4, v7, v2, vcc_lo
	v_cndmask_b32_e64 v2, 0, 1, vcc_lo
	s_delay_alu instid0(VALU_DEP_1)
	v_lshrrev_b64 v[2:3], v2, v[0:1]
; %bb.6500:                             ;   in Loop: Header=BB6_5693 Depth=2
	s_and_not1_saveexec_b32 s10, s10
; %bb.6501:                             ;   in Loop: Header=BB6_5693 Depth=2
	v_mov_b64_e32 v[2:3], v[0:1]
	v_bfe_u32 v4, v0, 23, 1
; %bb.6502:                             ;   in Loop: Header=BB6_5693 Depth=2
	s_or_b32 exec_lo, exec_lo, s10
	s_delay_alu instid0(VALU_DEP_2) | instskip(NEXT) | instid1(VALU_DEP_2)
	v_lshrrev_b64 v[2:3], 21, v[2:3]
	v_cmp_gt_i32_e32 vcc_lo, 32, v4
	v_cmp_ne_u32_e64 s10, 0, v4
                                        ; implicit-def: $vgpr116
	s_delay_alu instid0(VALU_DEP_3) | instskip(NEXT) | instid1(VALU_DEP_1)
	v_dual_cndmask_b32 v3, 0, v3 :: v_dual_cndmask_b32 v2, 3, v2
	v_cmp_ne_u64_e32 vcc_lo, 0, v[2:3]
	s_or_b32 s10, s10, vcc_lo
	s_delay_alu instid0(SALU_CYCLE_1) | instskip(NEXT) | instid1(SALU_CYCLE_1)
	s_and_saveexec_b32 s41, s10
	s_xor_b32 s10, exec_lo, s41
; %bb.6503:                             ;   in Loop: Header=BB6_5693 Depth=2
	v_min_i32_e32 v0, 31, v4
	s_delay_alu instid0(VALU_DEP_1) | instskip(NEXT) | instid1(VALU_DEP_1)
	v_lshl_or_b32 v0, v0, 2, v6
                                        ; implicit-def: $vgpr6
	v_and_or_b32 v116, v2, 3, v0
; %bb.6504:                             ;   in Loop: Header=BB6_5693 Depth=2
	s_and_not1_saveexec_b32 s10, s10
; %bb.6505:                             ;   in Loop: Header=BB6_5693 Depth=2
	v_mov_b32_e32 v116, v6
; %bb.6506:                             ;   in Loop: Header=BB6_5693 Depth=2
	s_or_b32 exec_lo, exec_lo, s10
.LBB6_6507:                             ;   in Loop: Header=BB6_5693 Depth=2
	s_delay_alu instid0(SALU_CYCLE_1)
	s_or_b32 exec_lo, exec_lo, s40
                                        ; implicit-def: $vgpr6
.LBB6_6508:                             ;   in Loop: Header=BB6_5693 Depth=2
	s_and_not1_saveexec_b32 s10, s29
; %bb.6509:                             ;   in Loop: Header=BB6_5693 Depth=2
	v_or_b32_e32 v116, 0x7b, v6
; %bb.6510:                             ;   in Loop: Header=BB6_5693 Depth=2
	s_or_b32 exec_lo, exec_lo, s10
                                        ; implicit-def: $vgpr2
.LBB6_6511:                             ;   in Loop: Header=BB6_5693 Depth=2
	s_and_not1_saveexec_b32 s10, s11
	s_cbranch_execz .LBB6_6517
; %bb.6512:                             ;   in Loop: Header=BB6_5693 Depth=2
	s_mov_b32 s11, exec_lo
                                        ; implicit-def: $vgpr116
	v_cmpx_ne_u64_e32 0, v[0:1]
	s_xor_b32 s11, exec_lo, s11
; %bb.6513:                             ;   in Loop: Header=BB6_5693 Depth=2
	v_lshrrev_b32_e32 v0, 24, v2
                                        ; implicit-def: $vgpr2
	s_delay_alu instid0(VALU_DEP_1)
	v_or_b32_e32 v116, 0x7f, v0
; %bb.6514:                             ;   in Loop: Header=BB6_5693 Depth=2
	s_and_not1_saveexec_b32 s11, s11
; %bb.6515:                             ;   in Loop: Header=BB6_5693 Depth=2
	v_cmp_lt_i32_e32 vcc_lo, -1, v2
	v_cndmask_b32_e64 v116, -4, 0x7c, vcc_lo
; %bb.6516:                             ;   in Loop: Header=BB6_5693 Depth=2
	s_or_b32 exec_lo, exec_lo, s11
.LBB6_6517:                             ;   in Loop: Header=BB6_5693 Depth=2
	s_delay_alu instid0(SALU_CYCLE_1)
	s_or_b32 exec_lo, exec_lo, s10
	flat_load_i8 v2, v[10:11] offset:768 th:TH_LOAD_NT
	v_mov_b32_e32 v3, 0
	s_mov_b32 s10, exec_lo
	s_wait_loadcnt_dscnt 0x0
	v_cmpx_ne_u16_e32 0, v2
	s_cbranch_execz .LBB6_6527
; %bb.6518:                             ;   in Loop: Header=BB6_5693 Depth=2
	v_bfrev_b32_e32 v3, 1
	s_mov_b32 s11, exec_lo
	v_cmpx_ne_u16_e32 0xff80, v2
	s_cbranch_execz .LBB6_6526
; %bb.6519:                             ;   in Loop: Header=BB6_5693 Depth=2
	v_and_b32_e32 v3, 0x7c, v2
	v_and_b32_e32 v0, 3, v2
	s_delay_alu instid0(VALU_DEP_2) | instskip(SKIP_1) | instid1(SALU_CYCLE_1)
	v_cmp_ne_u32_e32 vcc_lo, 0x7c, v3
                                        ; implicit-def: $vgpr3
	s_and_saveexec_b32 s29, vcc_lo
	s_xor_b32 s29, exec_lo, s29
	s_cbranch_execz .LBB6_6523
; %bb.6520:                             ;   in Loop: Header=BB6_5693 Depth=2
	v_and_b32_e32 v3, 0xff, v2
	s_mov_b32 s40, exec_lo
	s_delay_alu instid0(VALU_DEP_1) | instskip(NEXT) | instid1(VALU_DEP_1)
	v_bfe_u32 v3, v3, 2, 5
	v_cmpx_eq_u32_e32 0, v3
	s_cbranch_execz .LBB6_6522
; %bb.6521:                             ;   in Loop: Header=BB6_5693 Depth=2
	v_clz_i32_u32_e32 v0, v0
	v_mov_b32_e32 v3, v1
	s_delay_alu instid0(VALU_DEP_2) | instskip(NEXT) | instid1(VALU_DEP_1)
	v_min_u32_e32 v0, 32, v0
	v_subrev_nc_u32_e32 v4, 29, v0
	s_delay_alu instid0(VALU_DEP_1) | instskip(SKIP_1) | instid1(VALU_DEP_2)
	v_lshlrev_b64_e32 v[4:5], v4, v[2:3]
	v_sub_nc_u32_e32 v3, 30, v0
	v_and_b32_e32 v0, 3, v4
.LBB6_6522:                             ;   in Loop: Header=BB6_5693 Depth=2
	s_or_b32 exec_lo, exec_lo, s40
	v_bfe_i32 v2, v2, 0, 16
	s_delay_alu instid0(VALU_DEP_1) | instskip(NEXT) | instid1(VALU_DEP_1)
	v_and_b32_e32 v2, 0x80000000, v2
	v_lshl_add_u32 v2, v3, 23, v2
	s_delay_alu instid0(VALU_DEP_1) | instskip(NEXT) | instid1(VALU_DEP_1)
	v_lshl_or_b32 v0, v0, 21, v2
                                        ; implicit-def: $vgpr2
	v_add_nc_u32_e32 v3, 0x38000000, v0
                                        ; implicit-def: $vgpr0
.LBB6_6523:                             ;   in Loop: Header=BB6_5693 Depth=2
	s_and_not1_saveexec_b32 s29, s29
; %bb.6524:                             ;   in Loop: Header=BB6_5693 Depth=2
	v_cmp_lt_i16_e32 vcc_lo, -1, v2
	v_mov_b32_e32 v2, 0x7f800000
	s_delay_alu instid0(VALU_DEP_1) | instskip(SKIP_1) | instid1(VALU_DEP_2)
	v_cndmask_b32_e32 v2, 0xff800000, v2, vcc_lo
	v_cmp_eq_u32_e32 vcc_lo, 0, v0
	v_cndmask_b32_e32 v3, 0x7f800001, v2, vcc_lo
; %bb.6525:                             ;   in Loop: Header=BB6_5693 Depth=2
	s_or_b32 exec_lo, exec_lo, s29
.LBB6_6526:                             ;   in Loop: Header=BB6_5693 Depth=2
	s_delay_alu instid0(SALU_CYCLE_1)
	s_or_b32 exec_lo, exec_lo, s11
.LBB6_6527:                             ;   in Loop: Header=BB6_5693 Depth=2
	s_delay_alu instid0(SALU_CYCLE_1) | instskip(NEXT) | instid1(VALU_DEP_1)
	s_or_b32 exec_lo, exec_lo, s10
	v_dual_mul_f32 v2, s28, v3 :: v_dual_mov_b32 v5, v1
                                        ; implicit-def: $vgpr114
	s_mov_b32 s10, exec_lo
	s_delay_alu instid0(VALU_DEP_1) | instskip(SKIP_1) | instid1(VALU_DEP_2)
	v_and_b32_e32 v4, 0x7f800000, v2
	v_and_b32_e32 v0, 0x7fffff, v2
	v_cmpx_ne_u64_e32 0x7f800000, v[4:5]
	s_xor_b32 s11, exec_lo, s10
	s_cbranch_execz .LBB6_6545
; %bb.6528:                             ;   in Loop: Header=BB6_5693 Depth=2
	v_dual_mov_b32 v5, v1 :: v_dual_lshrrev_b32 v3, 24, v2
	v_and_b32_e32 v4, 0x7fffffff, v2
                                        ; implicit-def: $vgpr114
	s_mov_b32 s10, exec_lo
	s_delay_alu instid0(VALU_DEP_2) | instskip(NEXT) | instid1(VALU_DEP_2)
	v_and_b32_e32 v6, 0x80, v3
	v_cmpx_gt_u64_e32 0x47600001, v[4:5]
	s_xor_b32 s29, exec_lo, s10
	s_cbranch_execz .LBB6_6542
; %bb.6529:                             ;   in Loop: Header=BB6_5693 Depth=2
	v_mov_b32_e32 v114, 0
	s_mov_b32 s40, exec_lo
	v_cmpx_ne_u32_e32 0, v2
	s_cbranch_execz .LBB6_6541
; %bb.6530:                             ;   in Loop: Header=BB6_5693 Depth=2
	v_bfe_u32 v7, v2, 23, 8
	v_or_b32_e32 v4, 0x800000, v0
	s_mov_b32 s41, exec_lo
	s_delay_alu instid0(VALU_DEP_2) | instskip(SKIP_1) | instid1(VALU_DEP_2)
	v_dual_mov_b32 v5, v1 :: v_dual_sub_nc_u32 v2, 0x71, v7
	v_cmp_gt_u32_e32 vcc_lo, 0x72, v7
	v_cndmask_b32_e32 v2, 0, v2, vcc_lo
	v_cmp_eq_u32_e32 vcc_lo, 0, v7
	s_delay_alu instid0(VALU_DEP_2) | instskip(SKIP_1) | instid1(VALU_DEP_2)
	v_cndmask_b32_e64 v8, v2, 0x70, vcc_lo
	v_cndmask_b32_e32 v4, v4, v0, vcc_lo
	v_dual_add_nc_u32 v2, 21, v8 :: v_dual_add_nc_u32 v9, 20, v8
	s_delay_alu instid0(VALU_DEP_1) | instskip(NEXT) | instid1(VALU_DEP_2)
	v_lshlrev_b64_e64 v[2:3], v2, -1
	v_lshlrev_b64_e64 v[16:17], v9, 1
	s_delay_alu instid0(VALU_DEP_2) | instskip(NEXT) | instid1(VALU_DEP_3)
	v_bfi_b32 v19, v3, 0, 0
	v_bfi_b32 v18, v2, 0, v4
	v_lshrrev_b64 v[2:3], v8, v[4:5]
	s_delay_alu instid0(VALU_DEP_1) | instskip(NEXT) | instid1(VALU_DEP_3)
	v_mov_b64_e32 v[4:5], v[2:3]
	v_cmpx_eq_u64_e64 v[18:19], v[16:17]
; %bb.6531:                             ;   in Loop: Header=BB6_5693 Depth=2
	v_bfe_u32 v4, v2, 21, 1
	v_mov_b32_e32 v5, v1
	s_delay_alu instid0(VALU_DEP_1) | instskip(NEXT) | instid1(VALU_DEP_1)
	v_add_nc_u64_e32 v[4:5], v[2:3], v[4:5]
	v_add_nc_u64_e32 v[4:5], -1, v[4:5]
; %bb.6532:                             ;   in Loop: Header=BB6_5693 Depth=2
	s_or_b32 exec_lo, exec_lo, s41
	v_add_nc_u32_e32 v0, 0xffffff81, v7
	s_delay_alu instid0(VALU_DEP_2) | instskip(SKIP_2) | instid1(VALU_DEP_3)
	v_and_b32_e32 v4, 0x1fffff, v4
	v_lshrrev_b32_e32 v3, 23, v2
	s_mov_b32 s10, exec_lo
	v_cndmask_b32_e64 v0, v0, 0xffffff82, vcc_lo
	s_delay_alu instid0(VALU_DEP_1) | instskip(SKIP_1) | instid1(VALU_DEP_2)
	v_add3_u32 v5, v8, v0, v3
	v_add_nc_u32_e32 v0, v4, v2
                                        ; implicit-def: $vgpr2_vgpr3
                                        ; implicit-def: $vgpr4
	v_add_nc_u32_e32 v7, 14, v5
	s_delay_alu instid0(VALU_DEP_1)
	v_cmpx_ne_u32_e32 0, v7
	s_xor_b32 s10, exec_lo, s10
; %bb.6533:                             ;   in Loop: Header=BB6_5693 Depth=2
	s_delay_alu instid0(VALU_DEP_3) | instskip(SKIP_1) | instid1(VALU_DEP_1)
	v_cmp_lt_u64_e32 vcc_lo, 0xffffff, v[0:1]
	v_add_nc_u32_e32 v2, 15, v5
	v_cndmask_b32_e32 v4, v7, v2, vcc_lo
	v_cndmask_b32_e64 v2, 0, 1, vcc_lo
	s_delay_alu instid0(VALU_DEP_1)
	v_lshrrev_b64 v[2:3], v2, v[0:1]
; %bb.6534:                             ;   in Loop: Header=BB6_5693 Depth=2
	s_and_not1_saveexec_b32 s10, s10
; %bb.6535:                             ;   in Loop: Header=BB6_5693 Depth=2
	v_mov_b64_e32 v[2:3], v[0:1]
	v_bfe_u32 v4, v0, 23, 1
; %bb.6536:                             ;   in Loop: Header=BB6_5693 Depth=2
	s_or_b32 exec_lo, exec_lo, s10
	s_delay_alu instid0(VALU_DEP_2) | instskip(NEXT) | instid1(VALU_DEP_2)
	v_lshrrev_b64 v[2:3], 21, v[2:3]
	v_cmp_gt_i32_e32 vcc_lo, 32, v4
	v_cmp_ne_u32_e64 s10, 0, v4
                                        ; implicit-def: $vgpr114
	s_delay_alu instid0(VALU_DEP_3) | instskip(NEXT) | instid1(VALU_DEP_1)
	v_dual_cndmask_b32 v3, 0, v3 :: v_dual_cndmask_b32 v2, 3, v2
	v_cmp_ne_u64_e32 vcc_lo, 0, v[2:3]
	s_or_b32 s10, s10, vcc_lo
	s_delay_alu instid0(SALU_CYCLE_1) | instskip(NEXT) | instid1(SALU_CYCLE_1)
	s_and_saveexec_b32 s41, s10
	s_xor_b32 s10, exec_lo, s41
; %bb.6537:                             ;   in Loop: Header=BB6_5693 Depth=2
	v_min_i32_e32 v0, 31, v4
	s_delay_alu instid0(VALU_DEP_1) | instskip(NEXT) | instid1(VALU_DEP_1)
	v_lshl_or_b32 v0, v0, 2, v6
                                        ; implicit-def: $vgpr6
	v_and_or_b32 v114, v2, 3, v0
; %bb.6538:                             ;   in Loop: Header=BB6_5693 Depth=2
	s_and_not1_saveexec_b32 s10, s10
; %bb.6539:                             ;   in Loop: Header=BB6_5693 Depth=2
	v_mov_b32_e32 v114, v6
; %bb.6540:                             ;   in Loop: Header=BB6_5693 Depth=2
	s_or_b32 exec_lo, exec_lo, s10
.LBB6_6541:                             ;   in Loop: Header=BB6_5693 Depth=2
	s_delay_alu instid0(SALU_CYCLE_1)
	s_or_b32 exec_lo, exec_lo, s40
                                        ; implicit-def: $vgpr6
.LBB6_6542:                             ;   in Loop: Header=BB6_5693 Depth=2
	s_and_not1_saveexec_b32 s10, s29
; %bb.6543:                             ;   in Loop: Header=BB6_5693 Depth=2
	v_or_b32_e32 v114, 0x7b, v6
; %bb.6544:                             ;   in Loop: Header=BB6_5693 Depth=2
	s_or_b32 exec_lo, exec_lo, s10
                                        ; implicit-def: $vgpr2
.LBB6_6545:                             ;   in Loop: Header=BB6_5693 Depth=2
	s_and_not1_saveexec_b32 s10, s11
	s_cbranch_execz .LBB6_6551
; %bb.6546:                             ;   in Loop: Header=BB6_5693 Depth=2
	s_mov_b32 s11, exec_lo
                                        ; implicit-def: $vgpr114
	v_cmpx_ne_u64_e32 0, v[0:1]
	s_xor_b32 s11, exec_lo, s11
; %bb.6547:                             ;   in Loop: Header=BB6_5693 Depth=2
	v_lshrrev_b32_e32 v0, 24, v2
                                        ; implicit-def: $vgpr2
	s_delay_alu instid0(VALU_DEP_1)
	v_or_b32_e32 v114, 0x7f, v0
; %bb.6548:                             ;   in Loop: Header=BB6_5693 Depth=2
	s_and_not1_saveexec_b32 s11, s11
; %bb.6549:                             ;   in Loop: Header=BB6_5693 Depth=2
	v_cmp_lt_i32_e32 vcc_lo, -1, v2
	v_cndmask_b32_e64 v114, -4, 0x7c, vcc_lo
; %bb.6550:                             ;   in Loop: Header=BB6_5693 Depth=2
	s_or_b32 exec_lo, exec_lo, s11
.LBB6_6551:                             ;   in Loop: Header=BB6_5693 Depth=2
	s_delay_alu instid0(SALU_CYCLE_1)
	s_or_b32 exec_lo, exec_lo, s10
	flat_load_i8 v2, v[10:11] offset:800 th:TH_LOAD_NT
	v_mov_b32_e32 v3, 0
	s_mov_b32 s10, exec_lo
	s_wait_loadcnt_dscnt 0x0
	v_cmpx_ne_u16_e32 0, v2
	s_cbranch_execz .LBB6_6561
; %bb.6552:                             ;   in Loop: Header=BB6_5693 Depth=2
	v_bfrev_b32_e32 v3, 1
	s_mov_b32 s11, exec_lo
	v_cmpx_ne_u16_e32 0xff80, v2
	s_cbranch_execz .LBB6_6560
; %bb.6553:                             ;   in Loop: Header=BB6_5693 Depth=2
	v_and_b32_e32 v3, 0x7c, v2
	v_and_b32_e32 v0, 3, v2
	s_delay_alu instid0(VALU_DEP_2) | instskip(SKIP_1) | instid1(SALU_CYCLE_1)
	v_cmp_ne_u32_e32 vcc_lo, 0x7c, v3
                                        ; implicit-def: $vgpr3
	s_and_saveexec_b32 s29, vcc_lo
	s_xor_b32 s29, exec_lo, s29
	s_cbranch_execz .LBB6_6557
; %bb.6554:                             ;   in Loop: Header=BB6_5693 Depth=2
	v_and_b32_e32 v3, 0xff, v2
	s_mov_b32 s40, exec_lo
	s_delay_alu instid0(VALU_DEP_1) | instskip(NEXT) | instid1(VALU_DEP_1)
	v_bfe_u32 v3, v3, 2, 5
	v_cmpx_eq_u32_e32 0, v3
	s_cbranch_execz .LBB6_6556
; %bb.6555:                             ;   in Loop: Header=BB6_5693 Depth=2
	v_clz_i32_u32_e32 v0, v0
	v_mov_b32_e32 v3, v1
	s_delay_alu instid0(VALU_DEP_2) | instskip(NEXT) | instid1(VALU_DEP_1)
	v_min_u32_e32 v0, 32, v0
	v_subrev_nc_u32_e32 v4, 29, v0
	s_delay_alu instid0(VALU_DEP_1) | instskip(SKIP_1) | instid1(VALU_DEP_2)
	v_lshlrev_b64_e32 v[4:5], v4, v[2:3]
	v_sub_nc_u32_e32 v3, 30, v0
	v_and_b32_e32 v0, 3, v4
.LBB6_6556:                             ;   in Loop: Header=BB6_5693 Depth=2
	s_or_b32 exec_lo, exec_lo, s40
	v_bfe_i32 v2, v2, 0, 16
	s_delay_alu instid0(VALU_DEP_1) | instskip(NEXT) | instid1(VALU_DEP_1)
	v_and_b32_e32 v2, 0x80000000, v2
	v_lshl_add_u32 v2, v3, 23, v2
	s_delay_alu instid0(VALU_DEP_1) | instskip(NEXT) | instid1(VALU_DEP_1)
	v_lshl_or_b32 v0, v0, 21, v2
                                        ; implicit-def: $vgpr2
	v_add_nc_u32_e32 v3, 0x38000000, v0
                                        ; implicit-def: $vgpr0
.LBB6_6557:                             ;   in Loop: Header=BB6_5693 Depth=2
	s_and_not1_saveexec_b32 s29, s29
; %bb.6558:                             ;   in Loop: Header=BB6_5693 Depth=2
	v_cmp_lt_i16_e32 vcc_lo, -1, v2
	v_mov_b32_e32 v2, 0x7f800000
	s_delay_alu instid0(VALU_DEP_1) | instskip(SKIP_1) | instid1(VALU_DEP_2)
	v_cndmask_b32_e32 v2, 0xff800000, v2, vcc_lo
	v_cmp_eq_u32_e32 vcc_lo, 0, v0
	v_cndmask_b32_e32 v3, 0x7f800001, v2, vcc_lo
; %bb.6559:                             ;   in Loop: Header=BB6_5693 Depth=2
	s_or_b32 exec_lo, exec_lo, s29
.LBB6_6560:                             ;   in Loop: Header=BB6_5693 Depth=2
	s_delay_alu instid0(SALU_CYCLE_1)
	s_or_b32 exec_lo, exec_lo, s11
.LBB6_6561:                             ;   in Loop: Header=BB6_5693 Depth=2
	s_delay_alu instid0(SALU_CYCLE_1) | instskip(NEXT) | instid1(VALU_DEP_1)
	s_or_b32 exec_lo, exec_lo, s10
	v_dual_mul_f32 v2, s28, v3 :: v_dual_mov_b32 v5, v1
                                        ; implicit-def: $vgpr112
	s_mov_b32 s10, exec_lo
	s_delay_alu instid0(VALU_DEP_1) | instskip(SKIP_1) | instid1(VALU_DEP_2)
	v_and_b32_e32 v4, 0x7f800000, v2
	v_and_b32_e32 v0, 0x7fffff, v2
	v_cmpx_ne_u64_e32 0x7f800000, v[4:5]
	s_xor_b32 s11, exec_lo, s10
	s_cbranch_execz .LBB6_6579
; %bb.6562:                             ;   in Loop: Header=BB6_5693 Depth=2
	v_dual_mov_b32 v5, v1 :: v_dual_lshrrev_b32 v3, 24, v2
	v_and_b32_e32 v4, 0x7fffffff, v2
                                        ; implicit-def: $vgpr112
	s_mov_b32 s10, exec_lo
	s_delay_alu instid0(VALU_DEP_2) | instskip(NEXT) | instid1(VALU_DEP_2)
	v_and_b32_e32 v6, 0x80, v3
	v_cmpx_gt_u64_e32 0x47600001, v[4:5]
	s_xor_b32 s29, exec_lo, s10
	s_cbranch_execz .LBB6_6576
; %bb.6563:                             ;   in Loop: Header=BB6_5693 Depth=2
	v_mov_b32_e32 v112, 0
	s_mov_b32 s40, exec_lo
	v_cmpx_ne_u32_e32 0, v2
	s_cbranch_execz .LBB6_6575
; %bb.6564:                             ;   in Loop: Header=BB6_5693 Depth=2
	v_bfe_u32 v7, v2, 23, 8
	v_or_b32_e32 v4, 0x800000, v0
	s_mov_b32 s41, exec_lo
	s_delay_alu instid0(VALU_DEP_2) | instskip(SKIP_1) | instid1(VALU_DEP_2)
	v_dual_mov_b32 v5, v1 :: v_dual_sub_nc_u32 v2, 0x71, v7
	v_cmp_gt_u32_e32 vcc_lo, 0x72, v7
	v_cndmask_b32_e32 v2, 0, v2, vcc_lo
	v_cmp_eq_u32_e32 vcc_lo, 0, v7
	s_delay_alu instid0(VALU_DEP_2) | instskip(SKIP_1) | instid1(VALU_DEP_2)
	v_cndmask_b32_e64 v8, v2, 0x70, vcc_lo
	v_cndmask_b32_e32 v4, v4, v0, vcc_lo
	v_dual_add_nc_u32 v2, 21, v8 :: v_dual_add_nc_u32 v9, 20, v8
	s_delay_alu instid0(VALU_DEP_1) | instskip(NEXT) | instid1(VALU_DEP_2)
	v_lshlrev_b64_e64 v[2:3], v2, -1
	v_lshlrev_b64_e64 v[16:17], v9, 1
	s_delay_alu instid0(VALU_DEP_2) | instskip(NEXT) | instid1(VALU_DEP_3)
	v_bfi_b32 v19, v3, 0, 0
	v_bfi_b32 v18, v2, 0, v4
	v_lshrrev_b64 v[2:3], v8, v[4:5]
	s_delay_alu instid0(VALU_DEP_1) | instskip(NEXT) | instid1(VALU_DEP_3)
	v_mov_b64_e32 v[4:5], v[2:3]
	v_cmpx_eq_u64_e64 v[18:19], v[16:17]
; %bb.6565:                             ;   in Loop: Header=BB6_5693 Depth=2
	v_bfe_u32 v4, v2, 21, 1
	v_mov_b32_e32 v5, v1
	s_delay_alu instid0(VALU_DEP_1) | instskip(NEXT) | instid1(VALU_DEP_1)
	v_add_nc_u64_e32 v[4:5], v[2:3], v[4:5]
	v_add_nc_u64_e32 v[4:5], -1, v[4:5]
; %bb.6566:                             ;   in Loop: Header=BB6_5693 Depth=2
	s_or_b32 exec_lo, exec_lo, s41
	v_add_nc_u32_e32 v0, 0xffffff81, v7
	s_delay_alu instid0(VALU_DEP_2) | instskip(SKIP_2) | instid1(VALU_DEP_3)
	v_and_b32_e32 v4, 0x1fffff, v4
	v_lshrrev_b32_e32 v3, 23, v2
	s_mov_b32 s10, exec_lo
	v_cndmask_b32_e64 v0, v0, 0xffffff82, vcc_lo
	s_delay_alu instid0(VALU_DEP_1) | instskip(SKIP_1) | instid1(VALU_DEP_2)
	v_add3_u32 v5, v8, v0, v3
	v_add_nc_u32_e32 v0, v4, v2
                                        ; implicit-def: $vgpr2_vgpr3
                                        ; implicit-def: $vgpr4
	v_add_nc_u32_e32 v7, 14, v5
	s_delay_alu instid0(VALU_DEP_1)
	v_cmpx_ne_u32_e32 0, v7
	s_xor_b32 s10, exec_lo, s10
; %bb.6567:                             ;   in Loop: Header=BB6_5693 Depth=2
	s_delay_alu instid0(VALU_DEP_3) | instskip(SKIP_1) | instid1(VALU_DEP_1)
	v_cmp_lt_u64_e32 vcc_lo, 0xffffff, v[0:1]
	v_add_nc_u32_e32 v2, 15, v5
	v_cndmask_b32_e32 v4, v7, v2, vcc_lo
	v_cndmask_b32_e64 v2, 0, 1, vcc_lo
	s_delay_alu instid0(VALU_DEP_1)
	v_lshrrev_b64 v[2:3], v2, v[0:1]
; %bb.6568:                             ;   in Loop: Header=BB6_5693 Depth=2
	s_and_not1_saveexec_b32 s10, s10
; %bb.6569:                             ;   in Loop: Header=BB6_5693 Depth=2
	v_mov_b64_e32 v[2:3], v[0:1]
	v_bfe_u32 v4, v0, 23, 1
; %bb.6570:                             ;   in Loop: Header=BB6_5693 Depth=2
	s_or_b32 exec_lo, exec_lo, s10
	s_delay_alu instid0(VALU_DEP_2) | instskip(NEXT) | instid1(VALU_DEP_2)
	v_lshrrev_b64 v[2:3], 21, v[2:3]
	v_cmp_gt_i32_e32 vcc_lo, 32, v4
	v_cmp_ne_u32_e64 s10, 0, v4
                                        ; implicit-def: $vgpr112
	s_delay_alu instid0(VALU_DEP_3) | instskip(NEXT) | instid1(VALU_DEP_1)
	v_dual_cndmask_b32 v3, 0, v3 :: v_dual_cndmask_b32 v2, 3, v2
	v_cmp_ne_u64_e32 vcc_lo, 0, v[2:3]
	s_or_b32 s10, s10, vcc_lo
	s_delay_alu instid0(SALU_CYCLE_1) | instskip(NEXT) | instid1(SALU_CYCLE_1)
	s_and_saveexec_b32 s41, s10
	s_xor_b32 s10, exec_lo, s41
; %bb.6571:                             ;   in Loop: Header=BB6_5693 Depth=2
	v_min_i32_e32 v0, 31, v4
	s_delay_alu instid0(VALU_DEP_1) | instskip(NEXT) | instid1(VALU_DEP_1)
	v_lshl_or_b32 v0, v0, 2, v6
                                        ; implicit-def: $vgpr6
	v_and_or_b32 v112, v2, 3, v0
; %bb.6572:                             ;   in Loop: Header=BB6_5693 Depth=2
	s_and_not1_saveexec_b32 s10, s10
; %bb.6573:                             ;   in Loop: Header=BB6_5693 Depth=2
	v_mov_b32_e32 v112, v6
; %bb.6574:                             ;   in Loop: Header=BB6_5693 Depth=2
	s_or_b32 exec_lo, exec_lo, s10
.LBB6_6575:                             ;   in Loop: Header=BB6_5693 Depth=2
	s_delay_alu instid0(SALU_CYCLE_1)
	s_or_b32 exec_lo, exec_lo, s40
                                        ; implicit-def: $vgpr6
.LBB6_6576:                             ;   in Loop: Header=BB6_5693 Depth=2
	s_and_not1_saveexec_b32 s10, s29
; %bb.6577:                             ;   in Loop: Header=BB6_5693 Depth=2
	v_or_b32_e32 v112, 0x7b, v6
; %bb.6578:                             ;   in Loop: Header=BB6_5693 Depth=2
	s_or_b32 exec_lo, exec_lo, s10
                                        ; implicit-def: $vgpr2
.LBB6_6579:                             ;   in Loop: Header=BB6_5693 Depth=2
	s_and_not1_saveexec_b32 s10, s11
	s_cbranch_execz .LBB6_6585
; %bb.6580:                             ;   in Loop: Header=BB6_5693 Depth=2
	s_mov_b32 s11, exec_lo
                                        ; implicit-def: $vgpr112
	v_cmpx_ne_u64_e32 0, v[0:1]
	s_xor_b32 s11, exec_lo, s11
; %bb.6581:                             ;   in Loop: Header=BB6_5693 Depth=2
	v_lshrrev_b32_e32 v0, 24, v2
                                        ; implicit-def: $vgpr2
	s_delay_alu instid0(VALU_DEP_1)
	v_or_b32_e32 v112, 0x7f, v0
; %bb.6582:                             ;   in Loop: Header=BB6_5693 Depth=2
	s_and_not1_saveexec_b32 s11, s11
; %bb.6583:                             ;   in Loop: Header=BB6_5693 Depth=2
	v_cmp_lt_i32_e32 vcc_lo, -1, v2
	v_cndmask_b32_e64 v112, -4, 0x7c, vcc_lo
; %bb.6584:                             ;   in Loop: Header=BB6_5693 Depth=2
	s_or_b32 exec_lo, exec_lo, s11
.LBB6_6585:                             ;   in Loop: Header=BB6_5693 Depth=2
	s_delay_alu instid0(SALU_CYCLE_1)
	s_or_b32 exec_lo, exec_lo, s10
	flat_load_i8 v2, v[10:11] offset:832 th:TH_LOAD_NT
	v_mov_b32_e32 v3, 0
	s_mov_b32 s10, exec_lo
	s_wait_loadcnt_dscnt 0x0
	v_cmpx_ne_u16_e32 0, v2
	s_cbranch_execz .LBB6_6595
; %bb.6586:                             ;   in Loop: Header=BB6_5693 Depth=2
	v_bfrev_b32_e32 v3, 1
	s_mov_b32 s11, exec_lo
	v_cmpx_ne_u16_e32 0xff80, v2
	s_cbranch_execz .LBB6_6594
; %bb.6587:                             ;   in Loop: Header=BB6_5693 Depth=2
	v_and_b32_e32 v3, 0x7c, v2
	v_and_b32_e32 v0, 3, v2
	s_delay_alu instid0(VALU_DEP_2) | instskip(SKIP_1) | instid1(SALU_CYCLE_1)
	v_cmp_ne_u32_e32 vcc_lo, 0x7c, v3
                                        ; implicit-def: $vgpr3
	s_and_saveexec_b32 s29, vcc_lo
	s_xor_b32 s29, exec_lo, s29
	s_cbranch_execz .LBB6_6591
; %bb.6588:                             ;   in Loop: Header=BB6_5693 Depth=2
	v_and_b32_e32 v3, 0xff, v2
	s_mov_b32 s40, exec_lo
	s_delay_alu instid0(VALU_DEP_1) | instskip(NEXT) | instid1(VALU_DEP_1)
	v_bfe_u32 v3, v3, 2, 5
	v_cmpx_eq_u32_e32 0, v3
	s_cbranch_execz .LBB6_6590
; %bb.6589:                             ;   in Loop: Header=BB6_5693 Depth=2
	v_clz_i32_u32_e32 v0, v0
	v_mov_b32_e32 v3, v1
	s_delay_alu instid0(VALU_DEP_2) | instskip(NEXT) | instid1(VALU_DEP_1)
	v_min_u32_e32 v0, 32, v0
	v_subrev_nc_u32_e32 v4, 29, v0
	s_delay_alu instid0(VALU_DEP_1) | instskip(SKIP_1) | instid1(VALU_DEP_2)
	v_lshlrev_b64_e32 v[4:5], v4, v[2:3]
	v_sub_nc_u32_e32 v3, 30, v0
	v_and_b32_e32 v0, 3, v4
.LBB6_6590:                             ;   in Loop: Header=BB6_5693 Depth=2
	s_or_b32 exec_lo, exec_lo, s40
	v_bfe_i32 v2, v2, 0, 16
	s_delay_alu instid0(VALU_DEP_1) | instskip(NEXT) | instid1(VALU_DEP_1)
	v_and_b32_e32 v2, 0x80000000, v2
	v_lshl_add_u32 v2, v3, 23, v2
	s_delay_alu instid0(VALU_DEP_1) | instskip(NEXT) | instid1(VALU_DEP_1)
	v_lshl_or_b32 v0, v0, 21, v2
                                        ; implicit-def: $vgpr2
	v_add_nc_u32_e32 v3, 0x38000000, v0
                                        ; implicit-def: $vgpr0
.LBB6_6591:                             ;   in Loop: Header=BB6_5693 Depth=2
	s_and_not1_saveexec_b32 s29, s29
; %bb.6592:                             ;   in Loop: Header=BB6_5693 Depth=2
	v_cmp_lt_i16_e32 vcc_lo, -1, v2
	v_mov_b32_e32 v2, 0x7f800000
	s_delay_alu instid0(VALU_DEP_1) | instskip(SKIP_1) | instid1(VALU_DEP_2)
	v_cndmask_b32_e32 v2, 0xff800000, v2, vcc_lo
	v_cmp_eq_u32_e32 vcc_lo, 0, v0
	v_cndmask_b32_e32 v3, 0x7f800001, v2, vcc_lo
; %bb.6593:                             ;   in Loop: Header=BB6_5693 Depth=2
	s_or_b32 exec_lo, exec_lo, s29
.LBB6_6594:                             ;   in Loop: Header=BB6_5693 Depth=2
	s_delay_alu instid0(SALU_CYCLE_1)
	s_or_b32 exec_lo, exec_lo, s11
.LBB6_6595:                             ;   in Loop: Header=BB6_5693 Depth=2
	s_delay_alu instid0(SALU_CYCLE_1) | instskip(NEXT) | instid1(VALU_DEP_1)
	s_or_b32 exec_lo, exec_lo, s10
	v_dual_mul_f32 v2, s28, v3 :: v_dual_mov_b32 v5, v1
	s_delay_alu instid0(VALU_DEP_1) | instskip(SKIP_1) | instid1(VALU_DEP_2)
	v_and_b32_e32 v4, 0x7f800000, v2
	v_and_b32_e32 v0, 0x7fffff, v2
	v_cmp_ne_u64_e32 vcc_lo, 0x7f800000, v[4:5]
                                        ; implicit-def: $vgpr4
	scratch_store_b64 off, v[4:5], s33 offset:268 ; 8-byte Folded Spill
	s_wait_xcnt 0x0
	s_and_saveexec_b32 s10, vcc_lo
	s_delay_alu instid0(SALU_CYCLE_1)
	s_xor_b32 s11, exec_lo, s10
	s_cbranch_execz .LBB6_6613
; %bb.6596:                             ;   in Loop: Header=BB6_5693 Depth=2
	v_and_b32_e32 v4, 0x7fffffff, v2
	v_dual_mov_b32 v5, v1 :: v_dual_lshrrev_b32 v3, 24, v2
	s_delay_alu instid0(VALU_DEP_1) | instskip(NEXT) | instid1(VALU_DEP_2)
	v_cmp_gt_u64_e32 vcc_lo, 0x47600001, v[4:5]
	v_and_b32_e32 v6, 0x80, v3
                                        ; implicit-def: $vgpr4
	scratch_store_b64 off, v[4:5], s33 offset:268 ; 8-byte Folded Spill
	s_wait_xcnt 0x0
	s_and_saveexec_b32 s10, vcc_lo
	s_delay_alu instid0(SALU_CYCLE_1)
	s_xor_b32 s29, exec_lo, s10
	s_cbranch_execz .LBB6_6610
; %bb.6597:                             ;   in Loop: Header=BB6_5693 Depth=2
	v_mov_b32_e32 v4, 0
	s_mov_b32 s40, exec_lo
	scratch_store_b64 off, v[4:5], s33 offset:268 ; 8-byte Folded Spill
	s_wait_xcnt 0x0
	v_cmpx_ne_u32_e32 0, v2
	s_cbranch_execz .LBB6_6609
; %bb.6598:                             ;   in Loop: Header=BB6_5693 Depth=2
	v_bfe_u32 v7, v2, 23, 8
	v_or_b32_e32 v4, 0x800000, v0
	s_mov_b32 s41, exec_lo
	s_delay_alu instid0(VALU_DEP_2) | instskip(SKIP_1) | instid1(VALU_DEP_2)
	v_dual_mov_b32 v5, v1 :: v_dual_sub_nc_u32 v2, 0x71, v7
	v_cmp_gt_u32_e32 vcc_lo, 0x72, v7
	v_cndmask_b32_e32 v2, 0, v2, vcc_lo
	v_cmp_eq_u32_e32 vcc_lo, 0, v7
	s_delay_alu instid0(VALU_DEP_2) | instskip(SKIP_1) | instid1(VALU_DEP_2)
	v_cndmask_b32_e64 v8, v2, 0x70, vcc_lo
	v_cndmask_b32_e32 v4, v4, v0, vcc_lo
	v_dual_add_nc_u32 v2, 21, v8 :: v_dual_add_nc_u32 v9, 20, v8
	s_delay_alu instid0(VALU_DEP_1) | instskip(NEXT) | instid1(VALU_DEP_2)
	v_lshlrev_b64_e64 v[2:3], v2, -1
	v_lshlrev_b64_e64 v[16:17], v9, 1
	s_delay_alu instid0(VALU_DEP_2) | instskip(NEXT) | instid1(VALU_DEP_3)
	v_bfi_b32 v19, v3, 0, 0
	v_bfi_b32 v18, v2, 0, v4
	v_lshrrev_b64 v[2:3], v8, v[4:5]
	s_delay_alu instid0(VALU_DEP_1) | instskip(NEXT) | instid1(VALU_DEP_3)
	v_mov_b64_e32 v[4:5], v[2:3]
	v_cmpx_eq_u64_e64 v[18:19], v[16:17]
; %bb.6599:                             ;   in Loop: Header=BB6_5693 Depth=2
	v_bfe_u32 v4, v2, 21, 1
	v_mov_b32_e32 v5, v1
	s_delay_alu instid0(VALU_DEP_1) | instskip(NEXT) | instid1(VALU_DEP_1)
	v_add_nc_u64_e32 v[4:5], v[2:3], v[4:5]
	v_add_nc_u64_e32 v[4:5], -1, v[4:5]
; %bb.6600:                             ;   in Loop: Header=BB6_5693 Depth=2
	s_or_b32 exec_lo, exec_lo, s41
	v_add_nc_u32_e32 v0, 0xffffff81, v7
	s_delay_alu instid0(VALU_DEP_2) | instskip(SKIP_2) | instid1(VALU_DEP_3)
	v_and_b32_e32 v4, 0x1fffff, v4
	v_lshrrev_b32_e32 v3, 23, v2
	s_mov_b32 s10, exec_lo
	v_cndmask_b32_e64 v0, v0, 0xffffff82, vcc_lo
	s_delay_alu instid0(VALU_DEP_1) | instskip(SKIP_1) | instid1(VALU_DEP_2)
	v_add3_u32 v5, v8, v0, v3
	v_add_nc_u32_e32 v0, v4, v2
                                        ; implicit-def: $vgpr2_vgpr3
                                        ; implicit-def: $vgpr4
	v_add_nc_u32_e32 v7, 14, v5
	s_delay_alu instid0(VALU_DEP_1)
	v_cmpx_ne_u32_e32 0, v7
	s_xor_b32 s10, exec_lo, s10
; %bb.6601:                             ;   in Loop: Header=BB6_5693 Depth=2
	s_delay_alu instid0(VALU_DEP_3) | instskip(SKIP_1) | instid1(VALU_DEP_1)
	v_cmp_lt_u64_e32 vcc_lo, 0xffffff, v[0:1]
	v_add_nc_u32_e32 v2, 15, v5
	v_cndmask_b32_e32 v4, v7, v2, vcc_lo
	v_cndmask_b32_e64 v2, 0, 1, vcc_lo
	s_delay_alu instid0(VALU_DEP_1)
	v_lshrrev_b64 v[2:3], v2, v[0:1]
; %bb.6602:                             ;   in Loop: Header=BB6_5693 Depth=2
	s_and_not1_saveexec_b32 s10, s10
; %bb.6603:                             ;   in Loop: Header=BB6_5693 Depth=2
	v_mov_b64_e32 v[2:3], v[0:1]
	v_bfe_u32 v4, v0, 23, 1
; %bb.6604:                             ;   in Loop: Header=BB6_5693 Depth=2
	s_or_b32 exec_lo, exec_lo, s10
	s_delay_alu instid0(VALU_DEP_2) | instskip(NEXT) | instid1(VALU_DEP_2)
	v_lshrrev_b64 v[2:3], 21, v[2:3]
	v_cmp_gt_i32_e32 vcc_lo, 32, v4
	v_cmp_ne_u32_e64 s10, 0, v4
                                        ; implicit-def: $vgpr0
	scratch_store_b64 off, v[0:1], s33 offset:268 ; 8-byte Folded Spill
	v_dual_cndmask_b32 v3, 0, v3 :: v_dual_cndmask_b32 v2, 3, v2
	s_delay_alu instid0(VALU_DEP_1) | instskip(SKIP_3) | instid1(SALU_CYCLE_1)
	v_cmp_ne_u64_e32 vcc_lo, 0, v[2:3]
	s_or_b32 s10, s10, vcc_lo
	s_wait_xcnt 0x0
	s_and_saveexec_b32 s41, s10
	s_xor_b32 s10, exec_lo, s41
	s_cbranch_execz .LBB6_6606
; %bb.6605:                             ;   in Loop: Header=BB6_5693 Depth=2
	v_min_i32_e32 v0, 31, v4
	s_delay_alu instid0(VALU_DEP_1) | instskip(NEXT) | instid1(VALU_DEP_1)
	v_lshl_or_b32 v0, v0, 2, v6
                                        ; implicit-def: $vgpr6
	v_and_or_b32 v0, v2, 3, v0
	scratch_store_b64 off, v[0:1], s33 offset:268 ; 8-byte Folded Spill
.LBB6_6606:                             ;   in Loop: Header=BB6_5693 Depth=2
	s_wait_xcnt 0x0
	s_and_not1_saveexec_b32 s10, s10
	s_cbranch_execz .LBB6_6608
; %bb.6607:                             ;   in Loop: Header=BB6_5693 Depth=2
	v_mov_b32_e32 v0, v6
	scratch_store_b64 off, v[0:1], s33 offset:268 ; 8-byte Folded Spill
.LBB6_6608:                             ;   in Loop: Header=BB6_5693 Depth=2
	s_wait_xcnt 0x0
	s_or_b32 exec_lo, exec_lo, s10
.LBB6_6609:                             ;   in Loop: Header=BB6_5693 Depth=2
	s_delay_alu instid0(SALU_CYCLE_1)
	s_or_b32 exec_lo, exec_lo, s40
                                        ; implicit-def: $vgpr6
.LBB6_6610:                             ;   in Loop: Header=BB6_5693 Depth=2
	s_and_not1_saveexec_b32 s10, s29
	s_cbranch_execz .LBB6_6612
; %bb.6611:                             ;   in Loop: Header=BB6_5693 Depth=2
	v_or_b32_e32 v0, 0x7b, v6
	scratch_store_b64 off, v[0:1], s33 offset:268 ; 8-byte Folded Spill
.LBB6_6612:                             ;   in Loop: Header=BB6_5693 Depth=2
	s_wait_xcnt 0x0
	s_or_b32 exec_lo, exec_lo, s10
                                        ; implicit-def: $vgpr2
.LBB6_6613:                             ;   in Loop: Header=BB6_5693 Depth=2
	s_and_not1_saveexec_b32 s10, s11
	s_cbranch_execz .LBB6_6619
; %bb.6614:                             ;   in Loop: Header=BB6_5693 Depth=2
	v_cmp_ne_u64_e32 vcc_lo, 0, v[0:1]
                                        ; implicit-def: $vgpr0
	scratch_store_b64 off, v[0:1], s33 offset:268 ; 8-byte Folded Spill
	s_wait_xcnt 0x0
	s_and_saveexec_b32 s11, vcc_lo
	s_delay_alu instid0(SALU_CYCLE_1)
	s_xor_b32 s11, exec_lo, s11
	s_cbranch_execz .LBB6_6616
; %bb.6615:                             ;   in Loop: Header=BB6_5693 Depth=2
	v_lshrrev_b32_e32 v0, 24, v2
                                        ; implicit-def: $vgpr2
	s_delay_alu instid0(VALU_DEP_1)
	v_or_b32_e32 v0, 0x7f, v0
	scratch_store_b64 off, v[0:1], s33 offset:268 ; 8-byte Folded Spill
.LBB6_6616:                             ;   in Loop: Header=BB6_5693 Depth=2
	s_wait_xcnt 0x0
	s_and_not1_saveexec_b32 s11, s11
	s_cbranch_execz .LBB6_6618
; %bb.6617:                             ;   in Loop: Header=BB6_5693 Depth=2
	v_cmp_lt_i32_e32 vcc_lo, -1, v2
	v_cndmask_b32_e64 v0, -4, 0x7c, vcc_lo
	scratch_store_b64 off, v[0:1], s33 offset:268 ; 8-byte Folded Spill
.LBB6_6618:                             ;   in Loop: Header=BB6_5693 Depth=2
	s_wait_xcnt 0x0
	s_or_b32 exec_lo, exec_lo, s11
.LBB6_6619:                             ;   in Loop: Header=BB6_5693 Depth=2
	s_delay_alu instid0(SALU_CYCLE_1)
	s_or_b32 exec_lo, exec_lo, s10
	flat_load_i8 v2, v[10:11] offset:864 th:TH_LOAD_NT
	v_mov_b32_e32 v3, 0
	s_mov_b32 s10, exec_lo
	s_wait_loadcnt_dscnt 0x0
	v_cmpx_ne_u16_e32 0, v2
	s_cbranch_execz .LBB6_6629
; %bb.6620:                             ;   in Loop: Header=BB6_5693 Depth=2
	v_bfrev_b32_e32 v3, 1
	s_mov_b32 s11, exec_lo
	v_cmpx_ne_u16_e32 0xff80, v2
	s_cbranch_execz .LBB6_6628
; %bb.6621:                             ;   in Loop: Header=BB6_5693 Depth=2
	v_and_b32_e32 v3, 0x7c, v2
	v_and_b32_e32 v0, 3, v2
	s_delay_alu instid0(VALU_DEP_2) | instskip(SKIP_1) | instid1(SALU_CYCLE_1)
	v_cmp_ne_u32_e32 vcc_lo, 0x7c, v3
                                        ; implicit-def: $vgpr3
	s_and_saveexec_b32 s29, vcc_lo
	s_xor_b32 s29, exec_lo, s29
	s_cbranch_execz .LBB6_6625
; %bb.6622:                             ;   in Loop: Header=BB6_5693 Depth=2
	v_and_b32_e32 v3, 0xff, v2
	s_mov_b32 s40, exec_lo
	s_delay_alu instid0(VALU_DEP_1) | instskip(NEXT) | instid1(VALU_DEP_1)
	v_bfe_u32 v3, v3, 2, 5
	v_cmpx_eq_u32_e32 0, v3
	s_cbranch_execz .LBB6_6624
; %bb.6623:                             ;   in Loop: Header=BB6_5693 Depth=2
	v_clz_i32_u32_e32 v0, v0
	v_mov_b32_e32 v3, v1
	s_delay_alu instid0(VALU_DEP_2) | instskip(NEXT) | instid1(VALU_DEP_1)
	v_min_u32_e32 v0, 32, v0
	v_subrev_nc_u32_e32 v4, 29, v0
	s_delay_alu instid0(VALU_DEP_1) | instskip(SKIP_1) | instid1(VALU_DEP_2)
	v_lshlrev_b64_e32 v[4:5], v4, v[2:3]
	v_sub_nc_u32_e32 v3, 30, v0
	v_and_b32_e32 v0, 3, v4
.LBB6_6624:                             ;   in Loop: Header=BB6_5693 Depth=2
	s_or_b32 exec_lo, exec_lo, s40
	v_bfe_i32 v2, v2, 0, 16
	s_delay_alu instid0(VALU_DEP_1) | instskip(NEXT) | instid1(VALU_DEP_1)
	v_and_b32_e32 v2, 0x80000000, v2
	v_lshl_add_u32 v2, v3, 23, v2
	s_delay_alu instid0(VALU_DEP_1) | instskip(NEXT) | instid1(VALU_DEP_1)
	v_lshl_or_b32 v0, v0, 21, v2
                                        ; implicit-def: $vgpr2
	v_add_nc_u32_e32 v3, 0x38000000, v0
                                        ; implicit-def: $vgpr0
.LBB6_6625:                             ;   in Loop: Header=BB6_5693 Depth=2
	s_and_not1_saveexec_b32 s29, s29
; %bb.6626:                             ;   in Loop: Header=BB6_5693 Depth=2
	v_cmp_lt_i16_e32 vcc_lo, -1, v2
	v_mov_b32_e32 v2, 0x7f800000
	s_delay_alu instid0(VALU_DEP_1) | instskip(SKIP_1) | instid1(VALU_DEP_2)
	v_cndmask_b32_e32 v2, 0xff800000, v2, vcc_lo
	v_cmp_eq_u32_e32 vcc_lo, 0, v0
	v_cndmask_b32_e32 v3, 0x7f800001, v2, vcc_lo
; %bb.6627:                             ;   in Loop: Header=BB6_5693 Depth=2
	s_or_b32 exec_lo, exec_lo, s29
.LBB6_6628:                             ;   in Loop: Header=BB6_5693 Depth=2
	s_delay_alu instid0(SALU_CYCLE_1)
	s_or_b32 exec_lo, exec_lo, s11
.LBB6_6629:                             ;   in Loop: Header=BB6_5693 Depth=2
	s_delay_alu instid0(SALU_CYCLE_1) | instskip(NEXT) | instid1(VALU_DEP_1)
	s_or_b32 exec_lo, exec_lo, s10
	v_dual_mul_f32 v2, s28, v3 :: v_dual_mov_b32 v5, v1
	s_delay_alu instid0(VALU_DEP_1) | instskip(SKIP_1) | instid1(VALU_DEP_2)
	v_and_b32_e32 v4, 0x7f800000, v2
	v_and_b32_e32 v0, 0x7fffff, v2
	v_cmp_ne_u64_e32 vcc_lo, 0x7f800000, v[4:5]
                                        ; implicit-def: $vgpr4
	scratch_store_b64 off, v[4:5], s33 offset:260 ; 8-byte Folded Spill
	s_wait_xcnt 0x0
	s_and_saveexec_b32 s10, vcc_lo
	s_delay_alu instid0(SALU_CYCLE_1)
	s_xor_b32 s11, exec_lo, s10
	s_cbranch_execz .LBB6_6647
; %bb.6630:                             ;   in Loop: Header=BB6_5693 Depth=2
	v_and_b32_e32 v4, 0x7fffffff, v2
	v_dual_mov_b32 v5, v1 :: v_dual_lshrrev_b32 v3, 24, v2
	s_delay_alu instid0(VALU_DEP_1) | instskip(NEXT) | instid1(VALU_DEP_2)
	v_cmp_gt_u64_e32 vcc_lo, 0x47600001, v[4:5]
	v_and_b32_e32 v6, 0x80, v3
                                        ; implicit-def: $vgpr4
	scratch_store_b64 off, v[4:5], s33 offset:260 ; 8-byte Folded Spill
	s_wait_xcnt 0x0
	s_and_saveexec_b32 s10, vcc_lo
	s_delay_alu instid0(SALU_CYCLE_1)
	s_xor_b32 s29, exec_lo, s10
	s_cbranch_execz .LBB6_6644
; %bb.6631:                             ;   in Loop: Header=BB6_5693 Depth=2
	v_mov_b32_e32 v4, 0
	s_mov_b32 s40, exec_lo
	scratch_store_b64 off, v[4:5], s33 offset:260 ; 8-byte Folded Spill
	s_wait_xcnt 0x0
	v_cmpx_ne_u32_e32 0, v2
	s_cbranch_execz .LBB6_6643
; %bb.6632:                             ;   in Loop: Header=BB6_5693 Depth=2
	v_bfe_u32 v7, v2, 23, 8
	v_or_b32_e32 v4, 0x800000, v0
	s_mov_b32 s41, exec_lo
	s_delay_alu instid0(VALU_DEP_2) | instskip(SKIP_1) | instid1(VALU_DEP_2)
	v_dual_mov_b32 v5, v1 :: v_dual_sub_nc_u32 v2, 0x71, v7
	v_cmp_gt_u32_e32 vcc_lo, 0x72, v7
	v_cndmask_b32_e32 v2, 0, v2, vcc_lo
	v_cmp_eq_u32_e32 vcc_lo, 0, v7
	s_delay_alu instid0(VALU_DEP_2) | instskip(SKIP_1) | instid1(VALU_DEP_2)
	v_cndmask_b32_e64 v8, v2, 0x70, vcc_lo
	v_cndmask_b32_e32 v4, v4, v0, vcc_lo
	v_dual_add_nc_u32 v2, 21, v8 :: v_dual_add_nc_u32 v9, 20, v8
	s_delay_alu instid0(VALU_DEP_1) | instskip(NEXT) | instid1(VALU_DEP_2)
	v_lshlrev_b64_e64 v[2:3], v2, -1
	v_lshlrev_b64_e64 v[16:17], v9, 1
	s_delay_alu instid0(VALU_DEP_2) | instskip(NEXT) | instid1(VALU_DEP_3)
	v_bfi_b32 v19, v3, 0, 0
	v_bfi_b32 v18, v2, 0, v4
	v_lshrrev_b64 v[2:3], v8, v[4:5]
	s_delay_alu instid0(VALU_DEP_1) | instskip(NEXT) | instid1(VALU_DEP_3)
	v_mov_b64_e32 v[4:5], v[2:3]
	v_cmpx_eq_u64_e64 v[18:19], v[16:17]
; %bb.6633:                             ;   in Loop: Header=BB6_5693 Depth=2
	v_bfe_u32 v4, v2, 21, 1
	v_mov_b32_e32 v5, v1
	s_delay_alu instid0(VALU_DEP_1) | instskip(NEXT) | instid1(VALU_DEP_1)
	v_add_nc_u64_e32 v[4:5], v[2:3], v[4:5]
	v_add_nc_u64_e32 v[4:5], -1, v[4:5]
; %bb.6634:                             ;   in Loop: Header=BB6_5693 Depth=2
	s_or_b32 exec_lo, exec_lo, s41
	v_add_nc_u32_e32 v0, 0xffffff81, v7
	s_delay_alu instid0(VALU_DEP_2) | instskip(SKIP_2) | instid1(VALU_DEP_3)
	v_and_b32_e32 v4, 0x1fffff, v4
	v_lshrrev_b32_e32 v3, 23, v2
	s_mov_b32 s10, exec_lo
	v_cndmask_b32_e64 v0, v0, 0xffffff82, vcc_lo
	s_delay_alu instid0(VALU_DEP_1) | instskip(SKIP_1) | instid1(VALU_DEP_2)
	v_add3_u32 v5, v8, v0, v3
	v_add_nc_u32_e32 v0, v4, v2
                                        ; implicit-def: $vgpr2_vgpr3
                                        ; implicit-def: $vgpr4
	v_add_nc_u32_e32 v7, 14, v5
	s_delay_alu instid0(VALU_DEP_1)
	v_cmpx_ne_u32_e32 0, v7
	s_xor_b32 s10, exec_lo, s10
; %bb.6635:                             ;   in Loop: Header=BB6_5693 Depth=2
	s_delay_alu instid0(VALU_DEP_3) | instskip(SKIP_1) | instid1(VALU_DEP_1)
	v_cmp_lt_u64_e32 vcc_lo, 0xffffff, v[0:1]
	v_add_nc_u32_e32 v2, 15, v5
	v_cndmask_b32_e32 v4, v7, v2, vcc_lo
	v_cndmask_b32_e64 v2, 0, 1, vcc_lo
	s_delay_alu instid0(VALU_DEP_1)
	v_lshrrev_b64 v[2:3], v2, v[0:1]
; %bb.6636:                             ;   in Loop: Header=BB6_5693 Depth=2
	s_and_not1_saveexec_b32 s10, s10
; %bb.6637:                             ;   in Loop: Header=BB6_5693 Depth=2
	v_mov_b64_e32 v[2:3], v[0:1]
	v_bfe_u32 v4, v0, 23, 1
; %bb.6638:                             ;   in Loop: Header=BB6_5693 Depth=2
	s_or_b32 exec_lo, exec_lo, s10
	s_delay_alu instid0(VALU_DEP_2) | instskip(NEXT) | instid1(VALU_DEP_2)
	v_lshrrev_b64 v[2:3], 21, v[2:3]
	v_cmp_gt_i32_e32 vcc_lo, 32, v4
	v_cmp_ne_u32_e64 s10, 0, v4
                                        ; implicit-def: $vgpr0
	scratch_store_b64 off, v[0:1], s33 offset:260 ; 8-byte Folded Spill
	v_dual_cndmask_b32 v3, 0, v3 :: v_dual_cndmask_b32 v2, 3, v2
	s_delay_alu instid0(VALU_DEP_1) | instskip(SKIP_3) | instid1(SALU_CYCLE_1)
	v_cmp_ne_u64_e32 vcc_lo, 0, v[2:3]
	s_or_b32 s10, s10, vcc_lo
	s_wait_xcnt 0x0
	s_and_saveexec_b32 s41, s10
	s_xor_b32 s10, exec_lo, s41
	s_cbranch_execz .LBB6_6640
; %bb.6639:                             ;   in Loop: Header=BB6_5693 Depth=2
	v_min_i32_e32 v0, 31, v4
	s_delay_alu instid0(VALU_DEP_1) | instskip(NEXT) | instid1(VALU_DEP_1)
	v_lshl_or_b32 v0, v0, 2, v6
                                        ; implicit-def: $vgpr6
	v_and_or_b32 v0, v2, 3, v0
	scratch_store_b64 off, v[0:1], s33 offset:260 ; 8-byte Folded Spill
.LBB6_6640:                             ;   in Loop: Header=BB6_5693 Depth=2
	s_wait_xcnt 0x0
	s_and_not1_saveexec_b32 s10, s10
	s_cbranch_execz .LBB6_6642
; %bb.6641:                             ;   in Loop: Header=BB6_5693 Depth=2
	v_mov_b32_e32 v0, v6
	scratch_store_b64 off, v[0:1], s33 offset:260 ; 8-byte Folded Spill
.LBB6_6642:                             ;   in Loop: Header=BB6_5693 Depth=2
	s_wait_xcnt 0x0
	s_or_b32 exec_lo, exec_lo, s10
.LBB6_6643:                             ;   in Loop: Header=BB6_5693 Depth=2
	s_delay_alu instid0(SALU_CYCLE_1)
	s_or_b32 exec_lo, exec_lo, s40
                                        ; implicit-def: $vgpr6
.LBB6_6644:                             ;   in Loop: Header=BB6_5693 Depth=2
	s_and_not1_saveexec_b32 s10, s29
	s_cbranch_execz .LBB6_6646
; %bb.6645:                             ;   in Loop: Header=BB6_5693 Depth=2
	v_or_b32_e32 v0, 0x7b, v6
	scratch_store_b64 off, v[0:1], s33 offset:260 ; 8-byte Folded Spill
.LBB6_6646:                             ;   in Loop: Header=BB6_5693 Depth=2
	s_wait_xcnt 0x0
	s_or_b32 exec_lo, exec_lo, s10
                                        ; implicit-def: $vgpr2
.LBB6_6647:                             ;   in Loop: Header=BB6_5693 Depth=2
	s_and_not1_saveexec_b32 s10, s11
	s_cbranch_execz .LBB6_6653
; %bb.6648:                             ;   in Loop: Header=BB6_5693 Depth=2
	v_cmp_ne_u64_e32 vcc_lo, 0, v[0:1]
                                        ; implicit-def: $vgpr0
	scratch_store_b64 off, v[0:1], s33 offset:260 ; 8-byte Folded Spill
	s_wait_xcnt 0x0
	s_and_saveexec_b32 s11, vcc_lo
	s_delay_alu instid0(SALU_CYCLE_1)
	s_xor_b32 s11, exec_lo, s11
	s_cbranch_execz .LBB6_6650
; %bb.6649:                             ;   in Loop: Header=BB6_5693 Depth=2
	v_lshrrev_b32_e32 v0, 24, v2
                                        ; implicit-def: $vgpr2
	s_delay_alu instid0(VALU_DEP_1)
	v_or_b32_e32 v0, 0x7f, v0
	scratch_store_b64 off, v[0:1], s33 offset:260 ; 8-byte Folded Spill
.LBB6_6650:                             ;   in Loop: Header=BB6_5693 Depth=2
	s_wait_xcnt 0x0
	s_and_not1_saveexec_b32 s11, s11
	s_cbranch_execz .LBB6_6652
; %bb.6651:                             ;   in Loop: Header=BB6_5693 Depth=2
	v_cmp_lt_i32_e32 vcc_lo, -1, v2
	v_cndmask_b32_e64 v0, -4, 0x7c, vcc_lo
	scratch_store_b64 off, v[0:1], s33 offset:260 ; 8-byte Folded Spill
.LBB6_6652:                             ;   in Loop: Header=BB6_5693 Depth=2
	s_wait_xcnt 0x0
	s_or_b32 exec_lo, exec_lo, s11
.LBB6_6653:                             ;   in Loop: Header=BB6_5693 Depth=2
	s_delay_alu instid0(SALU_CYCLE_1)
	s_or_b32 exec_lo, exec_lo, s10
	flat_load_i8 v2, v[10:11] offset:896 th:TH_LOAD_NT
	v_mov_b32_e32 v3, 0
	s_mov_b32 s10, exec_lo
	s_wait_loadcnt_dscnt 0x0
	v_cmpx_ne_u16_e32 0, v2
	s_cbranch_execz .LBB6_6663
; %bb.6654:                             ;   in Loop: Header=BB6_5693 Depth=2
	v_bfrev_b32_e32 v3, 1
	s_mov_b32 s11, exec_lo
	v_cmpx_ne_u16_e32 0xff80, v2
	s_cbranch_execz .LBB6_6662
; %bb.6655:                             ;   in Loop: Header=BB6_5693 Depth=2
	v_and_b32_e32 v3, 0x7c, v2
	v_and_b32_e32 v0, 3, v2
	s_delay_alu instid0(VALU_DEP_2) | instskip(SKIP_1) | instid1(SALU_CYCLE_1)
	v_cmp_ne_u32_e32 vcc_lo, 0x7c, v3
                                        ; implicit-def: $vgpr3
	s_and_saveexec_b32 s29, vcc_lo
	s_xor_b32 s29, exec_lo, s29
	s_cbranch_execz .LBB6_6659
; %bb.6656:                             ;   in Loop: Header=BB6_5693 Depth=2
	v_and_b32_e32 v3, 0xff, v2
	s_mov_b32 s40, exec_lo
	s_delay_alu instid0(VALU_DEP_1) | instskip(NEXT) | instid1(VALU_DEP_1)
	v_bfe_u32 v3, v3, 2, 5
	v_cmpx_eq_u32_e32 0, v3
	s_cbranch_execz .LBB6_6658
; %bb.6657:                             ;   in Loop: Header=BB6_5693 Depth=2
	v_clz_i32_u32_e32 v0, v0
	v_mov_b32_e32 v3, v1
	s_delay_alu instid0(VALU_DEP_2) | instskip(NEXT) | instid1(VALU_DEP_1)
	v_min_u32_e32 v0, 32, v0
	v_subrev_nc_u32_e32 v4, 29, v0
	s_delay_alu instid0(VALU_DEP_1) | instskip(SKIP_1) | instid1(VALU_DEP_2)
	v_lshlrev_b64_e32 v[4:5], v4, v[2:3]
	v_sub_nc_u32_e32 v3, 30, v0
	v_and_b32_e32 v0, 3, v4
.LBB6_6658:                             ;   in Loop: Header=BB6_5693 Depth=2
	s_or_b32 exec_lo, exec_lo, s40
	v_bfe_i32 v2, v2, 0, 16
	s_delay_alu instid0(VALU_DEP_1) | instskip(NEXT) | instid1(VALU_DEP_1)
	v_and_b32_e32 v2, 0x80000000, v2
	v_lshl_add_u32 v2, v3, 23, v2
	s_delay_alu instid0(VALU_DEP_1) | instskip(NEXT) | instid1(VALU_DEP_1)
	v_lshl_or_b32 v0, v0, 21, v2
                                        ; implicit-def: $vgpr2
	v_add_nc_u32_e32 v3, 0x38000000, v0
                                        ; implicit-def: $vgpr0
.LBB6_6659:                             ;   in Loop: Header=BB6_5693 Depth=2
	s_and_not1_saveexec_b32 s29, s29
; %bb.6660:                             ;   in Loop: Header=BB6_5693 Depth=2
	v_cmp_lt_i16_e32 vcc_lo, -1, v2
	v_mov_b32_e32 v2, 0x7f800000
	s_delay_alu instid0(VALU_DEP_1) | instskip(SKIP_1) | instid1(VALU_DEP_2)
	v_cndmask_b32_e32 v2, 0xff800000, v2, vcc_lo
	v_cmp_eq_u32_e32 vcc_lo, 0, v0
	v_cndmask_b32_e32 v3, 0x7f800001, v2, vcc_lo
; %bb.6661:                             ;   in Loop: Header=BB6_5693 Depth=2
	s_or_b32 exec_lo, exec_lo, s29
.LBB6_6662:                             ;   in Loop: Header=BB6_5693 Depth=2
	s_delay_alu instid0(SALU_CYCLE_1)
	s_or_b32 exec_lo, exec_lo, s11
.LBB6_6663:                             ;   in Loop: Header=BB6_5693 Depth=2
	s_delay_alu instid0(SALU_CYCLE_1) | instskip(NEXT) | instid1(VALU_DEP_1)
	s_or_b32 exec_lo, exec_lo, s10
	v_dual_mul_f32 v2, s28, v3 :: v_dual_mov_b32 v5, v1
	s_delay_alu instid0(VALU_DEP_1) | instskip(SKIP_1) | instid1(VALU_DEP_2)
	v_and_b32_e32 v4, 0x7f800000, v2
	v_and_b32_e32 v0, 0x7fffff, v2
	v_cmp_ne_u64_e32 vcc_lo, 0x7f800000, v[4:5]
                                        ; implicit-def: $vgpr4
	scratch_store_b64 off, v[4:5], s33 offset:252 ; 8-byte Folded Spill
	s_wait_xcnt 0x0
	s_and_saveexec_b32 s10, vcc_lo
	s_delay_alu instid0(SALU_CYCLE_1)
	s_xor_b32 s11, exec_lo, s10
	s_cbranch_execz .LBB6_6681
; %bb.6664:                             ;   in Loop: Header=BB6_5693 Depth=2
	v_and_b32_e32 v4, 0x7fffffff, v2
	v_dual_mov_b32 v5, v1 :: v_dual_lshrrev_b32 v3, 24, v2
	s_delay_alu instid0(VALU_DEP_1) | instskip(NEXT) | instid1(VALU_DEP_2)
	v_cmp_gt_u64_e32 vcc_lo, 0x47600001, v[4:5]
	v_and_b32_e32 v6, 0x80, v3
                                        ; implicit-def: $vgpr4
	scratch_store_b64 off, v[4:5], s33 offset:252 ; 8-byte Folded Spill
	s_wait_xcnt 0x0
	s_and_saveexec_b32 s10, vcc_lo
	s_delay_alu instid0(SALU_CYCLE_1)
	s_xor_b32 s29, exec_lo, s10
	s_cbranch_execz .LBB6_6678
; %bb.6665:                             ;   in Loop: Header=BB6_5693 Depth=2
	v_mov_b32_e32 v4, 0
	s_mov_b32 s40, exec_lo
	scratch_store_b64 off, v[4:5], s33 offset:252 ; 8-byte Folded Spill
	s_wait_xcnt 0x0
	v_cmpx_ne_u32_e32 0, v2
	s_cbranch_execz .LBB6_6677
; %bb.6666:                             ;   in Loop: Header=BB6_5693 Depth=2
	v_bfe_u32 v7, v2, 23, 8
	v_or_b32_e32 v4, 0x800000, v0
	s_mov_b32 s41, exec_lo
	s_delay_alu instid0(VALU_DEP_2) | instskip(SKIP_1) | instid1(VALU_DEP_2)
	v_dual_mov_b32 v5, v1 :: v_dual_sub_nc_u32 v2, 0x71, v7
	v_cmp_gt_u32_e32 vcc_lo, 0x72, v7
	v_cndmask_b32_e32 v2, 0, v2, vcc_lo
	v_cmp_eq_u32_e32 vcc_lo, 0, v7
	s_delay_alu instid0(VALU_DEP_2) | instskip(SKIP_1) | instid1(VALU_DEP_2)
	v_cndmask_b32_e64 v8, v2, 0x70, vcc_lo
	v_cndmask_b32_e32 v4, v4, v0, vcc_lo
	v_dual_add_nc_u32 v2, 21, v8 :: v_dual_add_nc_u32 v9, 20, v8
	s_delay_alu instid0(VALU_DEP_1) | instskip(NEXT) | instid1(VALU_DEP_2)
	v_lshlrev_b64_e64 v[2:3], v2, -1
	v_lshlrev_b64_e64 v[16:17], v9, 1
	s_delay_alu instid0(VALU_DEP_2) | instskip(NEXT) | instid1(VALU_DEP_3)
	v_bfi_b32 v19, v3, 0, 0
	v_bfi_b32 v18, v2, 0, v4
	v_lshrrev_b64 v[2:3], v8, v[4:5]
	s_delay_alu instid0(VALU_DEP_1) | instskip(NEXT) | instid1(VALU_DEP_3)
	v_mov_b64_e32 v[4:5], v[2:3]
	v_cmpx_eq_u64_e64 v[18:19], v[16:17]
; %bb.6667:                             ;   in Loop: Header=BB6_5693 Depth=2
	v_bfe_u32 v4, v2, 21, 1
	v_mov_b32_e32 v5, v1
	s_delay_alu instid0(VALU_DEP_1) | instskip(NEXT) | instid1(VALU_DEP_1)
	v_add_nc_u64_e32 v[4:5], v[2:3], v[4:5]
	v_add_nc_u64_e32 v[4:5], -1, v[4:5]
; %bb.6668:                             ;   in Loop: Header=BB6_5693 Depth=2
	s_or_b32 exec_lo, exec_lo, s41
	v_add_nc_u32_e32 v0, 0xffffff81, v7
	s_delay_alu instid0(VALU_DEP_2) | instskip(SKIP_2) | instid1(VALU_DEP_3)
	v_and_b32_e32 v4, 0x1fffff, v4
	v_lshrrev_b32_e32 v3, 23, v2
	s_mov_b32 s10, exec_lo
	v_cndmask_b32_e64 v0, v0, 0xffffff82, vcc_lo
	s_delay_alu instid0(VALU_DEP_1) | instskip(SKIP_1) | instid1(VALU_DEP_2)
	v_add3_u32 v5, v8, v0, v3
	v_add_nc_u32_e32 v0, v4, v2
                                        ; implicit-def: $vgpr2_vgpr3
                                        ; implicit-def: $vgpr4
	v_add_nc_u32_e32 v7, 14, v5
	s_delay_alu instid0(VALU_DEP_1)
	v_cmpx_ne_u32_e32 0, v7
	s_xor_b32 s10, exec_lo, s10
; %bb.6669:                             ;   in Loop: Header=BB6_5693 Depth=2
	s_delay_alu instid0(VALU_DEP_3) | instskip(SKIP_1) | instid1(VALU_DEP_1)
	v_cmp_lt_u64_e32 vcc_lo, 0xffffff, v[0:1]
	v_add_nc_u32_e32 v2, 15, v5
	v_cndmask_b32_e32 v4, v7, v2, vcc_lo
	v_cndmask_b32_e64 v2, 0, 1, vcc_lo
	s_delay_alu instid0(VALU_DEP_1)
	v_lshrrev_b64 v[2:3], v2, v[0:1]
; %bb.6670:                             ;   in Loop: Header=BB6_5693 Depth=2
	s_and_not1_saveexec_b32 s10, s10
; %bb.6671:                             ;   in Loop: Header=BB6_5693 Depth=2
	v_mov_b64_e32 v[2:3], v[0:1]
	v_bfe_u32 v4, v0, 23, 1
; %bb.6672:                             ;   in Loop: Header=BB6_5693 Depth=2
	s_or_b32 exec_lo, exec_lo, s10
	s_delay_alu instid0(VALU_DEP_2) | instskip(NEXT) | instid1(VALU_DEP_2)
	v_lshrrev_b64 v[2:3], 21, v[2:3]
	v_cmp_gt_i32_e32 vcc_lo, 32, v4
	v_cmp_ne_u32_e64 s10, 0, v4
                                        ; implicit-def: $vgpr0
	scratch_store_b64 off, v[0:1], s33 offset:252 ; 8-byte Folded Spill
	v_dual_cndmask_b32 v3, 0, v3 :: v_dual_cndmask_b32 v2, 3, v2
	s_delay_alu instid0(VALU_DEP_1) | instskip(SKIP_3) | instid1(SALU_CYCLE_1)
	v_cmp_ne_u64_e32 vcc_lo, 0, v[2:3]
	s_or_b32 s10, s10, vcc_lo
	s_wait_xcnt 0x0
	s_and_saveexec_b32 s41, s10
	s_xor_b32 s10, exec_lo, s41
	s_cbranch_execz .LBB6_6674
; %bb.6673:                             ;   in Loop: Header=BB6_5693 Depth=2
	v_min_i32_e32 v0, 31, v4
	s_delay_alu instid0(VALU_DEP_1) | instskip(NEXT) | instid1(VALU_DEP_1)
	v_lshl_or_b32 v0, v0, 2, v6
                                        ; implicit-def: $vgpr6
	v_and_or_b32 v0, v2, 3, v0
	scratch_store_b64 off, v[0:1], s33 offset:252 ; 8-byte Folded Spill
.LBB6_6674:                             ;   in Loop: Header=BB6_5693 Depth=2
	s_wait_xcnt 0x0
	s_and_not1_saveexec_b32 s10, s10
	s_cbranch_execz .LBB6_6676
; %bb.6675:                             ;   in Loop: Header=BB6_5693 Depth=2
	v_mov_b32_e32 v0, v6
	scratch_store_b64 off, v[0:1], s33 offset:252 ; 8-byte Folded Spill
.LBB6_6676:                             ;   in Loop: Header=BB6_5693 Depth=2
	s_wait_xcnt 0x0
	s_or_b32 exec_lo, exec_lo, s10
.LBB6_6677:                             ;   in Loop: Header=BB6_5693 Depth=2
	s_delay_alu instid0(SALU_CYCLE_1)
	s_or_b32 exec_lo, exec_lo, s40
                                        ; implicit-def: $vgpr6
.LBB6_6678:                             ;   in Loop: Header=BB6_5693 Depth=2
	s_and_not1_saveexec_b32 s10, s29
	s_cbranch_execz .LBB6_6680
; %bb.6679:                             ;   in Loop: Header=BB6_5693 Depth=2
	v_or_b32_e32 v0, 0x7b, v6
	scratch_store_b64 off, v[0:1], s33 offset:252 ; 8-byte Folded Spill
.LBB6_6680:                             ;   in Loop: Header=BB6_5693 Depth=2
	s_wait_xcnt 0x0
	s_or_b32 exec_lo, exec_lo, s10
                                        ; implicit-def: $vgpr2
.LBB6_6681:                             ;   in Loop: Header=BB6_5693 Depth=2
	s_and_not1_saveexec_b32 s10, s11
	s_cbranch_execz .LBB6_6687
; %bb.6682:                             ;   in Loop: Header=BB6_5693 Depth=2
	v_cmp_ne_u64_e32 vcc_lo, 0, v[0:1]
                                        ; implicit-def: $vgpr0
	scratch_store_b64 off, v[0:1], s33 offset:252 ; 8-byte Folded Spill
	s_wait_xcnt 0x0
	s_and_saveexec_b32 s11, vcc_lo
	s_delay_alu instid0(SALU_CYCLE_1)
	s_xor_b32 s11, exec_lo, s11
	s_cbranch_execz .LBB6_6684
; %bb.6683:                             ;   in Loop: Header=BB6_5693 Depth=2
	v_lshrrev_b32_e32 v0, 24, v2
                                        ; implicit-def: $vgpr2
	s_delay_alu instid0(VALU_DEP_1)
	v_or_b32_e32 v0, 0x7f, v0
	scratch_store_b64 off, v[0:1], s33 offset:252 ; 8-byte Folded Spill
.LBB6_6684:                             ;   in Loop: Header=BB6_5693 Depth=2
	s_wait_xcnt 0x0
	s_and_not1_saveexec_b32 s11, s11
	s_cbranch_execz .LBB6_6686
; %bb.6685:                             ;   in Loop: Header=BB6_5693 Depth=2
	v_cmp_lt_i32_e32 vcc_lo, -1, v2
	v_cndmask_b32_e64 v0, -4, 0x7c, vcc_lo
	scratch_store_b64 off, v[0:1], s33 offset:252 ; 8-byte Folded Spill
.LBB6_6686:                             ;   in Loop: Header=BB6_5693 Depth=2
	s_wait_xcnt 0x0
	s_or_b32 exec_lo, exec_lo, s11
.LBB6_6687:                             ;   in Loop: Header=BB6_5693 Depth=2
	s_delay_alu instid0(SALU_CYCLE_1)
	s_or_b32 exec_lo, exec_lo, s10
	flat_load_i8 v2, v[10:11] offset:928 th:TH_LOAD_NT
	v_mov_b32_e32 v3, 0
	s_mov_b32 s10, exec_lo
	s_wait_loadcnt_dscnt 0x0
	v_cmpx_ne_u16_e32 0, v2
	s_cbranch_execz .LBB6_6697
; %bb.6688:                             ;   in Loop: Header=BB6_5693 Depth=2
	v_bfrev_b32_e32 v3, 1
	s_mov_b32 s11, exec_lo
	v_cmpx_ne_u16_e32 0xff80, v2
	s_cbranch_execz .LBB6_6696
; %bb.6689:                             ;   in Loop: Header=BB6_5693 Depth=2
	v_and_b32_e32 v3, 0x7c, v2
	v_and_b32_e32 v0, 3, v2
	s_delay_alu instid0(VALU_DEP_2) | instskip(SKIP_1) | instid1(SALU_CYCLE_1)
	v_cmp_ne_u32_e32 vcc_lo, 0x7c, v3
                                        ; implicit-def: $vgpr3
	s_and_saveexec_b32 s29, vcc_lo
	s_xor_b32 s29, exec_lo, s29
	s_cbranch_execz .LBB6_6693
; %bb.6690:                             ;   in Loop: Header=BB6_5693 Depth=2
	v_and_b32_e32 v3, 0xff, v2
	s_mov_b32 s40, exec_lo
	s_delay_alu instid0(VALU_DEP_1) | instskip(NEXT) | instid1(VALU_DEP_1)
	v_bfe_u32 v3, v3, 2, 5
	v_cmpx_eq_u32_e32 0, v3
	s_cbranch_execz .LBB6_6692
; %bb.6691:                             ;   in Loop: Header=BB6_5693 Depth=2
	v_clz_i32_u32_e32 v0, v0
	v_mov_b32_e32 v3, v1
	s_delay_alu instid0(VALU_DEP_2) | instskip(NEXT) | instid1(VALU_DEP_1)
	v_min_u32_e32 v0, 32, v0
	v_subrev_nc_u32_e32 v4, 29, v0
	s_delay_alu instid0(VALU_DEP_1) | instskip(SKIP_1) | instid1(VALU_DEP_2)
	v_lshlrev_b64_e32 v[4:5], v4, v[2:3]
	v_sub_nc_u32_e32 v3, 30, v0
	v_and_b32_e32 v0, 3, v4
.LBB6_6692:                             ;   in Loop: Header=BB6_5693 Depth=2
	s_or_b32 exec_lo, exec_lo, s40
	v_bfe_i32 v2, v2, 0, 16
	s_delay_alu instid0(VALU_DEP_1) | instskip(NEXT) | instid1(VALU_DEP_1)
	v_and_b32_e32 v2, 0x80000000, v2
	v_lshl_add_u32 v2, v3, 23, v2
	s_delay_alu instid0(VALU_DEP_1) | instskip(NEXT) | instid1(VALU_DEP_1)
	v_lshl_or_b32 v0, v0, 21, v2
                                        ; implicit-def: $vgpr2
	v_add_nc_u32_e32 v3, 0x38000000, v0
                                        ; implicit-def: $vgpr0
.LBB6_6693:                             ;   in Loop: Header=BB6_5693 Depth=2
	s_and_not1_saveexec_b32 s29, s29
; %bb.6694:                             ;   in Loop: Header=BB6_5693 Depth=2
	v_cmp_lt_i16_e32 vcc_lo, -1, v2
	v_mov_b32_e32 v2, 0x7f800000
	s_delay_alu instid0(VALU_DEP_1) | instskip(SKIP_1) | instid1(VALU_DEP_2)
	v_cndmask_b32_e32 v2, 0xff800000, v2, vcc_lo
	v_cmp_eq_u32_e32 vcc_lo, 0, v0
	v_cndmask_b32_e32 v3, 0x7f800001, v2, vcc_lo
; %bb.6695:                             ;   in Loop: Header=BB6_5693 Depth=2
	s_or_b32 exec_lo, exec_lo, s29
.LBB6_6696:                             ;   in Loop: Header=BB6_5693 Depth=2
	s_delay_alu instid0(SALU_CYCLE_1)
	s_or_b32 exec_lo, exec_lo, s11
.LBB6_6697:                             ;   in Loop: Header=BB6_5693 Depth=2
	s_delay_alu instid0(SALU_CYCLE_1) | instskip(NEXT) | instid1(VALU_DEP_1)
	s_or_b32 exec_lo, exec_lo, s10
	v_dual_mul_f32 v2, s28, v3 :: v_dual_mov_b32 v5, v1
	s_delay_alu instid0(VALU_DEP_1) | instskip(SKIP_1) | instid1(VALU_DEP_2)
	v_and_b32_e32 v4, 0x7f800000, v2
	v_and_b32_e32 v0, 0x7fffff, v2
	v_cmp_ne_u64_e32 vcc_lo, 0x7f800000, v[4:5]
                                        ; implicit-def: $vgpr4
	scratch_store_b64 off, v[4:5], s33 offset:244 ; 8-byte Folded Spill
	s_wait_xcnt 0x0
	s_and_saveexec_b32 s10, vcc_lo
	s_delay_alu instid0(SALU_CYCLE_1)
	s_xor_b32 s11, exec_lo, s10
	s_cbranch_execz .LBB6_6715
; %bb.6698:                             ;   in Loop: Header=BB6_5693 Depth=2
	v_and_b32_e32 v4, 0x7fffffff, v2
	v_dual_mov_b32 v5, v1 :: v_dual_lshrrev_b32 v3, 24, v2
	s_delay_alu instid0(VALU_DEP_1) | instskip(NEXT) | instid1(VALU_DEP_2)
	v_cmp_gt_u64_e32 vcc_lo, 0x47600001, v[4:5]
	v_and_b32_e32 v6, 0x80, v3
                                        ; implicit-def: $vgpr4
	scratch_store_b64 off, v[4:5], s33 offset:244 ; 8-byte Folded Spill
	s_wait_xcnt 0x0
	s_and_saveexec_b32 s10, vcc_lo
	s_delay_alu instid0(SALU_CYCLE_1)
	s_xor_b32 s29, exec_lo, s10
	s_cbranch_execz .LBB6_6712
; %bb.6699:                             ;   in Loop: Header=BB6_5693 Depth=2
	v_mov_b32_e32 v4, 0
	s_mov_b32 s40, exec_lo
	scratch_store_b64 off, v[4:5], s33 offset:244 ; 8-byte Folded Spill
	s_wait_xcnt 0x0
	v_cmpx_ne_u32_e32 0, v2
	s_cbranch_execz .LBB6_6711
; %bb.6700:                             ;   in Loop: Header=BB6_5693 Depth=2
	v_bfe_u32 v7, v2, 23, 8
	v_or_b32_e32 v4, 0x800000, v0
	s_mov_b32 s41, exec_lo
	s_delay_alu instid0(VALU_DEP_2) | instskip(SKIP_1) | instid1(VALU_DEP_2)
	v_dual_mov_b32 v5, v1 :: v_dual_sub_nc_u32 v2, 0x71, v7
	v_cmp_gt_u32_e32 vcc_lo, 0x72, v7
	v_cndmask_b32_e32 v2, 0, v2, vcc_lo
	v_cmp_eq_u32_e32 vcc_lo, 0, v7
	s_delay_alu instid0(VALU_DEP_2) | instskip(SKIP_1) | instid1(VALU_DEP_2)
	v_cndmask_b32_e64 v8, v2, 0x70, vcc_lo
	v_cndmask_b32_e32 v4, v4, v0, vcc_lo
	v_dual_add_nc_u32 v2, 21, v8 :: v_dual_add_nc_u32 v9, 20, v8
	s_delay_alu instid0(VALU_DEP_1) | instskip(NEXT) | instid1(VALU_DEP_2)
	v_lshlrev_b64_e64 v[2:3], v2, -1
	v_lshlrev_b64_e64 v[16:17], v9, 1
	s_delay_alu instid0(VALU_DEP_2) | instskip(NEXT) | instid1(VALU_DEP_3)
	v_bfi_b32 v19, v3, 0, 0
	v_bfi_b32 v18, v2, 0, v4
	v_lshrrev_b64 v[2:3], v8, v[4:5]
	s_delay_alu instid0(VALU_DEP_1) | instskip(NEXT) | instid1(VALU_DEP_3)
	v_mov_b64_e32 v[4:5], v[2:3]
	v_cmpx_eq_u64_e64 v[18:19], v[16:17]
; %bb.6701:                             ;   in Loop: Header=BB6_5693 Depth=2
	v_bfe_u32 v4, v2, 21, 1
	v_mov_b32_e32 v5, v1
	s_delay_alu instid0(VALU_DEP_1) | instskip(NEXT) | instid1(VALU_DEP_1)
	v_add_nc_u64_e32 v[4:5], v[2:3], v[4:5]
	v_add_nc_u64_e32 v[4:5], -1, v[4:5]
; %bb.6702:                             ;   in Loop: Header=BB6_5693 Depth=2
	s_or_b32 exec_lo, exec_lo, s41
	v_add_nc_u32_e32 v0, 0xffffff81, v7
	s_delay_alu instid0(VALU_DEP_2) | instskip(SKIP_2) | instid1(VALU_DEP_3)
	v_and_b32_e32 v4, 0x1fffff, v4
	v_lshrrev_b32_e32 v3, 23, v2
	s_mov_b32 s10, exec_lo
	v_cndmask_b32_e64 v0, v0, 0xffffff82, vcc_lo
	s_delay_alu instid0(VALU_DEP_1) | instskip(SKIP_1) | instid1(VALU_DEP_2)
	v_add3_u32 v5, v8, v0, v3
	v_add_nc_u32_e32 v0, v4, v2
                                        ; implicit-def: $vgpr2_vgpr3
                                        ; implicit-def: $vgpr4
	v_add_nc_u32_e32 v7, 14, v5
	s_delay_alu instid0(VALU_DEP_1)
	v_cmpx_ne_u32_e32 0, v7
	s_xor_b32 s10, exec_lo, s10
; %bb.6703:                             ;   in Loop: Header=BB6_5693 Depth=2
	s_delay_alu instid0(VALU_DEP_3) | instskip(SKIP_1) | instid1(VALU_DEP_1)
	v_cmp_lt_u64_e32 vcc_lo, 0xffffff, v[0:1]
	v_add_nc_u32_e32 v2, 15, v5
	v_cndmask_b32_e32 v4, v7, v2, vcc_lo
	v_cndmask_b32_e64 v2, 0, 1, vcc_lo
	s_delay_alu instid0(VALU_DEP_1)
	v_lshrrev_b64 v[2:3], v2, v[0:1]
; %bb.6704:                             ;   in Loop: Header=BB6_5693 Depth=2
	s_and_not1_saveexec_b32 s10, s10
; %bb.6705:                             ;   in Loop: Header=BB6_5693 Depth=2
	v_mov_b64_e32 v[2:3], v[0:1]
	v_bfe_u32 v4, v0, 23, 1
; %bb.6706:                             ;   in Loop: Header=BB6_5693 Depth=2
	s_or_b32 exec_lo, exec_lo, s10
	s_delay_alu instid0(VALU_DEP_2) | instskip(NEXT) | instid1(VALU_DEP_2)
	v_lshrrev_b64 v[2:3], 21, v[2:3]
	v_cmp_gt_i32_e32 vcc_lo, 32, v4
	v_cmp_ne_u32_e64 s10, 0, v4
                                        ; implicit-def: $vgpr0
	scratch_store_b64 off, v[0:1], s33 offset:244 ; 8-byte Folded Spill
	v_dual_cndmask_b32 v3, 0, v3 :: v_dual_cndmask_b32 v2, 3, v2
	s_delay_alu instid0(VALU_DEP_1) | instskip(SKIP_3) | instid1(SALU_CYCLE_1)
	v_cmp_ne_u64_e32 vcc_lo, 0, v[2:3]
	s_or_b32 s10, s10, vcc_lo
	s_wait_xcnt 0x0
	s_and_saveexec_b32 s41, s10
	s_xor_b32 s10, exec_lo, s41
	s_cbranch_execz .LBB6_6708
; %bb.6707:                             ;   in Loop: Header=BB6_5693 Depth=2
	v_min_i32_e32 v0, 31, v4
	s_delay_alu instid0(VALU_DEP_1) | instskip(NEXT) | instid1(VALU_DEP_1)
	v_lshl_or_b32 v0, v0, 2, v6
                                        ; implicit-def: $vgpr6
	v_and_or_b32 v0, v2, 3, v0
	scratch_store_b64 off, v[0:1], s33 offset:244 ; 8-byte Folded Spill
.LBB6_6708:                             ;   in Loop: Header=BB6_5693 Depth=2
	s_wait_xcnt 0x0
	s_and_not1_saveexec_b32 s10, s10
	s_cbranch_execz .LBB6_6710
; %bb.6709:                             ;   in Loop: Header=BB6_5693 Depth=2
	v_mov_b32_e32 v0, v6
	scratch_store_b64 off, v[0:1], s33 offset:244 ; 8-byte Folded Spill
.LBB6_6710:                             ;   in Loop: Header=BB6_5693 Depth=2
	s_wait_xcnt 0x0
	s_or_b32 exec_lo, exec_lo, s10
.LBB6_6711:                             ;   in Loop: Header=BB6_5693 Depth=2
	s_delay_alu instid0(SALU_CYCLE_1)
	s_or_b32 exec_lo, exec_lo, s40
                                        ; implicit-def: $vgpr6
.LBB6_6712:                             ;   in Loop: Header=BB6_5693 Depth=2
	s_and_not1_saveexec_b32 s10, s29
	s_cbranch_execz .LBB6_6714
; %bb.6713:                             ;   in Loop: Header=BB6_5693 Depth=2
	v_or_b32_e32 v0, 0x7b, v6
	scratch_store_b64 off, v[0:1], s33 offset:244 ; 8-byte Folded Spill
.LBB6_6714:                             ;   in Loop: Header=BB6_5693 Depth=2
	s_wait_xcnt 0x0
	s_or_b32 exec_lo, exec_lo, s10
                                        ; implicit-def: $vgpr2
.LBB6_6715:                             ;   in Loop: Header=BB6_5693 Depth=2
	s_and_not1_saveexec_b32 s10, s11
	s_cbranch_execz .LBB6_6721
; %bb.6716:                             ;   in Loop: Header=BB6_5693 Depth=2
	v_cmp_ne_u64_e32 vcc_lo, 0, v[0:1]
                                        ; implicit-def: $vgpr0
	scratch_store_b64 off, v[0:1], s33 offset:244 ; 8-byte Folded Spill
	s_wait_xcnt 0x0
	s_and_saveexec_b32 s11, vcc_lo
	s_delay_alu instid0(SALU_CYCLE_1)
	s_xor_b32 s11, exec_lo, s11
	s_cbranch_execz .LBB6_6718
; %bb.6717:                             ;   in Loop: Header=BB6_5693 Depth=2
	v_lshrrev_b32_e32 v0, 24, v2
                                        ; implicit-def: $vgpr2
	s_delay_alu instid0(VALU_DEP_1)
	v_or_b32_e32 v0, 0x7f, v0
	scratch_store_b64 off, v[0:1], s33 offset:244 ; 8-byte Folded Spill
.LBB6_6718:                             ;   in Loop: Header=BB6_5693 Depth=2
	s_wait_xcnt 0x0
	s_and_not1_saveexec_b32 s11, s11
	s_cbranch_execz .LBB6_6720
; %bb.6719:                             ;   in Loop: Header=BB6_5693 Depth=2
	v_cmp_lt_i32_e32 vcc_lo, -1, v2
	v_cndmask_b32_e64 v0, -4, 0x7c, vcc_lo
	scratch_store_b64 off, v[0:1], s33 offset:244 ; 8-byte Folded Spill
.LBB6_6720:                             ;   in Loop: Header=BB6_5693 Depth=2
	s_wait_xcnt 0x0
	s_or_b32 exec_lo, exec_lo, s11
.LBB6_6721:                             ;   in Loop: Header=BB6_5693 Depth=2
	s_delay_alu instid0(SALU_CYCLE_1)
	s_or_b32 exec_lo, exec_lo, s10
	flat_load_i8 v2, v[10:11] offset:960 th:TH_LOAD_NT
	v_mov_b32_e32 v3, 0
	s_mov_b32 s10, exec_lo
	s_wait_loadcnt_dscnt 0x0
	v_cmpx_ne_u16_e32 0, v2
	s_cbranch_execz .LBB6_6731
; %bb.6722:                             ;   in Loop: Header=BB6_5693 Depth=2
	v_bfrev_b32_e32 v3, 1
	s_mov_b32 s11, exec_lo
	v_cmpx_ne_u16_e32 0xff80, v2
	s_cbranch_execz .LBB6_6730
; %bb.6723:                             ;   in Loop: Header=BB6_5693 Depth=2
	v_and_b32_e32 v3, 0x7c, v2
	v_and_b32_e32 v0, 3, v2
	s_delay_alu instid0(VALU_DEP_2) | instskip(SKIP_1) | instid1(SALU_CYCLE_1)
	v_cmp_ne_u32_e32 vcc_lo, 0x7c, v3
                                        ; implicit-def: $vgpr3
	s_and_saveexec_b32 s29, vcc_lo
	s_xor_b32 s29, exec_lo, s29
	s_cbranch_execz .LBB6_6727
; %bb.6724:                             ;   in Loop: Header=BB6_5693 Depth=2
	v_and_b32_e32 v3, 0xff, v2
	s_mov_b32 s40, exec_lo
	s_delay_alu instid0(VALU_DEP_1) | instskip(NEXT) | instid1(VALU_DEP_1)
	v_bfe_u32 v3, v3, 2, 5
	v_cmpx_eq_u32_e32 0, v3
	s_cbranch_execz .LBB6_6726
; %bb.6725:                             ;   in Loop: Header=BB6_5693 Depth=2
	v_clz_i32_u32_e32 v0, v0
	v_mov_b32_e32 v3, v1
	s_delay_alu instid0(VALU_DEP_2) | instskip(NEXT) | instid1(VALU_DEP_1)
	v_min_u32_e32 v0, 32, v0
	v_subrev_nc_u32_e32 v4, 29, v0
	s_delay_alu instid0(VALU_DEP_1) | instskip(SKIP_1) | instid1(VALU_DEP_2)
	v_lshlrev_b64_e32 v[4:5], v4, v[2:3]
	v_sub_nc_u32_e32 v3, 30, v0
	v_and_b32_e32 v0, 3, v4
.LBB6_6726:                             ;   in Loop: Header=BB6_5693 Depth=2
	s_or_b32 exec_lo, exec_lo, s40
	v_bfe_i32 v2, v2, 0, 16
	s_delay_alu instid0(VALU_DEP_1) | instskip(NEXT) | instid1(VALU_DEP_1)
	v_and_b32_e32 v2, 0x80000000, v2
	v_lshl_add_u32 v2, v3, 23, v2
	s_delay_alu instid0(VALU_DEP_1) | instskip(NEXT) | instid1(VALU_DEP_1)
	v_lshl_or_b32 v0, v0, 21, v2
                                        ; implicit-def: $vgpr2
	v_add_nc_u32_e32 v3, 0x38000000, v0
                                        ; implicit-def: $vgpr0
.LBB6_6727:                             ;   in Loop: Header=BB6_5693 Depth=2
	s_and_not1_saveexec_b32 s29, s29
; %bb.6728:                             ;   in Loop: Header=BB6_5693 Depth=2
	v_cmp_lt_i16_e32 vcc_lo, -1, v2
	v_mov_b32_e32 v2, 0x7f800000
	s_delay_alu instid0(VALU_DEP_1) | instskip(SKIP_1) | instid1(VALU_DEP_2)
	v_cndmask_b32_e32 v2, 0xff800000, v2, vcc_lo
	v_cmp_eq_u32_e32 vcc_lo, 0, v0
	v_cndmask_b32_e32 v3, 0x7f800001, v2, vcc_lo
; %bb.6729:                             ;   in Loop: Header=BB6_5693 Depth=2
	s_or_b32 exec_lo, exec_lo, s29
.LBB6_6730:                             ;   in Loop: Header=BB6_5693 Depth=2
	s_delay_alu instid0(SALU_CYCLE_1)
	s_or_b32 exec_lo, exec_lo, s11
.LBB6_6731:                             ;   in Loop: Header=BB6_5693 Depth=2
	s_delay_alu instid0(SALU_CYCLE_1) | instskip(NEXT) | instid1(VALU_DEP_1)
	s_or_b32 exec_lo, exec_lo, s10
	v_dual_mul_f32 v2, s28, v3 :: v_dual_mov_b32 v5, v1
	s_delay_alu instid0(VALU_DEP_1) | instskip(SKIP_1) | instid1(VALU_DEP_2)
	v_and_b32_e32 v4, 0x7f800000, v2
	v_and_b32_e32 v0, 0x7fffff, v2
	v_cmp_ne_u64_e32 vcc_lo, 0x7f800000, v[4:5]
                                        ; implicit-def: $vgpr4
	scratch_store_b64 off, v[4:5], s33 offset:236 ; 8-byte Folded Spill
	s_wait_xcnt 0x0
	s_and_saveexec_b32 s10, vcc_lo
	s_delay_alu instid0(SALU_CYCLE_1)
	s_xor_b32 s11, exec_lo, s10
	s_cbranch_execz .LBB6_6749
; %bb.6732:                             ;   in Loop: Header=BB6_5693 Depth=2
	v_and_b32_e32 v4, 0x7fffffff, v2
	v_dual_mov_b32 v5, v1 :: v_dual_lshrrev_b32 v3, 24, v2
	s_delay_alu instid0(VALU_DEP_1) | instskip(NEXT) | instid1(VALU_DEP_2)
	v_cmp_gt_u64_e32 vcc_lo, 0x47600001, v[4:5]
	v_and_b32_e32 v6, 0x80, v3
                                        ; implicit-def: $vgpr4
	scratch_store_b64 off, v[4:5], s33 offset:236 ; 8-byte Folded Spill
	s_wait_xcnt 0x0
	s_and_saveexec_b32 s10, vcc_lo
	s_delay_alu instid0(SALU_CYCLE_1)
	s_xor_b32 s29, exec_lo, s10
	s_cbranch_execz .LBB6_6746
; %bb.6733:                             ;   in Loop: Header=BB6_5693 Depth=2
	v_mov_b32_e32 v4, 0
	s_mov_b32 s40, exec_lo
	scratch_store_b64 off, v[4:5], s33 offset:236 ; 8-byte Folded Spill
	s_wait_xcnt 0x0
	v_cmpx_ne_u32_e32 0, v2
	s_cbranch_execz .LBB6_6745
; %bb.6734:                             ;   in Loop: Header=BB6_5693 Depth=2
	v_bfe_u32 v7, v2, 23, 8
	v_or_b32_e32 v4, 0x800000, v0
	s_mov_b32 s41, exec_lo
	s_delay_alu instid0(VALU_DEP_2) | instskip(SKIP_1) | instid1(VALU_DEP_2)
	v_dual_mov_b32 v5, v1 :: v_dual_sub_nc_u32 v2, 0x71, v7
	v_cmp_gt_u32_e32 vcc_lo, 0x72, v7
	v_cndmask_b32_e32 v2, 0, v2, vcc_lo
	v_cmp_eq_u32_e32 vcc_lo, 0, v7
	s_delay_alu instid0(VALU_DEP_2) | instskip(SKIP_1) | instid1(VALU_DEP_2)
	v_cndmask_b32_e64 v8, v2, 0x70, vcc_lo
	v_cndmask_b32_e32 v4, v4, v0, vcc_lo
	v_dual_add_nc_u32 v2, 21, v8 :: v_dual_add_nc_u32 v9, 20, v8
	s_delay_alu instid0(VALU_DEP_1) | instskip(NEXT) | instid1(VALU_DEP_2)
	v_lshlrev_b64_e64 v[2:3], v2, -1
	v_lshlrev_b64_e64 v[16:17], v9, 1
	s_delay_alu instid0(VALU_DEP_2) | instskip(NEXT) | instid1(VALU_DEP_3)
	v_bfi_b32 v19, v3, 0, 0
	v_bfi_b32 v18, v2, 0, v4
	v_lshrrev_b64 v[2:3], v8, v[4:5]
	s_delay_alu instid0(VALU_DEP_1) | instskip(NEXT) | instid1(VALU_DEP_3)
	v_mov_b64_e32 v[4:5], v[2:3]
	v_cmpx_eq_u64_e64 v[18:19], v[16:17]
; %bb.6735:                             ;   in Loop: Header=BB6_5693 Depth=2
	v_bfe_u32 v4, v2, 21, 1
	v_mov_b32_e32 v5, v1
	s_delay_alu instid0(VALU_DEP_1) | instskip(NEXT) | instid1(VALU_DEP_1)
	v_add_nc_u64_e32 v[4:5], v[2:3], v[4:5]
	v_add_nc_u64_e32 v[4:5], -1, v[4:5]
; %bb.6736:                             ;   in Loop: Header=BB6_5693 Depth=2
	s_or_b32 exec_lo, exec_lo, s41
	v_add_nc_u32_e32 v0, 0xffffff81, v7
	s_delay_alu instid0(VALU_DEP_2) | instskip(SKIP_2) | instid1(VALU_DEP_3)
	v_and_b32_e32 v4, 0x1fffff, v4
	v_lshrrev_b32_e32 v3, 23, v2
	s_mov_b32 s10, exec_lo
	v_cndmask_b32_e64 v0, v0, 0xffffff82, vcc_lo
	s_delay_alu instid0(VALU_DEP_1) | instskip(SKIP_1) | instid1(VALU_DEP_2)
	v_add3_u32 v5, v8, v0, v3
	v_add_nc_u32_e32 v0, v4, v2
                                        ; implicit-def: $vgpr2_vgpr3
                                        ; implicit-def: $vgpr4
	v_add_nc_u32_e32 v7, 14, v5
	s_delay_alu instid0(VALU_DEP_1)
	v_cmpx_ne_u32_e32 0, v7
	s_xor_b32 s10, exec_lo, s10
; %bb.6737:                             ;   in Loop: Header=BB6_5693 Depth=2
	s_delay_alu instid0(VALU_DEP_3) | instskip(SKIP_1) | instid1(VALU_DEP_1)
	v_cmp_lt_u64_e32 vcc_lo, 0xffffff, v[0:1]
	v_add_nc_u32_e32 v2, 15, v5
	v_cndmask_b32_e32 v4, v7, v2, vcc_lo
	v_cndmask_b32_e64 v2, 0, 1, vcc_lo
	s_delay_alu instid0(VALU_DEP_1)
	v_lshrrev_b64 v[2:3], v2, v[0:1]
; %bb.6738:                             ;   in Loop: Header=BB6_5693 Depth=2
	s_and_not1_saveexec_b32 s10, s10
; %bb.6739:                             ;   in Loop: Header=BB6_5693 Depth=2
	v_mov_b64_e32 v[2:3], v[0:1]
	v_bfe_u32 v4, v0, 23, 1
; %bb.6740:                             ;   in Loop: Header=BB6_5693 Depth=2
	s_or_b32 exec_lo, exec_lo, s10
	s_delay_alu instid0(VALU_DEP_2) | instskip(NEXT) | instid1(VALU_DEP_2)
	v_lshrrev_b64 v[2:3], 21, v[2:3]
	v_cmp_gt_i32_e32 vcc_lo, 32, v4
	v_cmp_ne_u32_e64 s10, 0, v4
                                        ; implicit-def: $vgpr0
	scratch_store_b64 off, v[0:1], s33 offset:236 ; 8-byte Folded Spill
	v_dual_cndmask_b32 v3, 0, v3 :: v_dual_cndmask_b32 v2, 3, v2
	s_delay_alu instid0(VALU_DEP_1) | instskip(SKIP_3) | instid1(SALU_CYCLE_1)
	v_cmp_ne_u64_e32 vcc_lo, 0, v[2:3]
	s_or_b32 s10, s10, vcc_lo
	s_wait_xcnt 0x0
	s_and_saveexec_b32 s41, s10
	s_xor_b32 s10, exec_lo, s41
	s_cbranch_execz .LBB6_6742
; %bb.6741:                             ;   in Loop: Header=BB6_5693 Depth=2
	v_min_i32_e32 v0, 31, v4
	s_delay_alu instid0(VALU_DEP_1) | instskip(NEXT) | instid1(VALU_DEP_1)
	v_lshl_or_b32 v0, v0, 2, v6
                                        ; implicit-def: $vgpr6
	v_and_or_b32 v0, v2, 3, v0
	scratch_store_b64 off, v[0:1], s33 offset:236 ; 8-byte Folded Spill
.LBB6_6742:                             ;   in Loop: Header=BB6_5693 Depth=2
	s_wait_xcnt 0x0
	s_and_not1_saveexec_b32 s10, s10
	s_cbranch_execz .LBB6_6744
; %bb.6743:                             ;   in Loop: Header=BB6_5693 Depth=2
	v_mov_b32_e32 v0, v6
	scratch_store_b64 off, v[0:1], s33 offset:236 ; 8-byte Folded Spill
.LBB6_6744:                             ;   in Loop: Header=BB6_5693 Depth=2
	s_wait_xcnt 0x0
	s_or_b32 exec_lo, exec_lo, s10
.LBB6_6745:                             ;   in Loop: Header=BB6_5693 Depth=2
	s_delay_alu instid0(SALU_CYCLE_1)
	s_or_b32 exec_lo, exec_lo, s40
                                        ; implicit-def: $vgpr6
.LBB6_6746:                             ;   in Loop: Header=BB6_5693 Depth=2
	s_and_not1_saveexec_b32 s10, s29
	s_cbranch_execz .LBB6_6748
; %bb.6747:                             ;   in Loop: Header=BB6_5693 Depth=2
	v_or_b32_e32 v0, 0x7b, v6
	scratch_store_b64 off, v[0:1], s33 offset:236 ; 8-byte Folded Spill
.LBB6_6748:                             ;   in Loop: Header=BB6_5693 Depth=2
	s_wait_xcnt 0x0
	s_or_b32 exec_lo, exec_lo, s10
                                        ; implicit-def: $vgpr2
.LBB6_6749:                             ;   in Loop: Header=BB6_5693 Depth=2
	s_and_not1_saveexec_b32 s10, s11
	s_cbranch_execz .LBB6_6755
; %bb.6750:                             ;   in Loop: Header=BB6_5693 Depth=2
	v_cmp_ne_u64_e32 vcc_lo, 0, v[0:1]
                                        ; implicit-def: $vgpr0
	scratch_store_b64 off, v[0:1], s33 offset:236 ; 8-byte Folded Spill
	s_wait_xcnt 0x0
	s_and_saveexec_b32 s11, vcc_lo
	s_delay_alu instid0(SALU_CYCLE_1)
	s_xor_b32 s11, exec_lo, s11
	s_cbranch_execz .LBB6_6752
; %bb.6751:                             ;   in Loop: Header=BB6_5693 Depth=2
	v_lshrrev_b32_e32 v0, 24, v2
                                        ; implicit-def: $vgpr2
	s_delay_alu instid0(VALU_DEP_1)
	v_or_b32_e32 v0, 0x7f, v0
	scratch_store_b64 off, v[0:1], s33 offset:236 ; 8-byte Folded Spill
.LBB6_6752:                             ;   in Loop: Header=BB6_5693 Depth=2
	s_wait_xcnt 0x0
	s_and_not1_saveexec_b32 s11, s11
	s_cbranch_execz .LBB6_6754
; %bb.6753:                             ;   in Loop: Header=BB6_5693 Depth=2
	v_cmp_lt_i32_e32 vcc_lo, -1, v2
	v_cndmask_b32_e64 v0, -4, 0x7c, vcc_lo
	scratch_store_b64 off, v[0:1], s33 offset:236 ; 8-byte Folded Spill
.LBB6_6754:                             ;   in Loop: Header=BB6_5693 Depth=2
	s_wait_xcnt 0x0
	s_or_b32 exec_lo, exec_lo, s11
.LBB6_6755:                             ;   in Loop: Header=BB6_5693 Depth=2
	s_delay_alu instid0(SALU_CYCLE_1)
	s_or_b32 exec_lo, exec_lo, s10
	flat_load_i8 v2, v[10:11] offset:992 th:TH_LOAD_NT
	v_mov_b32_e32 v3, 0
	s_mov_b32 s10, exec_lo
	s_wait_loadcnt_dscnt 0x0
	v_cmpx_ne_u16_e32 0, v2
	s_cbranch_execz .LBB6_6765
; %bb.6756:                             ;   in Loop: Header=BB6_5693 Depth=2
	v_bfrev_b32_e32 v3, 1
	s_mov_b32 s11, exec_lo
	v_cmpx_ne_u16_e32 0xff80, v2
	s_cbranch_execz .LBB6_6764
; %bb.6757:                             ;   in Loop: Header=BB6_5693 Depth=2
	v_and_b32_e32 v3, 0x7c, v2
	v_and_b32_e32 v0, 3, v2
	s_delay_alu instid0(VALU_DEP_2) | instskip(SKIP_1) | instid1(SALU_CYCLE_1)
	v_cmp_ne_u32_e32 vcc_lo, 0x7c, v3
                                        ; implicit-def: $vgpr3
	s_and_saveexec_b32 s29, vcc_lo
	s_xor_b32 s29, exec_lo, s29
	s_cbranch_execz .LBB6_6761
; %bb.6758:                             ;   in Loop: Header=BB6_5693 Depth=2
	v_and_b32_e32 v3, 0xff, v2
	s_mov_b32 s40, exec_lo
	s_delay_alu instid0(VALU_DEP_1) | instskip(NEXT) | instid1(VALU_DEP_1)
	v_bfe_u32 v3, v3, 2, 5
	v_cmpx_eq_u32_e32 0, v3
	s_cbranch_execz .LBB6_6760
; %bb.6759:                             ;   in Loop: Header=BB6_5693 Depth=2
	v_clz_i32_u32_e32 v0, v0
	v_mov_b32_e32 v3, v1
	s_delay_alu instid0(VALU_DEP_2) | instskip(NEXT) | instid1(VALU_DEP_1)
	v_min_u32_e32 v0, 32, v0
	v_subrev_nc_u32_e32 v4, 29, v0
	s_delay_alu instid0(VALU_DEP_1) | instskip(SKIP_1) | instid1(VALU_DEP_2)
	v_lshlrev_b64_e32 v[4:5], v4, v[2:3]
	v_sub_nc_u32_e32 v3, 30, v0
	v_and_b32_e32 v0, 3, v4
.LBB6_6760:                             ;   in Loop: Header=BB6_5693 Depth=2
	s_or_b32 exec_lo, exec_lo, s40
	v_bfe_i32 v2, v2, 0, 16
	s_delay_alu instid0(VALU_DEP_1) | instskip(NEXT) | instid1(VALU_DEP_1)
	v_and_b32_e32 v2, 0x80000000, v2
	v_lshl_add_u32 v2, v3, 23, v2
	s_delay_alu instid0(VALU_DEP_1) | instskip(NEXT) | instid1(VALU_DEP_1)
	v_lshl_or_b32 v0, v0, 21, v2
                                        ; implicit-def: $vgpr2
	v_add_nc_u32_e32 v3, 0x38000000, v0
                                        ; implicit-def: $vgpr0
.LBB6_6761:                             ;   in Loop: Header=BB6_5693 Depth=2
	s_and_not1_saveexec_b32 s29, s29
; %bb.6762:                             ;   in Loop: Header=BB6_5693 Depth=2
	v_cmp_lt_i16_e32 vcc_lo, -1, v2
	v_mov_b32_e32 v2, 0x7f800000
	s_delay_alu instid0(VALU_DEP_1) | instskip(SKIP_1) | instid1(VALU_DEP_2)
	v_cndmask_b32_e32 v2, 0xff800000, v2, vcc_lo
	v_cmp_eq_u32_e32 vcc_lo, 0, v0
	v_cndmask_b32_e32 v3, 0x7f800001, v2, vcc_lo
; %bb.6763:                             ;   in Loop: Header=BB6_5693 Depth=2
	s_or_b32 exec_lo, exec_lo, s29
.LBB6_6764:                             ;   in Loop: Header=BB6_5693 Depth=2
	s_delay_alu instid0(SALU_CYCLE_1)
	s_or_b32 exec_lo, exec_lo, s11
.LBB6_6765:                             ;   in Loop: Header=BB6_5693 Depth=2
	s_delay_alu instid0(SALU_CYCLE_1) | instskip(NEXT) | instid1(VALU_DEP_1)
	s_or_b32 exec_lo, exec_lo, s10
	v_dual_mul_f32 v2, s28, v3 :: v_dual_mov_b32 v5, v1
	s_delay_alu instid0(VALU_DEP_1) | instskip(SKIP_1) | instid1(VALU_DEP_2)
	v_and_b32_e32 v4, 0x7f800000, v2
	v_and_b32_e32 v0, 0x7fffff, v2
	v_cmp_ne_u64_e32 vcc_lo, 0x7f800000, v[4:5]
                                        ; implicit-def: $vgpr4
	scratch_store_b64 off, v[4:5], s33 offset:228 ; 8-byte Folded Spill
	s_wait_xcnt 0x0
	s_and_saveexec_b32 s10, vcc_lo
	s_delay_alu instid0(SALU_CYCLE_1)
	s_xor_b32 s11, exec_lo, s10
	s_cbranch_execz .LBB6_6783
; %bb.6766:                             ;   in Loop: Header=BB6_5693 Depth=2
	v_and_b32_e32 v4, 0x7fffffff, v2
	v_dual_mov_b32 v5, v1 :: v_dual_lshrrev_b32 v3, 24, v2
	s_delay_alu instid0(VALU_DEP_1) | instskip(NEXT) | instid1(VALU_DEP_2)
	v_cmp_gt_u64_e32 vcc_lo, 0x47600001, v[4:5]
	v_and_b32_e32 v6, 0x80, v3
                                        ; implicit-def: $vgpr4
	scratch_store_b64 off, v[4:5], s33 offset:228 ; 8-byte Folded Spill
	s_wait_xcnt 0x0
	s_and_saveexec_b32 s10, vcc_lo
	s_delay_alu instid0(SALU_CYCLE_1)
	s_xor_b32 s28, exec_lo, s10
	s_cbranch_execz .LBB6_6780
; %bb.6767:                             ;   in Loop: Header=BB6_5693 Depth=2
	v_mov_b32_e32 v4, 0
	s_mov_b32 s29, exec_lo
	scratch_store_b64 off, v[4:5], s33 offset:228 ; 8-byte Folded Spill
	s_wait_xcnt 0x0
	v_cmpx_ne_u32_e32 0, v2
	s_cbranch_execz .LBB6_6779
; %bb.6768:                             ;   in Loop: Header=BB6_5693 Depth=2
	v_bfe_u32 v7, v2, 23, 8
	v_or_b32_e32 v4, 0x800000, v0
	s_mov_b32 s40, exec_lo
	s_delay_alu instid0(VALU_DEP_2) | instskip(SKIP_1) | instid1(VALU_DEP_2)
	v_dual_mov_b32 v5, v1 :: v_dual_sub_nc_u32 v2, 0x71, v7
	v_cmp_gt_u32_e32 vcc_lo, 0x72, v7
	v_cndmask_b32_e32 v2, 0, v2, vcc_lo
	v_cmp_eq_u32_e32 vcc_lo, 0, v7
	s_delay_alu instid0(VALU_DEP_2) | instskip(SKIP_1) | instid1(VALU_DEP_2)
	v_cndmask_b32_e64 v8, v2, 0x70, vcc_lo
	v_cndmask_b32_e32 v4, v4, v0, vcc_lo
	v_dual_add_nc_u32 v2, 21, v8 :: v_dual_add_nc_u32 v9, 20, v8
	s_delay_alu instid0(VALU_DEP_1) | instskip(NEXT) | instid1(VALU_DEP_2)
	v_lshlrev_b64_e64 v[2:3], v2, -1
	v_lshlrev_b64_e64 v[16:17], v9, 1
	s_delay_alu instid0(VALU_DEP_2) | instskip(NEXT) | instid1(VALU_DEP_3)
	v_bfi_b32 v19, v3, 0, 0
	v_bfi_b32 v18, v2, 0, v4
	v_lshrrev_b64 v[2:3], v8, v[4:5]
	s_delay_alu instid0(VALU_DEP_1) | instskip(NEXT) | instid1(VALU_DEP_3)
	v_mov_b64_e32 v[4:5], v[2:3]
	v_cmpx_eq_u64_e64 v[18:19], v[16:17]
; %bb.6769:                             ;   in Loop: Header=BB6_5693 Depth=2
	v_bfe_u32 v4, v2, 21, 1
	v_mov_b32_e32 v5, v1
	s_delay_alu instid0(VALU_DEP_1) | instskip(NEXT) | instid1(VALU_DEP_1)
	v_add_nc_u64_e32 v[4:5], v[2:3], v[4:5]
	v_add_nc_u64_e32 v[4:5], -1, v[4:5]
; %bb.6770:                             ;   in Loop: Header=BB6_5693 Depth=2
	s_or_b32 exec_lo, exec_lo, s40
	v_add_nc_u32_e32 v0, 0xffffff81, v7
	s_delay_alu instid0(VALU_DEP_2) | instskip(SKIP_2) | instid1(VALU_DEP_3)
	v_and_b32_e32 v4, 0x1fffff, v4
	v_lshrrev_b32_e32 v3, 23, v2
	s_mov_b32 s10, exec_lo
	v_cndmask_b32_e64 v0, v0, 0xffffff82, vcc_lo
	s_delay_alu instid0(VALU_DEP_1) | instskip(SKIP_1) | instid1(VALU_DEP_2)
	v_add3_u32 v5, v8, v0, v3
	v_add_nc_u32_e32 v0, v4, v2
                                        ; implicit-def: $vgpr2_vgpr3
                                        ; implicit-def: $vgpr4
	v_add_nc_u32_e32 v7, 14, v5
	s_delay_alu instid0(VALU_DEP_1)
	v_cmpx_ne_u32_e32 0, v7
	s_xor_b32 s10, exec_lo, s10
; %bb.6771:                             ;   in Loop: Header=BB6_5693 Depth=2
	s_delay_alu instid0(VALU_DEP_3) | instskip(SKIP_1) | instid1(VALU_DEP_1)
	v_cmp_lt_u64_e32 vcc_lo, 0xffffff, v[0:1]
	v_add_nc_u32_e32 v2, 15, v5
	v_cndmask_b32_e32 v4, v7, v2, vcc_lo
	v_cndmask_b32_e64 v2, 0, 1, vcc_lo
	s_delay_alu instid0(VALU_DEP_1)
	v_lshrrev_b64 v[2:3], v2, v[0:1]
; %bb.6772:                             ;   in Loop: Header=BB6_5693 Depth=2
	s_and_not1_saveexec_b32 s10, s10
; %bb.6773:                             ;   in Loop: Header=BB6_5693 Depth=2
	v_mov_b64_e32 v[2:3], v[0:1]
	v_bfe_u32 v4, v0, 23, 1
; %bb.6774:                             ;   in Loop: Header=BB6_5693 Depth=2
	s_or_b32 exec_lo, exec_lo, s10
	s_delay_alu instid0(VALU_DEP_2) | instskip(NEXT) | instid1(VALU_DEP_2)
	v_lshrrev_b64 v[2:3], 21, v[2:3]
	v_cmp_gt_i32_e32 vcc_lo, 32, v4
	v_cmp_ne_u32_e64 s10, 0, v4
                                        ; implicit-def: $vgpr0
	scratch_store_b64 off, v[0:1], s33 offset:228 ; 8-byte Folded Spill
	v_dual_cndmask_b32 v3, 0, v3 :: v_dual_cndmask_b32 v2, 3, v2
	s_delay_alu instid0(VALU_DEP_1) | instskip(SKIP_3) | instid1(SALU_CYCLE_1)
	v_cmp_ne_u64_e32 vcc_lo, 0, v[2:3]
	s_or_b32 s10, s10, vcc_lo
	s_wait_xcnt 0x0
	s_and_saveexec_b32 s40, s10
	s_xor_b32 s10, exec_lo, s40
	s_cbranch_execz .LBB6_6776
; %bb.6775:                             ;   in Loop: Header=BB6_5693 Depth=2
	v_min_i32_e32 v0, 31, v4
	s_delay_alu instid0(VALU_DEP_1) | instskip(NEXT) | instid1(VALU_DEP_1)
	v_lshl_or_b32 v0, v0, 2, v6
                                        ; implicit-def: $vgpr6
	v_and_or_b32 v0, v2, 3, v0
	scratch_store_b64 off, v[0:1], s33 offset:228 ; 8-byte Folded Spill
.LBB6_6776:                             ;   in Loop: Header=BB6_5693 Depth=2
	s_wait_xcnt 0x0
	s_and_not1_saveexec_b32 s10, s10
	s_cbranch_execz .LBB6_6778
; %bb.6777:                             ;   in Loop: Header=BB6_5693 Depth=2
	v_mov_b32_e32 v0, v6
	scratch_store_b64 off, v[0:1], s33 offset:228 ; 8-byte Folded Spill
.LBB6_6778:                             ;   in Loop: Header=BB6_5693 Depth=2
	s_wait_xcnt 0x0
	s_or_b32 exec_lo, exec_lo, s10
.LBB6_6779:                             ;   in Loop: Header=BB6_5693 Depth=2
	s_delay_alu instid0(SALU_CYCLE_1)
	s_or_b32 exec_lo, exec_lo, s29
                                        ; implicit-def: $vgpr6
.LBB6_6780:                             ;   in Loop: Header=BB6_5693 Depth=2
	s_and_not1_saveexec_b32 s10, s28
	s_cbranch_execz .LBB6_6782
; %bb.6781:                             ;   in Loop: Header=BB6_5693 Depth=2
	v_or_b32_e32 v0, 0x7b, v6
	scratch_store_b64 off, v[0:1], s33 offset:228 ; 8-byte Folded Spill
.LBB6_6782:                             ;   in Loop: Header=BB6_5693 Depth=2
	s_wait_xcnt 0x0
	s_or_b32 exec_lo, exec_lo, s10
                                        ; implicit-def: $vgpr2
.LBB6_6783:                             ;   in Loop: Header=BB6_5693 Depth=2
	s_and_not1_saveexec_b32 s10, s11
	s_cbranch_execz .LBB6_6789
; %bb.6784:                             ;   in Loop: Header=BB6_5693 Depth=2
	v_cmp_ne_u64_e32 vcc_lo, 0, v[0:1]
                                        ; implicit-def: $vgpr0
	scratch_store_b64 off, v[0:1], s33 offset:228 ; 8-byte Folded Spill
	s_wait_xcnt 0x0
	s_and_saveexec_b32 s11, vcc_lo
	s_delay_alu instid0(SALU_CYCLE_1)
	s_xor_b32 s11, exec_lo, s11
	s_cbranch_execz .LBB6_6786
; %bb.6785:                             ;   in Loop: Header=BB6_5693 Depth=2
	v_lshrrev_b32_e32 v0, 24, v2
                                        ; implicit-def: $vgpr2
	s_delay_alu instid0(VALU_DEP_1)
	v_or_b32_e32 v0, 0x7f, v0
	scratch_store_b64 off, v[0:1], s33 offset:228 ; 8-byte Folded Spill
.LBB6_6786:                             ;   in Loop: Header=BB6_5693 Depth=2
	s_wait_xcnt 0x0
	s_and_not1_saveexec_b32 s11, s11
	s_cbranch_execz .LBB6_6788
; %bb.6787:                             ;   in Loop: Header=BB6_5693 Depth=2
	v_cmp_lt_i32_e32 vcc_lo, -1, v2
	v_cndmask_b32_e64 v0, -4, 0x7c, vcc_lo
	scratch_store_b64 off, v[0:1], s33 offset:228 ; 8-byte Folded Spill
.LBB6_6788:                             ;   in Loop: Header=BB6_5693 Depth=2
	s_wait_xcnt 0x0
	s_or_b32 exec_lo, exec_lo, s11
.LBB6_6789:                             ;   in Loop: Header=BB6_5693 Depth=2
	s_delay_alu instid0(SALU_CYCLE_1)
	s_or_b32 exec_lo, exec_lo, s10
	s_clause 0x1f
	flat_load_i8 v54, v[12:13] th:TH_LOAD_NT
	flat_load_i8 v24, v[12:13] offset:32 th:TH_LOAD_NT
	flat_load_i8 v22, v[12:13] offset:64 th:TH_LOAD_NT
	;; [unrolled: 1-line block ×31, first 2 shown]
	v_and_b32_e32 v7, 0xff, v52
	v_dual_mov_b32 v0, 0 :: v_dual_mov_b32 v3, 0
	s_mov_b32 s11, exec_lo
	s_wait_xcnt 0x0
	s_delay_alu instid0(VALU_DEP_2)
	v_cmpx_ne_u16_e32 0, v7
	s_cbranch_execz .LBB6_6799
; %bb.6790:                             ;   in Loop: Header=BB6_5693 Depth=2
	v_bfrev_b32_e32 v3, 1
	s_mov_b32 s28, exec_lo
	v_cmpx_ne_u16_e32 0x80, v7
	s_cbranch_execz .LBB6_6798
; %bb.6791:                             ;   in Loop: Header=BB6_5693 Depth=2
	v_and_b32_e32 v3, 0x7c, v52
	v_and_b32_e32 v5, 3, v52
	s_delay_alu instid0(VALU_DEP_2) | instskip(SKIP_1) | instid1(SALU_CYCLE_1)
	v_cmp_ne_u32_e32 vcc_lo, 0x7c, v3
                                        ; implicit-def: $vgpr3
	s_and_saveexec_b32 s10, vcc_lo
	s_xor_b32 s10, exec_lo, s10
	s_cbranch_execz .LBB6_6795
; %bb.6792:                             ;   in Loop: Header=BB6_5693 Depth=2
	v_bfe_u32 v3, v7, 2, 5
	s_mov_b32 s29, exec_lo
	s_delay_alu instid0(VALU_DEP_1)
	v_cmpx_eq_u32_e32 0, v3
	s_cbranch_execz .LBB6_6794
; %bb.6793:                             ;   in Loop: Header=BB6_5693 Depth=2
	v_clz_i32_u32_e32 v3, v5
	s_delay_alu instid0(VALU_DEP_1) | instskip(SKIP_1) | instid1(VALU_DEP_2)
	v_min_u32_e32 v3, 32, v3
	v_mov_b32_e32 v53, v1
	v_subrev_nc_u32_e32 v5, 29, v3
	v_sub_nc_u32_e32 v3, 30, v3
	s_delay_alu instid0(VALU_DEP_2) | instskip(NEXT) | instid1(VALU_DEP_1)
	v_lshlrev_b64_e32 v[100:101], v5, v[52:53]
	v_and_b32_e32 v5, 3, v100
	scratch_load_b64 v[100:101], off, s33 offset:332 ; 8-byte Folded Reload
.LBB6_6794:                             ;   in Loop: Header=BB6_5693 Depth=2
	s_wait_xcnt 0x0
	s_or_b32 exec_lo, exec_lo, s29
	v_lshlrev_b32_e32 v7, 24, v52
                                        ; implicit-def: $vgpr52
	s_delay_alu instid0(VALU_DEP_1) | instskip(NEXT) | instid1(VALU_DEP_1)
	v_and_b32_e32 v7, 0x80000000, v7
	v_lshl_add_u32 v3, v3, 23, v7
	s_delay_alu instid0(VALU_DEP_1) | instskip(NEXT) | instid1(VALU_DEP_1)
	v_lshl_or_b32 v3, v5, 21, v3
                                        ; implicit-def: $vgpr5
	v_add_nc_u32_e32 v3, 0x38000000, v3
.LBB6_6795:                             ;   in Loop: Header=BB6_5693 Depth=2
	s_and_not1_saveexec_b32 s29, s10
; %bb.6796:                             ;   in Loop: Header=BB6_5693 Depth=2
	v_bfe_i32 v3, v52, 0, 8
	v_cmp_eq_u32_e32 vcc_lo, 0, v5
	s_delay_alu instid0(VALU_DEP_2) | instskip(SKIP_1) | instid1(VALU_DEP_1)
	v_cmp_lt_i16_e64 s10, -1, v3
	v_mov_b32_e32 v3, 0x7f800000
	v_cndmask_b32_e64 v3, 0xff800000, v3, s10
	s_delay_alu instid0(VALU_DEP_1)
	v_cndmask_b32_e32 v3, 0x7f800001, v3, vcc_lo
; %bb.6797:                             ;   in Loop: Header=BB6_5693 Depth=2
	s_or_b32 exec_lo, exec_lo, s29
.LBB6_6798:                             ;   in Loop: Header=BB6_5693 Depth=2
	s_delay_alu instid0(SALU_CYCLE_1)
	s_or_b32 exec_lo, exec_lo, s28
.LBB6_6799:                             ;   in Loop: Header=BB6_5693 Depth=2
	s_delay_alu instid0(SALU_CYCLE_1) | instskip(NEXT) | instid1(SALU_CYCLE_1)
	s_or_b32 exec_lo, exec_lo, s11
	s_mov_b32 s11, exec_lo
	s_wait_loadcnt_dscnt 0x1f1f
	v_cmpx_ne_u16_e32 0, v54
	s_cbranch_execz .LBB6_6809
; %bb.6800:                             ;   in Loop: Header=BB6_5693 Depth=2
	v_bfrev_b32_e32 v0, 1
	s_mov_b32 s28, exec_lo
	v_cmpx_ne_u16_e32 0xff80, v54
	s_cbranch_execz .LBB6_6808
; %bb.6801:                             ;   in Loop: Header=BB6_5693 Depth=2
	v_and_b32_e32 v0, 0x7c, v54
	v_and_b32_e32 v5, 3, v54
	s_delay_alu instid0(VALU_DEP_2) | instskip(SKIP_1) | instid1(SALU_CYCLE_1)
	v_cmp_ne_u32_e32 vcc_lo, 0x7c, v0
                                        ; implicit-def: $vgpr0
	s_and_saveexec_b32 s10, vcc_lo
	s_xor_b32 s10, exec_lo, s10
	s_cbranch_execz .LBB6_6805
; %bb.6802:                             ;   in Loop: Header=BB6_5693 Depth=2
	v_and_b32_e32 v0, 0xff, v54
	s_mov_b32 s29, exec_lo
	s_delay_alu instid0(VALU_DEP_1) | instskip(NEXT) | instid1(VALU_DEP_1)
	v_bfe_u32 v0, v0, 2, 5
	v_cmpx_eq_u32_e32 0, v0
	s_cbranch_execz .LBB6_6804
; %bb.6803:                             ;   in Loop: Header=BB6_5693 Depth=2
	v_clz_i32_u32_e32 v0, v5
	s_delay_alu instid0(VALU_DEP_1) | instskip(SKIP_1) | instid1(VALU_DEP_2)
	v_min_u32_e32 v0, 32, v0
	v_mov_b32_e32 v55, v1
	v_subrev_nc_u32_e32 v5, 29, v0
	v_sub_nc_u32_e32 v0, 30, v0
	s_delay_alu instid0(VALU_DEP_2) | instskip(NEXT) | instid1(VALU_DEP_1)
	v_lshlrev_b64_e32 v[52:53], v5, v[54:55]
	v_and_b32_e32 v5, 3, v52
.LBB6_6804:                             ;   in Loop: Header=BB6_5693 Depth=2
	s_or_b32 exec_lo, exec_lo, s29
	v_bfe_i32 v7, v54, 0, 16
                                        ; implicit-def: $vgpr54
	s_delay_alu instid0(VALU_DEP_1) | instskip(NEXT) | instid1(VALU_DEP_1)
	v_and_b32_e32 v7, 0x80000000, v7
	v_lshl_add_u32 v0, v0, 23, v7
	s_delay_alu instid0(VALU_DEP_1) | instskip(NEXT) | instid1(VALU_DEP_1)
	v_lshl_or_b32 v0, v5, 21, v0
                                        ; implicit-def: $vgpr5
	v_add_nc_u32_e32 v0, 0x38000000, v0
.LBB6_6805:                             ;   in Loop: Header=BB6_5693 Depth=2
	s_and_not1_saveexec_b32 s29, s10
; %bb.6806:                             ;   in Loop: Header=BB6_5693 Depth=2
	v_cmp_lt_i16_e64 s10, -1, v54
	v_mov_b32_e32 v0, 0x7f800000
	v_cmp_eq_u32_e32 vcc_lo, 0, v5
	s_delay_alu instid0(VALU_DEP_2) | instskip(NEXT) | instid1(VALU_DEP_1)
	v_cndmask_b32_e64 v0, 0xff800000, v0, s10
	v_cndmask_b32_e32 v0, 0x7f800001, v0, vcc_lo
; %bb.6807:                             ;   in Loop: Header=BB6_5693 Depth=2
	s_or_b32 exec_lo, exec_lo, s29
.LBB6_6808:                             ;   in Loop: Header=BB6_5693 Depth=2
	s_delay_alu instid0(SALU_CYCLE_1)
	s_or_b32 exec_lo, exec_lo, s28
.LBB6_6809:                             ;   in Loop: Header=BB6_5693 Depth=2
	s_delay_alu instid0(SALU_CYCLE_1) | instskip(NEXT) | instid1(VALU_DEP_1)
	s_or_b32 exec_lo, exec_lo, s11
	v_dual_add_f32 v5, v3, v0 :: v_dual_mov_b32 v53, v1
	s_delay_alu instid0(VALU_DEP_1) | instskip(SKIP_1) | instid1(VALU_DEP_2)
	v_and_b32_e32 v52, 0x7f800000, v5
	v_and_b32_e32 v0, 0x7fffff, v5
	v_cmp_ne_u64_e32 vcc_lo, 0x7f800000, v[52:53]
                                        ; implicit-def: $vgpr53
	s_and_saveexec_b32 s10, vcc_lo
	s_delay_alu instid0(SALU_CYCLE_1)
	s_xor_b32 s11, exec_lo, s10
	s_cbranch_execz .LBB6_6827
; %bb.6810:                             ;   in Loop: Header=BB6_5693 Depth=2
	v_and_b32_e32 v52, 0x7fffffff, v5
	v_dual_mov_b32 v53, v1 :: v_dual_lshrrev_b32 v3, 24, v5
	s_delay_alu instid0(VALU_DEP_1) | instskip(NEXT) | instid1(VALU_DEP_2)
	v_cmp_gt_u64_e32 vcc_lo, 0x47600001, v[52:53]
	v_and_b32_e32 v3, 0x80, v3
                                        ; implicit-def: $vgpr53
	s_and_saveexec_b32 s10, vcc_lo
	s_delay_alu instid0(SALU_CYCLE_1)
	s_xor_b32 s28, exec_lo, s10
	s_cbranch_execz .LBB6_6824
; %bb.6811:                             ;   in Loop: Header=BB6_5693 Depth=2
	v_mov_b32_e32 v53, 0
	s_mov_b32 s29, exec_lo
	v_cmpx_ne_u32_e32 0, v5
	s_cbranch_execz .LBB6_6823
; %bb.6812:                             ;   in Loop: Header=BB6_5693 Depth=2
	v_bfe_u32 v5, v5, 23, 8
	v_or_b32_e32 v9, 0x800000, v0
	v_mov_b32_e32 v53, v1
	s_delay_alu instid0(VALU_DEP_3) | instskip(SKIP_1) | instid1(VALU_DEP_4)
	v_cmp_eq_u32_e32 vcc_lo, 0, v5
	v_cmp_gt_u32_e64 s10, 0x72, v5
	v_dual_cndmask_b32 v52, v9, v0 :: v_dual_sub_nc_u32 v7, 0x71, v5
	s_delay_alu instid0(VALU_DEP_1) | instskip(NEXT) | instid1(VALU_DEP_1)
	v_cndmask_b32_e64 v7, 0, v7, s10
	v_cndmask_b32_e64 v7, v7, 0x70, vcc_lo
	s_delay_alu instid0(VALU_DEP_1) | instskip(NEXT) | instid1(VALU_DEP_1)
	v_add_nc_u32_e32 v0, 21, v7
	v_lshlrev_b64_e64 v[54:55], v0, -1
	v_add_nc_u32_e32 v0, 20, v7
	s_wait_loadcnt 0x0
	s_delay_alu instid0(VALU_DEP_1) | instskip(NEXT) | instid1(VALU_DEP_3)
	v_lshlrev_b64_e64 v[100:101], v0, 1
	v_bfi_b32 v54, v54, 0, v52
	v_lshrrev_b64 v[52:53], v7, v[52:53]
	v_bfi_b32 v55, v55, 0, 0
	s_delay_alu instid0(VALU_DEP_1) | instskip(NEXT) | instid1(VALU_DEP_3)
	v_cmp_eq_u64_e64 s10, v[54:55], v[100:101]
	v_mov_b64_e32 v[54:55], v[52:53]
	s_and_saveexec_b32 s40, s10
; %bb.6813:                             ;   in Loop: Header=BB6_5693 Depth=2
	v_bfe_u32 v54, v52, 21, 1
	v_mov_b32_e32 v55, v1
	s_delay_alu instid0(VALU_DEP_1) | instskip(NEXT) | instid1(VALU_DEP_1)
	v_add_nc_u64_e32 v[54:55], v[52:53], v[54:55]
	v_add_nc_u64_e32 v[54:55], -1, v[54:55]
; %bb.6814:                             ;   in Loop: Header=BB6_5693 Depth=2
	s_or_b32 exec_lo, exec_lo, s40
	v_add_nc_u32_e32 v0, 0xffffff81, v5
	s_delay_alu instid0(VALU_DEP_2) | instskip(SKIP_2) | instid1(VALU_DEP_3)
	v_and_b32_e32 v17, 0x1fffff, v54
	v_lshrrev_b32_e32 v5, 23, v52
	s_mov_b32 s10, exec_lo
	v_cndmask_b32_e64 v0, v0, 0xffffff82, vcc_lo
	s_delay_alu instid0(VALU_DEP_1) | instskip(SKIP_1) | instid1(VALU_DEP_2)
	v_add3_u32 v9, v7, v0, v5
	v_add_nc_u32_e32 v0, v17, v52
                                        ; implicit-def: $vgpr52_vgpr53
                                        ; implicit-def: $vgpr5
	v_add_nc_u32_e32 v7, 14, v9
	s_delay_alu instid0(VALU_DEP_1)
	v_cmpx_ne_u32_e32 0, v7
	s_xor_b32 s10, exec_lo, s10
; %bb.6815:                             ;   in Loop: Header=BB6_5693 Depth=2
	s_delay_alu instid0(VALU_DEP_3) | instskip(SKIP_1) | instid1(VALU_DEP_1)
	v_cmp_lt_u64_e32 vcc_lo, 0xffffff, v[0:1]
	v_add_nc_u32_e32 v5, 15, v9
	v_cndmask_b32_e32 v5, v7, v5, vcc_lo
	v_cndmask_b32_e64 v7, 0, 1, vcc_lo
	s_delay_alu instid0(VALU_DEP_1)
	v_lshrrev_b64 v[52:53], v7, v[0:1]
; %bb.6816:                             ;   in Loop: Header=BB6_5693 Depth=2
	s_or_saveexec_b32 s10, s10
	scratch_load_b64 v[100:101], off, s33 offset:332 ; 8-byte Folded Reload
	s_wait_xcnt 0x0
	s_xor_b32 exec_lo, exec_lo, s10
; %bb.6817:                             ;   in Loop: Header=BB6_5693 Depth=2
	v_mov_b64_e32 v[52:53], v[0:1]
	v_bfe_u32 v5, v0, 23, 1
; %bb.6818:                             ;   in Loop: Header=BB6_5693 Depth=2
	s_or_b32 exec_lo, exec_lo, s10
	s_delay_alu instid0(VALU_DEP_2) | instskip(NEXT) | instid1(VALU_DEP_2)
	v_lshrrev_b64 v[52:53], 21, v[52:53]
	v_cmp_gt_i32_e32 vcc_lo, 32, v5
	v_cmp_ne_u32_e64 s10, 0, v5
	s_delay_alu instid0(VALU_DEP_3) | instskip(NEXT) | instid1(VALU_DEP_1)
	v_dual_cndmask_b32 v53, 0, v53 :: v_dual_cndmask_b32 v52, 3, v52
	v_cmp_ne_u64_e32 vcc_lo, 0, v[52:53]
                                        ; implicit-def: $vgpr53
	s_or_b32 s10, s10, vcc_lo
	s_delay_alu instid0(SALU_CYCLE_1) | instskip(NEXT) | instid1(SALU_CYCLE_1)
	s_and_saveexec_b32 s40, s10
	s_xor_b32 s10, exec_lo, s40
; %bb.6819:                             ;   in Loop: Header=BB6_5693 Depth=2
	v_min_i32_e32 v0, 31, v5
	s_delay_alu instid0(VALU_DEP_1) | instskip(NEXT) | instid1(VALU_DEP_1)
	v_lshl_or_b32 v0, v0, 2, v3
                                        ; implicit-def: $vgpr3
	v_and_or_b32 v53, v52, 3, v0
; %bb.6820:                             ;   in Loop: Header=BB6_5693 Depth=2
	s_and_not1_saveexec_b32 s10, s10
; %bb.6821:                             ;   in Loop: Header=BB6_5693 Depth=2
	v_mov_b32_e32 v53, v3
; %bb.6822:                             ;   in Loop: Header=BB6_5693 Depth=2
	s_or_b32 exec_lo, exec_lo, s10
.LBB6_6823:                             ;   in Loop: Header=BB6_5693 Depth=2
	s_delay_alu instid0(SALU_CYCLE_1)
	s_or_b32 exec_lo, exec_lo, s29
                                        ; implicit-def: $vgpr3
.LBB6_6824:                             ;   in Loop: Header=BB6_5693 Depth=2
	s_and_not1_saveexec_b32 s10, s28
; %bb.6825:                             ;   in Loop: Header=BB6_5693 Depth=2
	v_or_b32_e32 v53, 0x7b, v3
; %bb.6826:                             ;   in Loop: Header=BB6_5693 Depth=2
	s_or_b32 exec_lo, exec_lo, s10
                                        ; implicit-def: $vgpr5
.LBB6_6827:                             ;   in Loop: Header=BB6_5693 Depth=2
	s_and_not1_saveexec_b32 s10, s11
	s_cbranch_execz .LBB6_6833
; %bb.6828:                             ;   in Loop: Header=BB6_5693 Depth=2
	s_mov_b32 s11, exec_lo
                                        ; implicit-def: $vgpr53
	v_cmpx_ne_u64_e32 0, v[0:1]
	s_xor_b32 s11, exec_lo, s11
; %bb.6829:                             ;   in Loop: Header=BB6_5693 Depth=2
	v_lshrrev_b32_e32 v0, 24, v5
                                        ; implicit-def: $vgpr5
	s_delay_alu instid0(VALU_DEP_1)
	v_or_b32_e32 v53, 0x7f, v0
; %bb.6830:                             ;   in Loop: Header=BB6_5693 Depth=2
	s_and_not1_saveexec_b32 s11, s11
; %bb.6831:                             ;   in Loop: Header=BB6_5693 Depth=2
	v_cmp_lt_i32_e32 vcc_lo, -1, v5
	v_cndmask_b32_e64 v53, -4, 0x7c, vcc_lo
; %bb.6832:                             ;   in Loop: Header=BB6_5693 Depth=2
	s_or_b32 exec_lo, exec_lo, s11
.LBB6_6833:                             ;   in Loop: Header=BB6_5693 Depth=2
	s_delay_alu instid0(SALU_CYCLE_1) | instskip(SKIP_3) | instid1(VALU_DEP_2)
	s_or_b32 exec_lo, exec_lo, s10
	v_and_b32_e32 v7, 0xff, v30
	v_dual_mov_b32 v0, 0 :: v_dual_mov_b32 v3, 0
	s_mov_b32 s11, exec_lo
	v_cmpx_ne_u16_e32 0, v7
	s_cbranch_execz .LBB6_6843
; %bb.6834:                             ;   in Loop: Header=BB6_5693 Depth=2
	v_bfrev_b32_e32 v3, 1
	s_mov_b32 s28, exec_lo
	v_cmpx_ne_u16_e32 0x80, v7
	s_cbranch_execz .LBB6_6842
; %bb.6835:                             ;   in Loop: Header=BB6_5693 Depth=2
	v_and_b32_e32 v3, 0x7c, v30
	v_and_b32_e32 v5, 3, v30
	s_delay_alu instid0(VALU_DEP_2) | instskip(SKIP_1) | instid1(SALU_CYCLE_1)
	v_cmp_ne_u32_e32 vcc_lo, 0x7c, v3
                                        ; implicit-def: $vgpr3
	s_and_saveexec_b32 s10, vcc_lo
	s_xor_b32 s10, exec_lo, s10
	s_cbranch_execz .LBB6_6839
; %bb.6836:                             ;   in Loop: Header=BB6_5693 Depth=2
	v_bfe_u32 v3, v7, 2, 5
	s_mov_b32 s29, exec_lo
	s_delay_alu instid0(VALU_DEP_1)
	v_cmpx_eq_u32_e32 0, v3
	s_cbranch_execz .LBB6_6838
; %bb.6837:                             ;   in Loop: Header=BB6_5693 Depth=2
	v_clz_i32_u32_e32 v3, v5
	s_delay_alu instid0(VALU_DEP_1) | instskip(SKIP_1) | instid1(VALU_DEP_2)
	v_min_u32_e32 v3, 32, v3
	v_mov_b32_e32 v31, v1
	v_subrev_nc_u32_e32 v5, 29, v3
	v_sub_nc_u32_e32 v3, 30, v3
	s_delay_alu instid0(VALU_DEP_2) | instskip(NEXT) | instid1(VALU_DEP_1)
	v_lshlrev_b64_e32 v[54:55], v5, v[30:31]
	v_and_b32_e32 v5, 3, v54
.LBB6_6838:                             ;   in Loop: Header=BB6_5693 Depth=2
	s_or_b32 exec_lo, exec_lo, s29
	v_lshlrev_b32_e32 v7, 24, v30
                                        ; implicit-def: $vgpr30
	s_delay_alu instid0(VALU_DEP_1) | instskip(NEXT) | instid1(VALU_DEP_1)
	v_and_b32_e32 v7, 0x80000000, v7
	v_lshl_add_u32 v3, v3, 23, v7
	s_delay_alu instid0(VALU_DEP_1) | instskip(NEXT) | instid1(VALU_DEP_1)
	v_lshl_or_b32 v3, v5, 21, v3
                                        ; implicit-def: $vgpr5
	v_add_nc_u32_e32 v3, 0x38000000, v3
.LBB6_6839:                             ;   in Loop: Header=BB6_5693 Depth=2
	s_and_not1_saveexec_b32 s29, s10
; %bb.6840:                             ;   in Loop: Header=BB6_5693 Depth=2
	v_bfe_i32 v3, v30, 0, 8
	v_cmp_eq_u32_e32 vcc_lo, 0, v5
	s_delay_alu instid0(VALU_DEP_2) | instskip(SKIP_1) | instid1(VALU_DEP_1)
	v_cmp_lt_i16_e64 s10, -1, v3
	v_mov_b32_e32 v3, 0x7f800000
	v_cndmask_b32_e64 v3, 0xff800000, v3, s10
	s_delay_alu instid0(VALU_DEP_1)
	v_cndmask_b32_e32 v3, 0x7f800001, v3, vcc_lo
; %bb.6841:                             ;   in Loop: Header=BB6_5693 Depth=2
	s_or_b32 exec_lo, exec_lo, s29
.LBB6_6842:                             ;   in Loop: Header=BB6_5693 Depth=2
	s_delay_alu instid0(SALU_CYCLE_1)
	s_or_b32 exec_lo, exec_lo, s28
.LBB6_6843:                             ;   in Loop: Header=BB6_5693 Depth=2
	s_delay_alu instid0(SALU_CYCLE_1) | instskip(NEXT) | instid1(SALU_CYCLE_1)
	s_or_b32 exec_lo, exec_lo, s11
	s_mov_b32 s11, exec_lo
	s_wait_loadcnt_dscnt 0x1e1e
	v_cmpx_ne_u16_e32 0, v24
	s_cbranch_execz .LBB6_6853
; %bb.6844:                             ;   in Loop: Header=BB6_5693 Depth=2
	v_bfrev_b32_e32 v0, 1
	s_mov_b32 s28, exec_lo
	v_cmpx_ne_u16_e32 0xff80, v24
	s_cbranch_execz .LBB6_6852
; %bb.6845:                             ;   in Loop: Header=BB6_5693 Depth=2
	v_and_b32_e32 v0, 0x7c, v24
	v_and_b32_e32 v5, 3, v24
	s_delay_alu instid0(VALU_DEP_2) | instskip(SKIP_1) | instid1(SALU_CYCLE_1)
	v_cmp_ne_u32_e32 vcc_lo, 0x7c, v0
                                        ; implicit-def: $vgpr0
	s_and_saveexec_b32 s10, vcc_lo
	s_xor_b32 s10, exec_lo, s10
	s_cbranch_execz .LBB6_6849
; %bb.6846:                             ;   in Loop: Header=BB6_5693 Depth=2
	v_and_b32_e32 v0, 0xff, v24
	s_mov_b32 s29, exec_lo
	s_delay_alu instid0(VALU_DEP_1) | instskip(NEXT) | instid1(VALU_DEP_1)
	v_bfe_u32 v0, v0, 2, 5
	v_cmpx_eq_u32_e32 0, v0
	s_cbranch_execz .LBB6_6848
; %bb.6847:                             ;   in Loop: Header=BB6_5693 Depth=2
	v_clz_i32_u32_e32 v0, v5
	s_delay_alu instid0(VALU_DEP_1) | instskip(SKIP_1) | instid1(VALU_DEP_2)
	v_min_u32_e32 v0, 32, v0
	v_mov_b32_e32 v25, v1
	v_subrev_nc_u32_e32 v5, 29, v0
	v_sub_nc_u32_e32 v0, 30, v0
	s_delay_alu instid0(VALU_DEP_2) | instskip(NEXT) | instid1(VALU_DEP_1)
	v_lshlrev_b64_e32 v[30:31], v5, v[24:25]
	v_and_b32_e32 v5, 3, v30
.LBB6_6848:                             ;   in Loop: Header=BB6_5693 Depth=2
	s_or_b32 exec_lo, exec_lo, s29
	v_bfe_i32 v7, v24, 0, 16
                                        ; implicit-def: $vgpr24
	s_delay_alu instid0(VALU_DEP_1) | instskip(NEXT) | instid1(VALU_DEP_1)
	v_and_b32_e32 v7, 0x80000000, v7
	v_lshl_add_u32 v0, v0, 23, v7
	s_delay_alu instid0(VALU_DEP_1) | instskip(NEXT) | instid1(VALU_DEP_1)
	v_lshl_or_b32 v0, v5, 21, v0
                                        ; implicit-def: $vgpr5
	v_add_nc_u32_e32 v0, 0x38000000, v0
.LBB6_6849:                             ;   in Loop: Header=BB6_5693 Depth=2
	s_and_not1_saveexec_b32 s29, s10
; %bb.6850:                             ;   in Loop: Header=BB6_5693 Depth=2
	v_cmp_lt_i16_e64 s10, -1, v24
	v_mov_b32_e32 v0, 0x7f800000
	v_cmp_eq_u32_e32 vcc_lo, 0, v5
	s_delay_alu instid0(VALU_DEP_2) | instskip(NEXT) | instid1(VALU_DEP_1)
	v_cndmask_b32_e64 v0, 0xff800000, v0, s10
	v_cndmask_b32_e32 v0, 0x7f800001, v0, vcc_lo
; %bb.6851:                             ;   in Loop: Header=BB6_5693 Depth=2
	s_or_b32 exec_lo, exec_lo, s29
.LBB6_6852:                             ;   in Loop: Header=BB6_5693 Depth=2
	s_delay_alu instid0(SALU_CYCLE_1)
	s_or_b32 exec_lo, exec_lo, s28
.LBB6_6853:                             ;   in Loop: Header=BB6_5693 Depth=2
	s_delay_alu instid0(SALU_CYCLE_1) | instskip(NEXT) | instid1(VALU_DEP_1)
	s_or_b32 exec_lo, exec_lo, s11
	v_dual_add_f32 v5, v3, v0 :: v_dual_mov_b32 v25, v1
                                        ; implicit-def: $vgpr30
	s_mov_b32 s10, exec_lo
	s_delay_alu instid0(VALU_DEP_1) | instskip(SKIP_1) | instid1(VALU_DEP_2)
	v_and_b32_e32 v24, 0x7f800000, v5
	v_and_b32_e32 v0, 0x7fffff, v5
	v_cmpx_ne_u64_e32 0x7f800000, v[24:25]
	s_xor_b32 s11, exec_lo, s10
	s_cbranch_execz .LBB6_6871
; %bb.6854:                             ;   in Loop: Header=BB6_5693 Depth=2
	v_dual_mov_b32 v25, v1 :: v_dual_lshrrev_b32 v3, 24, v5
	v_and_b32_e32 v24, 0x7fffffff, v5
                                        ; implicit-def: $vgpr30
	s_mov_b32 s10, exec_lo
	s_delay_alu instid0(VALU_DEP_2) | instskip(NEXT) | instid1(VALU_DEP_2)
	v_and_b32_e32 v3, 0x80, v3
	v_cmpx_gt_u64_e32 0x47600001, v[24:25]
	s_xor_b32 s28, exec_lo, s10
	s_cbranch_execz .LBB6_6868
; %bb.6855:                             ;   in Loop: Header=BB6_5693 Depth=2
	v_mov_b32_e32 v30, 0
	s_mov_b32 s29, exec_lo
	v_cmpx_ne_u32_e32 0, v5
	s_cbranch_execz .LBB6_6867
; %bb.6856:                             ;   in Loop: Header=BB6_5693 Depth=2
	v_bfe_u32 v5, v5, 23, 8
	v_or_b32_e32 v9, 0x800000, v0
	v_mov_b32_e32 v25, v1
	s_delay_alu instid0(VALU_DEP_3) | instskip(SKIP_1) | instid1(VALU_DEP_4)
	v_cmp_eq_u32_e32 vcc_lo, 0, v5
	v_cmp_gt_u32_e64 s10, 0x72, v5
	v_dual_cndmask_b32 v24, v9, v0 :: v_dual_sub_nc_u32 v7, 0x71, v5
	s_delay_alu instid0(VALU_DEP_1) | instskip(NEXT) | instid1(VALU_DEP_1)
	v_cndmask_b32_e64 v7, 0, v7, s10
	v_cndmask_b32_e64 v7, v7, 0x70, vcc_lo
	s_delay_alu instid0(VALU_DEP_1) | instskip(NEXT) | instid1(VALU_DEP_1)
	v_add_nc_u32_e32 v0, 21, v7
	v_lshlrev_b64_e64 v[30:31], v0, -1
	v_add_nc_u32_e32 v0, 20, v7
	s_delay_alu instid0(VALU_DEP_1) | instskip(NEXT) | instid1(VALU_DEP_3)
	v_lshlrev_b64_e64 v[54:55], v0, 1
	v_bfi_b32 v30, v30, 0, v24
	v_lshrrev_b64 v[24:25], v7, v[24:25]
	v_bfi_b32 v31, v31, 0, 0
	s_delay_alu instid0(VALU_DEP_1) | instskip(NEXT) | instid1(VALU_DEP_3)
	v_cmp_eq_u64_e64 s10, v[30:31], v[54:55]
	v_mov_b64_e32 v[30:31], v[24:25]
	s_and_saveexec_b32 s40, s10
; %bb.6857:                             ;   in Loop: Header=BB6_5693 Depth=2
	v_bfe_u32 v30, v24, 21, 1
	v_mov_b32_e32 v31, v1
	s_delay_alu instid0(VALU_DEP_1) | instskip(NEXT) | instid1(VALU_DEP_1)
	v_add_nc_u64_e32 v[30:31], v[24:25], v[30:31]
	v_add_nc_u64_e32 v[30:31], -1, v[30:31]
; %bb.6858:                             ;   in Loop: Header=BB6_5693 Depth=2
	s_or_b32 exec_lo, exec_lo, s40
	v_add_nc_u32_e32 v0, 0xffffff81, v5
	s_delay_alu instid0(VALU_DEP_2) | instskip(SKIP_2) | instid1(VALU_DEP_3)
	v_and_b32_e32 v17, 0x1fffff, v30
	v_lshrrev_b32_e32 v5, 23, v24
	s_mov_b32 s10, exec_lo
	v_cndmask_b32_e64 v0, v0, 0xffffff82, vcc_lo
	s_delay_alu instid0(VALU_DEP_1) | instskip(SKIP_1) | instid1(VALU_DEP_2)
	v_add3_u32 v9, v7, v0, v5
	v_add_nc_u32_e32 v0, v17, v24
                                        ; implicit-def: $vgpr24_vgpr25
                                        ; implicit-def: $vgpr5
	v_add_nc_u32_e32 v7, 14, v9
	s_delay_alu instid0(VALU_DEP_1)
	v_cmpx_ne_u32_e32 0, v7
	s_xor_b32 s10, exec_lo, s10
; %bb.6859:                             ;   in Loop: Header=BB6_5693 Depth=2
	s_delay_alu instid0(VALU_DEP_3) | instskip(SKIP_1) | instid1(VALU_DEP_1)
	v_cmp_lt_u64_e32 vcc_lo, 0xffffff, v[0:1]
	v_add_nc_u32_e32 v5, 15, v9
	v_cndmask_b32_e32 v5, v7, v5, vcc_lo
	v_cndmask_b32_e64 v7, 0, 1, vcc_lo
	s_delay_alu instid0(VALU_DEP_1)
	v_lshrrev_b64 v[24:25], v7, v[0:1]
; %bb.6860:                             ;   in Loop: Header=BB6_5693 Depth=2
	s_and_not1_saveexec_b32 s10, s10
; %bb.6861:                             ;   in Loop: Header=BB6_5693 Depth=2
	v_mov_b64_e32 v[24:25], v[0:1]
	v_bfe_u32 v5, v0, 23, 1
; %bb.6862:                             ;   in Loop: Header=BB6_5693 Depth=2
	s_or_b32 exec_lo, exec_lo, s10
	s_delay_alu instid0(VALU_DEP_2) | instskip(NEXT) | instid1(VALU_DEP_2)
	v_lshrrev_b64 v[24:25], 21, v[24:25]
	v_cmp_gt_i32_e32 vcc_lo, 32, v5
	v_cmp_ne_u32_e64 s10, 0, v5
                                        ; implicit-def: $vgpr30
	s_delay_alu instid0(VALU_DEP_3) | instskip(NEXT) | instid1(VALU_DEP_1)
	v_dual_cndmask_b32 v25, 0, v25 :: v_dual_cndmask_b32 v24, 3, v24
	v_cmp_ne_u64_e32 vcc_lo, 0, v[24:25]
	s_or_b32 s10, s10, vcc_lo
	s_delay_alu instid0(SALU_CYCLE_1) | instskip(NEXT) | instid1(SALU_CYCLE_1)
	s_and_saveexec_b32 s40, s10
	s_xor_b32 s10, exec_lo, s40
; %bb.6863:                             ;   in Loop: Header=BB6_5693 Depth=2
	v_min_i32_e32 v0, 31, v5
	s_delay_alu instid0(VALU_DEP_1) | instskip(NEXT) | instid1(VALU_DEP_1)
	v_lshl_or_b32 v0, v0, 2, v3
                                        ; implicit-def: $vgpr3
	v_and_or_b32 v30, v24, 3, v0
; %bb.6864:                             ;   in Loop: Header=BB6_5693 Depth=2
	s_and_not1_saveexec_b32 s10, s10
; %bb.6865:                             ;   in Loop: Header=BB6_5693 Depth=2
	v_mov_b32_e32 v30, v3
; %bb.6866:                             ;   in Loop: Header=BB6_5693 Depth=2
	s_or_b32 exec_lo, exec_lo, s10
.LBB6_6867:                             ;   in Loop: Header=BB6_5693 Depth=2
	s_delay_alu instid0(SALU_CYCLE_1)
	s_or_b32 exec_lo, exec_lo, s29
                                        ; implicit-def: $vgpr3
.LBB6_6868:                             ;   in Loop: Header=BB6_5693 Depth=2
	s_and_not1_saveexec_b32 s10, s28
; %bb.6869:                             ;   in Loop: Header=BB6_5693 Depth=2
	v_or_b32_e32 v30, 0x7b, v3
; %bb.6870:                             ;   in Loop: Header=BB6_5693 Depth=2
	s_or_b32 exec_lo, exec_lo, s10
                                        ; implicit-def: $vgpr5
.LBB6_6871:                             ;   in Loop: Header=BB6_5693 Depth=2
	s_and_not1_saveexec_b32 s10, s11
	s_cbranch_execz .LBB6_6877
; %bb.6872:                             ;   in Loop: Header=BB6_5693 Depth=2
	s_mov_b32 s11, exec_lo
                                        ; implicit-def: $vgpr30
	v_cmpx_ne_u64_e32 0, v[0:1]
	s_xor_b32 s11, exec_lo, s11
; %bb.6873:                             ;   in Loop: Header=BB6_5693 Depth=2
	v_lshrrev_b32_e32 v0, 24, v5
                                        ; implicit-def: $vgpr5
	s_delay_alu instid0(VALU_DEP_1)
	v_or_b32_e32 v30, 0x7f, v0
; %bb.6874:                             ;   in Loop: Header=BB6_5693 Depth=2
	s_and_not1_saveexec_b32 s11, s11
; %bb.6875:                             ;   in Loop: Header=BB6_5693 Depth=2
	v_cmp_lt_i32_e32 vcc_lo, -1, v5
	v_cndmask_b32_e64 v30, -4, 0x7c, vcc_lo
; %bb.6876:                             ;   in Loop: Header=BB6_5693 Depth=2
	s_or_b32 exec_lo, exec_lo, s11
.LBB6_6877:                             ;   in Loop: Header=BB6_5693 Depth=2
	s_delay_alu instid0(SALU_CYCLE_1) | instskip(SKIP_3) | instid1(VALU_DEP_2)
	s_or_b32 exec_lo, exec_lo, s10
	v_and_b32_e32 v7, 0xff, v28
	v_dual_mov_b32 v0, 0 :: v_dual_mov_b32 v3, 0
	s_mov_b32 s11, exec_lo
	v_cmpx_ne_u16_e32 0, v7
	s_cbranch_execz .LBB6_6887
; %bb.6878:                             ;   in Loop: Header=BB6_5693 Depth=2
	v_bfrev_b32_e32 v3, 1
	s_mov_b32 s28, exec_lo
	v_cmpx_ne_u16_e32 0x80, v7
	s_cbranch_execz .LBB6_6886
; %bb.6879:                             ;   in Loop: Header=BB6_5693 Depth=2
	v_and_b32_e32 v3, 0x7c, v28
	v_and_b32_e32 v5, 3, v28
	s_delay_alu instid0(VALU_DEP_2) | instskip(SKIP_1) | instid1(SALU_CYCLE_1)
	v_cmp_ne_u32_e32 vcc_lo, 0x7c, v3
                                        ; implicit-def: $vgpr3
	s_and_saveexec_b32 s10, vcc_lo
	s_xor_b32 s10, exec_lo, s10
	s_cbranch_execz .LBB6_6883
; %bb.6880:                             ;   in Loop: Header=BB6_5693 Depth=2
	v_bfe_u32 v3, v7, 2, 5
	s_mov_b32 s29, exec_lo
	s_delay_alu instid0(VALU_DEP_1)
	v_cmpx_eq_u32_e32 0, v3
	s_cbranch_execz .LBB6_6882
; %bb.6881:                             ;   in Loop: Header=BB6_5693 Depth=2
	v_clz_i32_u32_e32 v3, v5
	s_delay_alu instid0(VALU_DEP_1) | instskip(SKIP_1) | instid1(VALU_DEP_2)
	v_min_u32_e32 v3, 32, v3
	v_mov_b32_e32 v29, v1
	v_subrev_nc_u32_e32 v5, 29, v3
	v_sub_nc_u32_e32 v3, 30, v3
	s_delay_alu instid0(VALU_DEP_2) | instskip(NEXT) | instid1(VALU_DEP_1)
	v_lshlrev_b64_e32 v[24:25], v5, v[28:29]
	v_and_b32_e32 v5, 3, v24
.LBB6_6882:                             ;   in Loop: Header=BB6_5693 Depth=2
	s_or_b32 exec_lo, exec_lo, s29
	v_lshlrev_b32_e32 v7, 24, v28
                                        ; implicit-def: $vgpr28
	s_delay_alu instid0(VALU_DEP_1) | instskip(NEXT) | instid1(VALU_DEP_1)
	v_and_b32_e32 v7, 0x80000000, v7
	v_lshl_add_u32 v3, v3, 23, v7
	s_delay_alu instid0(VALU_DEP_1) | instskip(NEXT) | instid1(VALU_DEP_1)
	v_lshl_or_b32 v3, v5, 21, v3
                                        ; implicit-def: $vgpr5
	v_add_nc_u32_e32 v3, 0x38000000, v3
.LBB6_6883:                             ;   in Loop: Header=BB6_5693 Depth=2
	s_and_not1_saveexec_b32 s29, s10
; %bb.6884:                             ;   in Loop: Header=BB6_5693 Depth=2
	v_bfe_i32 v3, v28, 0, 8
	v_cmp_eq_u32_e32 vcc_lo, 0, v5
	s_delay_alu instid0(VALU_DEP_2) | instskip(SKIP_1) | instid1(VALU_DEP_1)
	v_cmp_lt_i16_e64 s10, -1, v3
	v_mov_b32_e32 v3, 0x7f800000
	v_cndmask_b32_e64 v3, 0xff800000, v3, s10
	s_delay_alu instid0(VALU_DEP_1)
	v_cndmask_b32_e32 v3, 0x7f800001, v3, vcc_lo
; %bb.6885:                             ;   in Loop: Header=BB6_5693 Depth=2
	s_or_b32 exec_lo, exec_lo, s29
.LBB6_6886:                             ;   in Loop: Header=BB6_5693 Depth=2
	s_delay_alu instid0(SALU_CYCLE_1)
	s_or_b32 exec_lo, exec_lo, s28
.LBB6_6887:                             ;   in Loop: Header=BB6_5693 Depth=2
	s_delay_alu instid0(SALU_CYCLE_1) | instskip(NEXT) | instid1(SALU_CYCLE_1)
	s_or_b32 exec_lo, exec_lo, s11
	s_mov_b32 s11, exec_lo
	s_wait_loadcnt_dscnt 0x1d1d
	v_cmpx_ne_u16_e32 0, v22
	s_cbranch_execz .LBB6_6897
; %bb.6888:                             ;   in Loop: Header=BB6_5693 Depth=2
	v_bfrev_b32_e32 v0, 1
	s_mov_b32 s28, exec_lo
	v_cmpx_ne_u16_e32 0xff80, v22
	s_cbranch_execz .LBB6_6896
; %bb.6889:                             ;   in Loop: Header=BB6_5693 Depth=2
	v_and_b32_e32 v0, 0x7c, v22
	v_and_b32_e32 v5, 3, v22
	s_delay_alu instid0(VALU_DEP_2) | instskip(SKIP_1) | instid1(SALU_CYCLE_1)
	v_cmp_ne_u32_e32 vcc_lo, 0x7c, v0
                                        ; implicit-def: $vgpr0
	s_and_saveexec_b32 s10, vcc_lo
	s_xor_b32 s10, exec_lo, s10
	s_cbranch_execz .LBB6_6893
; %bb.6890:                             ;   in Loop: Header=BB6_5693 Depth=2
	v_and_b32_e32 v0, 0xff, v22
	s_mov_b32 s29, exec_lo
	s_delay_alu instid0(VALU_DEP_1) | instskip(NEXT) | instid1(VALU_DEP_1)
	v_bfe_u32 v0, v0, 2, 5
	v_cmpx_eq_u32_e32 0, v0
	s_cbranch_execz .LBB6_6892
; %bb.6891:                             ;   in Loop: Header=BB6_5693 Depth=2
	v_clz_i32_u32_e32 v0, v5
	s_delay_alu instid0(VALU_DEP_1) | instskip(SKIP_1) | instid1(VALU_DEP_2)
	v_min_u32_e32 v0, 32, v0
	v_mov_b32_e32 v23, v1
	v_subrev_nc_u32_e32 v5, 29, v0
	v_sub_nc_u32_e32 v0, 30, v0
	s_delay_alu instid0(VALU_DEP_2) | instskip(NEXT) | instid1(VALU_DEP_1)
	v_lshlrev_b64_e32 v[24:25], v5, v[22:23]
	v_and_b32_e32 v5, 3, v24
.LBB6_6892:                             ;   in Loop: Header=BB6_5693 Depth=2
	s_or_b32 exec_lo, exec_lo, s29
	v_bfe_i32 v7, v22, 0, 16
                                        ; implicit-def: $vgpr22
	s_delay_alu instid0(VALU_DEP_1) | instskip(NEXT) | instid1(VALU_DEP_1)
	v_and_b32_e32 v7, 0x80000000, v7
	v_lshl_add_u32 v0, v0, 23, v7
	s_delay_alu instid0(VALU_DEP_1) | instskip(NEXT) | instid1(VALU_DEP_1)
	v_lshl_or_b32 v0, v5, 21, v0
                                        ; implicit-def: $vgpr5
	v_add_nc_u32_e32 v0, 0x38000000, v0
.LBB6_6893:                             ;   in Loop: Header=BB6_5693 Depth=2
	s_and_not1_saveexec_b32 s29, s10
; %bb.6894:                             ;   in Loop: Header=BB6_5693 Depth=2
	v_cmp_lt_i16_e64 s10, -1, v22
	v_mov_b32_e32 v0, 0x7f800000
	v_cmp_eq_u32_e32 vcc_lo, 0, v5
	s_delay_alu instid0(VALU_DEP_2) | instskip(NEXT) | instid1(VALU_DEP_1)
	v_cndmask_b32_e64 v0, 0xff800000, v0, s10
	v_cndmask_b32_e32 v0, 0x7f800001, v0, vcc_lo
; %bb.6895:                             ;   in Loop: Header=BB6_5693 Depth=2
	s_or_b32 exec_lo, exec_lo, s29
.LBB6_6896:                             ;   in Loop: Header=BB6_5693 Depth=2
	s_delay_alu instid0(SALU_CYCLE_1)
	s_or_b32 exec_lo, exec_lo, s28
.LBB6_6897:                             ;   in Loop: Header=BB6_5693 Depth=2
	s_delay_alu instid0(SALU_CYCLE_1) | instskip(NEXT) | instid1(VALU_DEP_1)
	s_or_b32 exec_lo, exec_lo, s11
	v_dual_add_f32 v5, v3, v0 :: v_dual_mov_b32 v23, v1
                                        ; implicit-def: $vgpr24
	s_mov_b32 s10, exec_lo
	s_delay_alu instid0(VALU_DEP_1) | instskip(SKIP_1) | instid1(VALU_DEP_2)
	v_and_b32_e32 v22, 0x7f800000, v5
	v_and_b32_e32 v0, 0x7fffff, v5
	v_cmpx_ne_u64_e32 0x7f800000, v[22:23]
	s_xor_b32 s11, exec_lo, s10
	s_cbranch_execz .LBB6_6915
; %bb.6898:                             ;   in Loop: Header=BB6_5693 Depth=2
	v_dual_mov_b32 v23, v1 :: v_dual_lshrrev_b32 v3, 24, v5
	v_and_b32_e32 v22, 0x7fffffff, v5
                                        ; implicit-def: $vgpr24
	s_mov_b32 s10, exec_lo
	s_delay_alu instid0(VALU_DEP_2) | instskip(NEXT) | instid1(VALU_DEP_2)
	v_and_b32_e32 v3, 0x80, v3
	v_cmpx_gt_u64_e32 0x47600001, v[22:23]
	s_xor_b32 s28, exec_lo, s10
	s_cbranch_execz .LBB6_6912
; %bb.6899:                             ;   in Loop: Header=BB6_5693 Depth=2
	v_mov_b32_e32 v24, 0
	s_mov_b32 s29, exec_lo
	v_cmpx_ne_u32_e32 0, v5
	s_cbranch_execz .LBB6_6911
; %bb.6900:                             ;   in Loop: Header=BB6_5693 Depth=2
	v_bfe_u32 v5, v5, 23, 8
	v_or_b32_e32 v9, 0x800000, v0
	v_mov_b32_e32 v23, v1
	s_delay_alu instid0(VALU_DEP_3) | instskip(SKIP_1) | instid1(VALU_DEP_4)
	v_cmp_eq_u32_e32 vcc_lo, 0, v5
	v_cmp_gt_u32_e64 s10, 0x72, v5
	v_dual_cndmask_b32 v22, v9, v0 :: v_dual_sub_nc_u32 v7, 0x71, v5
	s_delay_alu instid0(VALU_DEP_1) | instskip(NEXT) | instid1(VALU_DEP_1)
	v_cndmask_b32_e64 v7, 0, v7, s10
	v_cndmask_b32_e64 v7, v7, 0x70, vcc_lo
	s_delay_alu instid0(VALU_DEP_1) | instskip(NEXT) | instid1(VALU_DEP_1)
	v_add_nc_u32_e32 v0, 21, v7
	v_lshlrev_b64_e64 v[24:25], v0, -1
	v_add_nc_u32_e32 v0, 20, v7
	s_delay_alu instid0(VALU_DEP_1) | instskip(NEXT) | instid1(VALU_DEP_3)
	v_lshlrev_b64_e64 v[28:29], v0, 1
	v_bfi_b32 v24, v24, 0, v22
	v_lshrrev_b64 v[22:23], v7, v[22:23]
	v_bfi_b32 v25, v25, 0, 0
	s_delay_alu instid0(VALU_DEP_1) | instskip(NEXT) | instid1(VALU_DEP_3)
	v_cmp_eq_u64_e64 s10, v[24:25], v[28:29]
	v_mov_b64_e32 v[24:25], v[22:23]
	s_and_saveexec_b32 s40, s10
; %bb.6901:                             ;   in Loop: Header=BB6_5693 Depth=2
	v_bfe_u32 v24, v22, 21, 1
	v_mov_b32_e32 v25, v1
	s_delay_alu instid0(VALU_DEP_1) | instskip(NEXT) | instid1(VALU_DEP_1)
	v_add_nc_u64_e32 v[24:25], v[22:23], v[24:25]
	v_add_nc_u64_e32 v[24:25], -1, v[24:25]
; %bb.6902:                             ;   in Loop: Header=BB6_5693 Depth=2
	s_or_b32 exec_lo, exec_lo, s40
	v_add_nc_u32_e32 v0, 0xffffff81, v5
	s_delay_alu instid0(VALU_DEP_2) | instskip(SKIP_2) | instid1(VALU_DEP_3)
	v_and_b32_e32 v17, 0x1fffff, v24
	v_lshrrev_b32_e32 v5, 23, v22
	s_mov_b32 s10, exec_lo
	v_cndmask_b32_e64 v0, v0, 0xffffff82, vcc_lo
	s_delay_alu instid0(VALU_DEP_1) | instskip(SKIP_1) | instid1(VALU_DEP_2)
	v_add3_u32 v9, v7, v0, v5
	v_add_nc_u32_e32 v0, v17, v22
                                        ; implicit-def: $vgpr22_vgpr23
                                        ; implicit-def: $vgpr5
	v_add_nc_u32_e32 v7, 14, v9
	s_delay_alu instid0(VALU_DEP_1)
	v_cmpx_ne_u32_e32 0, v7
	s_xor_b32 s10, exec_lo, s10
; %bb.6903:                             ;   in Loop: Header=BB6_5693 Depth=2
	s_delay_alu instid0(VALU_DEP_3) | instskip(SKIP_1) | instid1(VALU_DEP_1)
	v_cmp_lt_u64_e32 vcc_lo, 0xffffff, v[0:1]
	v_add_nc_u32_e32 v5, 15, v9
	v_cndmask_b32_e32 v5, v7, v5, vcc_lo
	v_cndmask_b32_e64 v7, 0, 1, vcc_lo
	s_delay_alu instid0(VALU_DEP_1)
	v_lshrrev_b64 v[22:23], v7, v[0:1]
; %bb.6904:                             ;   in Loop: Header=BB6_5693 Depth=2
	s_and_not1_saveexec_b32 s10, s10
; %bb.6905:                             ;   in Loop: Header=BB6_5693 Depth=2
	v_mov_b64_e32 v[22:23], v[0:1]
	v_bfe_u32 v5, v0, 23, 1
; %bb.6906:                             ;   in Loop: Header=BB6_5693 Depth=2
	s_or_b32 exec_lo, exec_lo, s10
	s_delay_alu instid0(VALU_DEP_2) | instskip(NEXT) | instid1(VALU_DEP_2)
	v_lshrrev_b64 v[22:23], 21, v[22:23]
	v_cmp_gt_i32_e32 vcc_lo, 32, v5
	v_cmp_ne_u32_e64 s10, 0, v5
                                        ; implicit-def: $vgpr24
	s_delay_alu instid0(VALU_DEP_3) | instskip(NEXT) | instid1(VALU_DEP_1)
	v_dual_cndmask_b32 v23, 0, v23 :: v_dual_cndmask_b32 v22, 3, v22
	v_cmp_ne_u64_e32 vcc_lo, 0, v[22:23]
	s_or_b32 s10, s10, vcc_lo
	s_delay_alu instid0(SALU_CYCLE_1) | instskip(NEXT) | instid1(SALU_CYCLE_1)
	s_and_saveexec_b32 s40, s10
	s_xor_b32 s10, exec_lo, s40
; %bb.6907:                             ;   in Loop: Header=BB6_5693 Depth=2
	v_min_i32_e32 v0, 31, v5
	s_delay_alu instid0(VALU_DEP_1) | instskip(NEXT) | instid1(VALU_DEP_1)
	v_lshl_or_b32 v0, v0, 2, v3
                                        ; implicit-def: $vgpr3
	v_and_or_b32 v24, v22, 3, v0
; %bb.6908:                             ;   in Loop: Header=BB6_5693 Depth=2
	s_and_not1_saveexec_b32 s10, s10
; %bb.6909:                             ;   in Loop: Header=BB6_5693 Depth=2
	v_mov_b32_e32 v24, v3
; %bb.6910:                             ;   in Loop: Header=BB6_5693 Depth=2
	s_or_b32 exec_lo, exec_lo, s10
.LBB6_6911:                             ;   in Loop: Header=BB6_5693 Depth=2
	s_delay_alu instid0(SALU_CYCLE_1)
	s_or_b32 exec_lo, exec_lo, s29
                                        ; implicit-def: $vgpr3
.LBB6_6912:                             ;   in Loop: Header=BB6_5693 Depth=2
	s_and_not1_saveexec_b32 s10, s28
; %bb.6913:                             ;   in Loop: Header=BB6_5693 Depth=2
	v_or_b32_e32 v24, 0x7b, v3
; %bb.6914:                             ;   in Loop: Header=BB6_5693 Depth=2
	s_or_b32 exec_lo, exec_lo, s10
                                        ; implicit-def: $vgpr5
.LBB6_6915:                             ;   in Loop: Header=BB6_5693 Depth=2
	s_and_not1_saveexec_b32 s10, s11
	s_cbranch_execz .LBB6_6921
; %bb.6916:                             ;   in Loop: Header=BB6_5693 Depth=2
	s_mov_b32 s11, exec_lo
                                        ; implicit-def: $vgpr24
	v_cmpx_ne_u64_e32 0, v[0:1]
	s_xor_b32 s11, exec_lo, s11
; %bb.6917:                             ;   in Loop: Header=BB6_5693 Depth=2
	v_lshrrev_b32_e32 v0, 24, v5
                                        ; implicit-def: $vgpr5
	s_delay_alu instid0(VALU_DEP_1)
	v_or_b32_e32 v24, 0x7f, v0
; %bb.6918:                             ;   in Loop: Header=BB6_5693 Depth=2
	s_and_not1_saveexec_b32 s11, s11
; %bb.6919:                             ;   in Loop: Header=BB6_5693 Depth=2
	v_cmp_lt_i32_e32 vcc_lo, -1, v5
	v_cndmask_b32_e64 v24, -4, 0x7c, vcc_lo
; %bb.6920:                             ;   in Loop: Header=BB6_5693 Depth=2
	s_or_b32 exec_lo, exec_lo, s11
.LBB6_6921:                             ;   in Loop: Header=BB6_5693 Depth=2
	s_delay_alu instid0(SALU_CYCLE_1) | instskip(SKIP_3) | instid1(VALU_DEP_2)
	s_or_b32 exec_lo, exec_lo, s10
	v_and_b32_e32 v7, 0xff, v66
	v_dual_mov_b32 v0, 0 :: v_dual_mov_b32 v3, 0
	s_mov_b32 s11, exec_lo
	v_cmpx_ne_u16_e32 0, v7
	s_cbranch_execz .LBB6_6931
; %bb.6922:                             ;   in Loop: Header=BB6_5693 Depth=2
	v_bfrev_b32_e32 v3, 1
	s_mov_b32 s28, exec_lo
	v_cmpx_ne_u16_e32 0x80, v7
	s_cbranch_execz .LBB6_6930
; %bb.6923:                             ;   in Loop: Header=BB6_5693 Depth=2
	v_and_b32_e32 v3, 0x7c, v66
	v_and_b32_e32 v5, 3, v66
	s_delay_alu instid0(VALU_DEP_2) | instskip(SKIP_1) | instid1(SALU_CYCLE_1)
	v_cmp_ne_u32_e32 vcc_lo, 0x7c, v3
                                        ; implicit-def: $vgpr3
	s_and_saveexec_b32 s10, vcc_lo
	s_xor_b32 s10, exec_lo, s10
	s_cbranch_execz .LBB6_6927
; %bb.6924:                             ;   in Loop: Header=BB6_5693 Depth=2
	v_bfe_u32 v3, v7, 2, 5
	s_mov_b32 s29, exec_lo
	s_delay_alu instid0(VALU_DEP_1)
	v_cmpx_eq_u32_e32 0, v3
	s_cbranch_execz .LBB6_6926
; %bb.6925:                             ;   in Loop: Header=BB6_5693 Depth=2
	v_clz_i32_u32_e32 v3, v5
	s_delay_alu instid0(VALU_DEP_1) | instskip(SKIP_1) | instid1(VALU_DEP_2)
	v_min_u32_e32 v3, 32, v3
	v_mov_b32_e32 v67, v1
	v_subrev_nc_u32_e32 v5, 29, v3
	v_sub_nc_u32_e32 v3, 30, v3
	s_delay_alu instid0(VALU_DEP_2) | instskip(NEXT) | instid1(VALU_DEP_1)
	v_lshlrev_b64_e32 v[22:23], v5, v[66:67]
	v_and_b32_e32 v5, 3, v22
.LBB6_6926:                             ;   in Loop: Header=BB6_5693 Depth=2
	s_or_b32 exec_lo, exec_lo, s29
	v_lshlrev_b32_e32 v7, 24, v66
                                        ; implicit-def: $vgpr66
	s_delay_alu instid0(VALU_DEP_1) | instskip(NEXT) | instid1(VALU_DEP_1)
	v_and_b32_e32 v7, 0x80000000, v7
	v_lshl_add_u32 v3, v3, 23, v7
	s_delay_alu instid0(VALU_DEP_1) | instskip(NEXT) | instid1(VALU_DEP_1)
	v_lshl_or_b32 v3, v5, 21, v3
                                        ; implicit-def: $vgpr5
	v_add_nc_u32_e32 v3, 0x38000000, v3
.LBB6_6927:                             ;   in Loop: Header=BB6_5693 Depth=2
	s_and_not1_saveexec_b32 s29, s10
; %bb.6928:                             ;   in Loop: Header=BB6_5693 Depth=2
	v_bfe_i32 v3, v66, 0, 8
	v_cmp_eq_u32_e32 vcc_lo, 0, v5
	s_delay_alu instid0(VALU_DEP_2) | instskip(SKIP_1) | instid1(VALU_DEP_1)
	v_cmp_lt_i16_e64 s10, -1, v3
	v_mov_b32_e32 v3, 0x7f800000
	v_cndmask_b32_e64 v3, 0xff800000, v3, s10
	s_delay_alu instid0(VALU_DEP_1)
	v_cndmask_b32_e32 v3, 0x7f800001, v3, vcc_lo
; %bb.6929:                             ;   in Loop: Header=BB6_5693 Depth=2
	s_or_b32 exec_lo, exec_lo, s29
.LBB6_6930:                             ;   in Loop: Header=BB6_5693 Depth=2
	s_delay_alu instid0(SALU_CYCLE_1)
	s_or_b32 exec_lo, exec_lo, s28
.LBB6_6931:                             ;   in Loop: Header=BB6_5693 Depth=2
	s_delay_alu instid0(SALU_CYCLE_1) | instskip(NEXT) | instid1(SALU_CYCLE_1)
	s_or_b32 exec_lo, exec_lo, s11
	s_mov_b32 s11, exec_lo
	s_wait_loadcnt_dscnt 0x1c1c
	v_cmpx_ne_u16_e32 0, v20
	s_cbranch_execz .LBB6_6941
; %bb.6932:                             ;   in Loop: Header=BB6_5693 Depth=2
	v_bfrev_b32_e32 v0, 1
	s_mov_b32 s28, exec_lo
	v_cmpx_ne_u16_e32 0xff80, v20
	s_cbranch_execz .LBB6_6940
; %bb.6933:                             ;   in Loop: Header=BB6_5693 Depth=2
	v_and_b32_e32 v0, 0x7c, v20
	v_and_b32_e32 v5, 3, v20
	s_delay_alu instid0(VALU_DEP_2) | instskip(SKIP_1) | instid1(SALU_CYCLE_1)
	v_cmp_ne_u32_e32 vcc_lo, 0x7c, v0
                                        ; implicit-def: $vgpr0
	s_and_saveexec_b32 s10, vcc_lo
	s_xor_b32 s10, exec_lo, s10
	s_cbranch_execz .LBB6_6937
; %bb.6934:                             ;   in Loop: Header=BB6_5693 Depth=2
	v_and_b32_e32 v0, 0xff, v20
	s_mov_b32 s29, exec_lo
	s_delay_alu instid0(VALU_DEP_1) | instskip(NEXT) | instid1(VALU_DEP_1)
	v_bfe_u32 v0, v0, 2, 5
	v_cmpx_eq_u32_e32 0, v0
	s_cbranch_execz .LBB6_6936
; %bb.6935:                             ;   in Loop: Header=BB6_5693 Depth=2
	v_clz_i32_u32_e32 v0, v5
	s_delay_alu instid0(VALU_DEP_1) | instskip(SKIP_1) | instid1(VALU_DEP_2)
	v_min_u32_e32 v0, 32, v0
	v_mov_b32_e32 v21, v1
	v_subrev_nc_u32_e32 v5, 29, v0
	v_sub_nc_u32_e32 v0, 30, v0
	s_delay_alu instid0(VALU_DEP_2) | instskip(NEXT) | instid1(VALU_DEP_1)
	v_lshlrev_b64_e32 v[22:23], v5, v[20:21]
	v_and_b32_e32 v5, 3, v22
.LBB6_6936:                             ;   in Loop: Header=BB6_5693 Depth=2
	s_or_b32 exec_lo, exec_lo, s29
	v_bfe_i32 v7, v20, 0, 16
                                        ; implicit-def: $vgpr20
	s_delay_alu instid0(VALU_DEP_1) | instskip(NEXT) | instid1(VALU_DEP_1)
	v_and_b32_e32 v7, 0x80000000, v7
	v_lshl_add_u32 v0, v0, 23, v7
	s_delay_alu instid0(VALU_DEP_1) | instskip(NEXT) | instid1(VALU_DEP_1)
	v_lshl_or_b32 v0, v5, 21, v0
                                        ; implicit-def: $vgpr5
	v_add_nc_u32_e32 v0, 0x38000000, v0
.LBB6_6937:                             ;   in Loop: Header=BB6_5693 Depth=2
	s_and_not1_saveexec_b32 s29, s10
; %bb.6938:                             ;   in Loop: Header=BB6_5693 Depth=2
	v_cmp_lt_i16_e64 s10, -1, v20
	v_mov_b32_e32 v0, 0x7f800000
	v_cmp_eq_u32_e32 vcc_lo, 0, v5
	s_delay_alu instid0(VALU_DEP_2) | instskip(NEXT) | instid1(VALU_DEP_1)
	v_cndmask_b32_e64 v0, 0xff800000, v0, s10
	v_cndmask_b32_e32 v0, 0x7f800001, v0, vcc_lo
; %bb.6939:                             ;   in Loop: Header=BB6_5693 Depth=2
	s_or_b32 exec_lo, exec_lo, s29
.LBB6_6940:                             ;   in Loop: Header=BB6_5693 Depth=2
	s_delay_alu instid0(SALU_CYCLE_1)
	s_or_b32 exec_lo, exec_lo, s28
.LBB6_6941:                             ;   in Loop: Header=BB6_5693 Depth=2
	s_delay_alu instid0(SALU_CYCLE_1) | instskip(NEXT) | instid1(VALU_DEP_1)
	s_or_b32 exec_lo, exec_lo, s11
	v_dual_add_f32 v5, v3, v0 :: v_dual_mov_b32 v21, v1
                                        ; implicit-def: $vgpr22
	s_mov_b32 s10, exec_lo
	s_delay_alu instid0(VALU_DEP_1) | instskip(SKIP_1) | instid1(VALU_DEP_2)
	v_and_b32_e32 v20, 0x7f800000, v5
	v_and_b32_e32 v0, 0x7fffff, v5
	v_cmpx_ne_u64_e32 0x7f800000, v[20:21]
	s_xor_b32 s11, exec_lo, s10
	s_cbranch_execz .LBB6_6959
; %bb.6942:                             ;   in Loop: Header=BB6_5693 Depth=2
	v_dual_mov_b32 v21, v1 :: v_dual_lshrrev_b32 v3, 24, v5
	v_and_b32_e32 v20, 0x7fffffff, v5
                                        ; implicit-def: $vgpr22
	s_mov_b32 s10, exec_lo
	s_delay_alu instid0(VALU_DEP_2) | instskip(NEXT) | instid1(VALU_DEP_2)
	v_and_b32_e32 v3, 0x80, v3
	v_cmpx_gt_u64_e32 0x47600001, v[20:21]
	s_xor_b32 s28, exec_lo, s10
	s_cbranch_execz .LBB6_6956
; %bb.6943:                             ;   in Loop: Header=BB6_5693 Depth=2
	v_mov_b32_e32 v22, 0
	s_mov_b32 s29, exec_lo
	v_cmpx_ne_u32_e32 0, v5
	s_cbranch_execz .LBB6_6955
; %bb.6944:                             ;   in Loop: Header=BB6_5693 Depth=2
	v_bfe_u32 v5, v5, 23, 8
	v_or_b32_e32 v9, 0x800000, v0
	v_mov_b32_e32 v21, v1
	s_delay_alu instid0(VALU_DEP_3) | instskip(SKIP_1) | instid1(VALU_DEP_4)
	v_cmp_eq_u32_e32 vcc_lo, 0, v5
	v_cmp_gt_u32_e64 s10, 0x72, v5
	v_dual_cndmask_b32 v20, v9, v0 :: v_dual_sub_nc_u32 v7, 0x71, v5
	s_delay_alu instid0(VALU_DEP_1) | instskip(NEXT) | instid1(VALU_DEP_1)
	v_cndmask_b32_e64 v7, 0, v7, s10
	v_cndmask_b32_e64 v7, v7, 0x70, vcc_lo
	s_delay_alu instid0(VALU_DEP_1) | instskip(NEXT) | instid1(VALU_DEP_1)
	v_add_nc_u32_e32 v0, 21, v7
	v_lshlrev_b64_e64 v[22:23], v0, -1
	v_add_nc_u32_e32 v0, 20, v7
	s_delay_alu instid0(VALU_DEP_1) | instskip(NEXT) | instid1(VALU_DEP_3)
	v_lshlrev_b64_e64 v[28:29], v0, 1
	v_bfi_b32 v22, v22, 0, v20
	v_lshrrev_b64 v[20:21], v7, v[20:21]
	v_bfi_b32 v23, v23, 0, 0
	s_delay_alu instid0(VALU_DEP_1) | instskip(NEXT) | instid1(VALU_DEP_3)
	v_cmp_eq_u64_e64 s10, v[22:23], v[28:29]
	v_mov_b64_e32 v[22:23], v[20:21]
	s_and_saveexec_b32 s40, s10
; %bb.6945:                             ;   in Loop: Header=BB6_5693 Depth=2
	v_bfe_u32 v22, v20, 21, 1
	v_mov_b32_e32 v23, v1
	s_delay_alu instid0(VALU_DEP_1) | instskip(NEXT) | instid1(VALU_DEP_1)
	v_add_nc_u64_e32 v[22:23], v[20:21], v[22:23]
	v_add_nc_u64_e32 v[22:23], -1, v[22:23]
; %bb.6946:                             ;   in Loop: Header=BB6_5693 Depth=2
	s_or_b32 exec_lo, exec_lo, s40
	v_add_nc_u32_e32 v0, 0xffffff81, v5
	s_delay_alu instid0(VALU_DEP_2) | instskip(SKIP_2) | instid1(VALU_DEP_3)
	v_and_b32_e32 v17, 0x1fffff, v22
	v_lshrrev_b32_e32 v5, 23, v20
	s_mov_b32 s10, exec_lo
	v_cndmask_b32_e64 v0, v0, 0xffffff82, vcc_lo
	s_delay_alu instid0(VALU_DEP_1) | instskip(SKIP_1) | instid1(VALU_DEP_2)
	v_add3_u32 v9, v7, v0, v5
	v_add_nc_u32_e32 v0, v17, v20
                                        ; implicit-def: $vgpr20_vgpr21
                                        ; implicit-def: $vgpr5
	v_add_nc_u32_e32 v7, 14, v9
	s_delay_alu instid0(VALU_DEP_1)
	v_cmpx_ne_u32_e32 0, v7
	s_xor_b32 s10, exec_lo, s10
; %bb.6947:                             ;   in Loop: Header=BB6_5693 Depth=2
	s_delay_alu instid0(VALU_DEP_3) | instskip(SKIP_1) | instid1(VALU_DEP_1)
	v_cmp_lt_u64_e32 vcc_lo, 0xffffff, v[0:1]
	v_add_nc_u32_e32 v5, 15, v9
	v_cndmask_b32_e32 v5, v7, v5, vcc_lo
	v_cndmask_b32_e64 v7, 0, 1, vcc_lo
	s_delay_alu instid0(VALU_DEP_1)
	v_lshrrev_b64 v[20:21], v7, v[0:1]
; %bb.6948:                             ;   in Loop: Header=BB6_5693 Depth=2
	s_and_not1_saveexec_b32 s10, s10
; %bb.6949:                             ;   in Loop: Header=BB6_5693 Depth=2
	v_mov_b64_e32 v[20:21], v[0:1]
	v_bfe_u32 v5, v0, 23, 1
; %bb.6950:                             ;   in Loop: Header=BB6_5693 Depth=2
	s_or_b32 exec_lo, exec_lo, s10
	s_delay_alu instid0(VALU_DEP_2) | instskip(NEXT) | instid1(VALU_DEP_2)
	v_lshrrev_b64 v[20:21], 21, v[20:21]
	v_cmp_gt_i32_e32 vcc_lo, 32, v5
	v_cmp_ne_u32_e64 s10, 0, v5
                                        ; implicit-def: $vgpr22
	s_delay_alu instid0(VALU_DEP_3) | instskip(NEXT) | instid1(VALU_DEP_1)
	v_dual_cndmask_b32 v21, 0, v21 :: v_dual_cndmask_b32 v20, 3, v20
	v_cmp_ne_u64_e32 vcc_lo, 0, v[20:21]
	s_or_b32 s10, s10, vcc_lo
	s_delay_alu instid0(SALU_CYCLE_1) | instskip(NEXT) | instid1(SALU_CYCLE_1)
	s_and_saveexec_b32 s40, s10
	s_xor_b32 s10, exec_lo, s40
; %bb.6951:                             ;   in Loop: Header=BB6_5693 Depth=2
	v_min_i32_e32 v0, 31, v5
	s_delay_alu instid0(VALU_DEP_1) | instskip(NEXT) | instid1(VALU_DEP_1)
	v_lshl_or_b32 v0, v0, 2, v3
                                        ; implicit-def: $vgpr3
	v_and_or_b32 v22, v20, 3, v0
; %bb.6952:                             ;   in Loop: Header=BB6_5693 Depth=2
	s_and_not1_saveexec_b32 s10, s10
; %bb.6953:                             ;   in Loop: Header=BB6_5693 Depth=2
	v_mov_b32_e32 v22, v3
; %bb.6954:                             ;   in Loop: Header=BB6_5693 Depth=2
	s_or_b32 exec_lo, exec_lo, s10
.LBB6_6955:                             ;   in Loop: Header=BB6_5693 Depth=2
	s_delay_alu instid0(SALU_CYCLE_1)
	s_or_b32 exec_lo, exec_lo, s29
                                        ; implicit-def: $vgpr3
.LBB6_6956:                             ;   in Loop: Header=BB6_5693 Depth=2
	s_and_not1_saveexec_b32 s10, s28
; %bb.6957:                             ;   in Loop: Header=BB6_5693 Depth=2
	v_or_b32_e32 v22, 0x7b, v3
; %bb.6958:                             ;   in Loop: Header=BB6_5693 Depth=2
	s_or_b32 exec_lo, exec_lo, s10
                                        ; implicit-def: $vgpr5
.LBB6_6959:                             ;   in Loop: Header=BB6_5693 Depth=2
	s_and_not1_saveexec_b32 s10, s11
	s_cbranch_execz .LBB6_6965
; %bb.6960:                             ;   in Loop: Header=BB6_5693 Depth=2
	s_mov_b32 s11, exec_lo
                                        ; implicit-def: $vgpr22
	v_cmpx_ne_u64_e32 0, v[0:1]
	s_xor_b32 s11, exec_lo, s11
; %bb.6961:                             ;   in Loop: Header=BB6_5693 Depth=2
	v_lshrrev_b32_e32 v0, 24, v5
                                        ; implicit-def: $vgpr5
	s_delay_alu instid0(VALU_DEP_1)
	v_or_b32_e32 v22, 0x7f, v0
; %bb.6962:                             ;   in Loop: Header=BB6_5693 Depth=2
	s_and_not1_saveexec_b32 s11, s11
; %bb.6963:                             ;   in Loop: Header=BB6_5693 Depth=2
	v_cmp_lt_i32_e32 vcc_lo, -1, v5
	v_cndmask_b32_e64 v22, -4, 0x7c, vcc_lo
; %bb.6964:                             ;   in Loop: Header=BB6_5693 Depth=2
	s_or_b32 exec_lo, exec_lo, s11
.LBB6_6965:                             ;   in Loop: Header=BB6_5693 Depth=2
	s_delay_alu instid0(SALU_CYCLE_1) | instskip(SKIP_3) | instid1(VALU_DEP_2)
	s_or_b32 exec_lo, exec_lo, s10
	v_and_b32_e32 v7, 0xff, v124
	v_dual_mov_b32 v0, 0 :: v_dual_mov_b32 v3, 0
	s_mov_b32 s11, exec_lo
	v_cmpx_ne_u16_e32 0, v7
	s_cbranch_execz .LBB6_6975
; %bb.6966:                             ;   in Loop: Header=BB6_5693 Depth=2
	v_bfrev_b32_e32 v3, 1
	s_mov_b32 s28, exec_lo
	v_cmpx_ne_u16_e32 0x80, v7
	s_cbranch_execz .LBB6_6974
; %bb.6967:                             ;   in Loop: Header=BB6_5693 Depth=2
	v_and_b32_e32 v3, 0x7c, v124
	v_and_b32_e32 v5, 3, v124
	s_delay_alu instid0(VALU_DEP_2) | instskip(SKIP_1) | instid1(SALU_CYCLE_1)
	v_cmp_ne_u32_e32 vcc_lo, 0x7c, v3
                                        ; implicit-def: $vgpr3
	s_and_saveexec_b32 s10, vcc_lo
	s_xor_b32 s10, exec_lo, s10
	s_cbranch_execz .LBB6_6971
; %bb.6968:                             ;   in Loop: Header=BB6_5693 Depth=2
	v_bfe_u32 v3, v7, 2, 5
	s_mov_b32 s29, exec_lo
	s_delay_alu instid0(VALU_DEP_1)
	v_cmpx_eq_u32_e32 0, v3
	s_cbranch_execz .LBB6_6970
; %bb.6969:                             ;   in Loop: Header=BB6_5693 Depth=2
	v_clz_i32_u32_e32 v3, v5
	s_delay_alu instid0(VALU_DEP_1) | instskip(SKIP_1) | instid1(VALU_DEP_2)
	v_min_u32_e32 v3, 32, v3
	v_mov_b32_e32 v125, v1
	v_subrev_nc_u32_e32 v5, 29, v3
	v_sub_nc_u32_e32 v3, 30, v3
	s_delay_alu instid0(VALU_DEP_2) | instskip(NEXT) | instid1(VALU_DEP_1)
	v_lshlrev_b64_e32 v[20:21], v5, v[124:125]
	v_and_b32_e32 v5, 3, v20
.LBB6_6970:                             ;   in Loop: Header=BB6_5693 Depth=2
	s_or_b32 exec_lo, exec_lo, s29
	v_lshlrev_b32_e32 v7, 24, v124
                                        ; implicit-def: $vgpr124
	s_delay_alu instid0(VALU_DEP_1) | instskip(NEXT) | instid1(VALU_DEP_1)
	v_and_b32_e32 v7, 0x80000000, v7
	v_lshl_add_u32 v3, v3, 23, v7
	s_delay_alu instid0(VALU_DEP_1) | instskip(NEXT) | instid1(VALU_DEP_1)
	v_lshl_or_b32 v3, v5, 21, v3
                                        ; implicit-def: $vgpr5
	v_add_nc_u32_e32 v3, 0x38000000, v3
.LBB6_6971:                             ;   in Loop: Header=BB6_5693 Depth=2
	s_and_not1_saveexec_b32 s29, s10
; %bb.6972:                             ;   in Loop: Header=BB6_5693 Depth=2
	v_bfe_i32 v3, v124, 0, 8
	v_cmp_eq_u32_e32 vcc_lo, 0, v5
	s_delay_alu instid0(VALU_DEP_2) | instskip(SKIP_1) | instid1(VALU_DEP_1)
	v_cmp_lt_i16_e64 s10, -1, v3
	v_mov_b32_e32 v3, 0x7f800000
	v_cndmask_b32_e64 v3, 0xff800000, v3, s10
	s_delay_alu instid0(VALU_DEP_1)
	v_cndmask_b32_e32 v3, 0x7f800001, v3, vcc_lo
; %bb.6973:                             ;   in Loop: Header=BB6_5693 Depth=2
	s_or_b32 exec_lo, exec_lo, s29
.LBB6_6974:                             ;   in Loop: Header=BB6_5693 Depth=2
	s_delay_alu instid0(SALU_CYCLE_1)
	s_or_b32 exec_lo, exec_lo, s28
.LBB6_6975:                             ;   in Loop: Header=BB6_5693 Depth=2
	s_delay_alu instid0(SALU_CYCLE_1) | instskip(NEXT) | instid1(SALU_CYCLE_1)
	s_or_b32 exec_lo, exec_lo, s11
	s_mov_b32 s11, exec_lo
	s_wait_loadcnt_dscnt 0x1b1b
	v_cmpx_ne_u16_e32 0, v16
	s_cbranch_execz .LBB6_6985
; %bb.6976:                             ;   in Loop: Header=BB6_5693 Depth=2
	v_bfrev_b32_e32 v0, 1
	s_mov_b32 s28, exec_lo
	v_cmpx_ne_u16_e32 0xff80, v16
	s_cbranch_execz .LBB6_6984
; %bb.6977:                             ;   in Loop: Header=BB6_5693 Depth=2
	v_and_b32_e32 v0, 0x7c, v16
	v_and_b32_e32 v5, 3, v16
	s_delay_alu instid0(VALU_DEP_2) | instskip(SKIP_1) | instid1(SALU_CYCLE_1)
	v_cmp_ne_u32_e32 vcc_lo, 0x7c, v0
                                        ; implicit-def: $vgpr0
	s_and_saveexec_b32 s10, vcc_lo
	s_xor_b32 s10, exec_lo, s10
	s_cbranch_execz .LBB6_6981
; %bb.6978:                             ;   in Loop: Header=BB6_5693 Depth=2
	v_and_b32_e32 v0, 0xff, v16
	s_mov_b32 s29, exec_lo
	s_delay_alu instid0(VALU_DEP_1) | instskip(NEXT) | instid1(VALU_DEP_1)
	v_bfe_u32 v0, v0, 2, 5
	v_cmpx_eq_u32_e32 0, v0
	s_cbranch_execz .LBB6_6980
; %bb.6979:                             ;   in Loop: Header=BB6_5693 Depth=2
	v_clz_i32_u32_e32 v0, v5
	s_delay_alu instid0(VALU_DEP_1) | instskip(SKIP_1) | instid1(VALU_DEP_2)
	v_min_u32_e32 v0, 32, v0
	v_mov_b32_e32 v17, v1
	v_subrev_nc_u32_e32 v5, 29, v0
	v_sub_nc_u32_e32 v0, 30, v0
	s_delay_alu instid0(VALU_DEP_2) | instskip(NEXT) | instid1(VALU_DEP_1)
	v_lshlrev_b64_e32 v[20:21], v5, v[16:17]
	v_and_b32_e32 v5, 3, v20
.LBB6_6980:                             ;   in Loop: Header=BB6_5693 Depth=2
	s_or_b32 exec_lo, exec_lo, s29
	v_bfe_i32 v7, v16, 0, 16
                                        ; implicit-def: $vgpr16
	s_delay_alu instid0(VALU_DEP_1) | instskip(NEXT) | instid1(VALU_DEP_1)
	v_and_b32_e32 v7, 0x80000000, v7
	v_lshl_add_u32 v0, v0, 23, v7
	s_delay_alu instid0(VALU_DEP_1) | instskip(NEXT) | instid1(VALU_DEP_1)
	v_lshl_or_b32 v0, v5, 21, v0
                                        ; implicit-def: $vgpr5
	v_add_nc_u32_e32 v0, 0x38000000, v0
.LBB6_6981:                             ;   in Loop: Header=BB6_5693 Depth=2
	s_and_not1_saveexec_b32 s29, s10
; %bb.6982:                             ;   in Loop: Header=BB6_5693 Depth=2
	v_cmp_lt_i16_e64 s10, -1, v16
	v_mov_b32_e32 v0, 0x7f800000
	v_cmp_eq_u32_e32 vcc_lo, 0, v5
	s_delay_alu instid0(VALU_DEP_2) | instskip(NEXT) | instid1(VALU_DEP_1)
	v_cndmask_b32_e64 v0, 0xff800000, v0, s10
	v_cndmask_b32_e32 v0, 0x7f800001, v0, vcc_lo
; %bb.6983:                             ;   in Loop: Header=BB6_5693 Depth=2
	s_or_b32 exec_lo, exec_lo, s29
.LBB6_6984:                             ;   in Loop: Header=BB6_5693 Depth=2
	s_delay_alu instid0(SALU_CYCLE_1)
	s_or_b32 exec_lo, exec_lo, s28
.LBB6_6985:                             ;   in Loop: Header=BB6_5693 Depth=2
	s_delay_alu instid0(SALU_CYCLE_1) | instskip(NEXT) | instid1(VALU_DEP_1)
	s_or_b32 exec_lo, exec_lo, s11
	v_dual_add_f32 v5, v3, v0 :: v_dual_mov_b32 v17, v1
                                        ; implicit-def: $vgpr23
	s_mov_b32 s10, exec_lo
	s_delay_alu instid0(VALU_DEP_1) | instskip(SKIP_1) | instid1(VALU_DEP_2)
	v_and_b32_e32 v16, 0x7f800000, v5
	v_and_b32_e32 v0, 0x7fffff, v5
	v_cmpx_ne_u64_e32 0x7f800000, v[16:17]
	s_xor_b32 s11, exec_lo, s10
	s_cbranch_execz .LBB6_7003
; %bb.6986:                             ;   in Loop: Header=BB6_5693 Depth=2
	v_dual_mov_b32 v17, v1 :: v_dual_lshrrev_b32 v3, 24, v5
	v_and_b32_e32 v16, 0x7fffffff, v5
                                        ; implicit-def: $vgpr23
	s_mov_b32 s10, exec_lo
	s_delay_alu instid0(VALU_DEP_2) | instskip(NEXT) | instid1(VALU_DEP_2)
	v_and_b32_e32 v3, 0x80, v3
	v_cmpx_gt_u64_e32 0x47600001, v[16:17]
	s_xor_b32 s28, exec_lo, s10
	s_cbranch_execz .LBB6_7000
; %bb.6987:                             ;   in Loop: Header=BB6_5693 Depth=2
	v_mov_b32_e32 v23, 0
	s_mov_b32 s29, exec_lo
	v_cmpx_ne_u32_e32 0, v5
	s_cbranch_execz .LBB6_6999
; %bb.6988:                             ;   in Loop: Header=BB6_5693 Depth=2
	v_bfe_u32 v5, v5, 23, 8
	v_or_b32_e32 v9, 0x800000, v0
	v_mov_b32_e32 v17, v1
	s_delay_alu instid0(VALU_DEP_3) | instskip(SKIP_1) | instid1(VALU_DEP_4)
	v_cmp_eq_u32_e32 vcc_lo, 0, v5
	v_cmp_gt_u32_e64 s10, 0x72, v5
	v_dual_cndmask_b32 v16, v9, v0 :: v_dual_sub_nc_u32 v7, 0x71, v5
	s_delay_alu instid0(VALU_DEP_1) | instskip(NEXT) | instid1(VALU_DEP_1)
	v_cndmask_b32_e64 v7, 0, v7, s10
	v_cndmask_b32_e64 v7, v7, 0x70, vcc_lo
	s_delay_alu instid0(VALU_DEP_1) | instskip(NEXT) | instid1(VALU_DEP_1)
	v_add_nc_u32_e32 v0, 21, v7
	v_lshlrev_b64_e64 v[20:21], v0, -1
	v_add_nc_u32_e32 v0, 20, v7
	s_delay_alu instid0(VALU_DEP_1) | instskip(NEXT) | instid1(VALU_DEP_3)
	v_lshlrev_b64_e64 v[28:29], v0, 1
	v_bfi_b32 v20, v20, 0, v16
	v_lshrrev_b64 v[16:17], v7, v[16:17]
	v_bfi_b32 v21, v21, 0, 0
	s_delay_alu instid0(VALU_DEP_1) | instskip(NEXT) | instid1(VALU_DEP_3)
	v_cmp_eq_u64_e64 s10, v[20:21], v[28:29]
	v_mov_b64_e32 v[20:21], v[16:17]
	s_and_saveexec_b32 s40, s10
; %bb.6989:                             ;   in Loop: Header=BB6_5693 Depth=2
	v_bfe_u32 v20, v16, 21, 1
	v_mov_b32_e32 v21, v1
	s_delay_alu instid0(VALU_DEP_1) | instskip(NEXT) | instid1(VALU_DEP_1)
	v_add_nc_u64_e32 v[20:21], v[16:17], v[20:21]
	v_add_nc_u64_e32 v[20:21], -1, v[20:21]
; %bb.6990:                             ;   in Loop: Header=BB6_5693 Depth=2
	s_or_b32 exec_lo, exec_lo, s40
	v_add_nc_u32_e32 v0, 0xffffff81, v5
	s_delay_alu instid0(VALU_DEP_2) | instskip(SKIP_2) | instid1(VALU_DEP_3)
	v_and_b32_e32 v17, 0x1fffff, v20
	v_lshrrev_b32_e32 v5, 23, v16
	s_mov_b32 s10, exec_lo
	v_cndmask_b32_e64 v0, v0, 0xffffff82, vcc_lo
	s_delay_alu instid0(VALU_DEP_1) | instskip(SKIP_1) | instid1(VALU_DEP_2)
	v_add3_u32 v9, v7, v0, v5
	v_add_nc_u32_e32 v0, v17, v16
                                        ; implicit-def: $vgpr16_vgpr17
                                        ; implicit-def: $vgpr5
	v_add_nc_u32_e32 v7, 14, v9
	s_delay_alu instid0(VALU_DEP_1)
	v_cmpx_ne_u32_e32 0, v7
	s_xor_b32 s10, exec_lo, s10
; %bb.6991:                             ;   in Loop: Header=BB6_5693 Depth=2
	s_delay_alu instid0(VALU_DEP_3) | instskip(SKIP_1) | instid1(VALU_DEP_1)
	v_cmp_lt_u64_e32 vcc_lo, 0xffffff, v[0:1]
	v_add_nc_u32_e32 v5, 15, v9
	v_cndmask_b32_e32 v5, v7, v5, vcc_lo
	v_cndmask_b32_e64 v7, 0, 1, vcc_lo
	s_delay_alu instid0(VALU_DEP_1)
	v_lshrrev_b64 v[16:17], v7, v[0:1]
; %bb.6992:                             ;   in Loop: Header=BB6_5693 Depth=2
	s_and_not1_saveexec_b32 s10, s10
; %bb.6993:                             ;   in Loop: Header=BB6_5693 Depth=2
	v_mov_b64_e32 v[16:17], v[0:1]
	v_bfe_u32 v5, v0, 23, 1
; %bb.6994:                             ;   in Loop: Header=BB6_5693 Depth=2
	s_or_b32 exec_lo, exec_lo, s10
	s_delay_alu instid0(VALU_DEP_2) | instskip(NEXT) | instid1(VALU_DEP_2)
	v_lshrrev_b64 v[16:17], 21, v[16:17]
	v_cmp_gt_i32_e32 vcc_lo, 32, v5
	v_cmp_ne_u32_e64 s10, 0, v5
                                        ; implicit-def: $vgpr23
	s_delay_alu instid0(VALU_DEP_3) | instskip(NEXT) | instid1(VALU_DEP_1)
	v_dual_cndmask_b32 v17, 0, v17 :: v_dual_cndmask_b32 v16, 3, v16
	v_cmp_ne_u64_e32 vcc_lo, 0, v[16:17]
	s_or_b32 s10, s10, vcc_lo
	s_delay_alu instid0(SALU_CYCLE_1) | instskip(NEXT) | instid1(SALU_CYCLE_1)
	s_and_saveexec_b32 s40, s10
	s_xor_b32 s10, exec_lo, s40
; %bb.6995:                             ;   in Loop: Header=BB6_5693 Depth=2
	v_min_i32_e32 v0, 31, v5
	s_delay_alu instid0(VALU_DEP_1) | instskip(NEXT) | instid1(VALU_DEP_1)
	v_lshl_or_b32 v0, v0, 2, v3
                                        ; implicit-def: $vgpr3
	v_and_or_b32 v23, v16, 3, v0
; %bb.6996:                             ;   in Loop: Header=BB6_5693 Depth=2
	s_and_not1_saveexec_b32 s10, s10
; %bb.6997:                             ;   in Loop: Header=BB6_5693 Depth=2
	v_mov_b32_e32 v23, v3
; %bb.6998:                             ;   in Loop: Header=BB6_5693 Depth=2
	s_or_b32 exec_lo, exec_lo, s10
.LBB6_6999:                             ;   in Loop: Header=BB6_5693 Depth=2
	s_delay_alu instid0(SALU_CYCLE_1)
	s_or_b32 exec_lo, exec_lo, s29
                                        ; implicit-def: $vgpr3
.LBB6_7000:                             ;   in Loop: Header=BB6_5693 Depth=2
	s_and_not1_saveexec_b32 s10, s28
; %bb.7001:                             ;   in Loop: Header=BB6_5693 Depth=2
	v_or_b32_e32 v23, 0x7b, v3
; %bb.7002:                             ;   in Loop: Header=BB6_5693 Depth=2
	s_or_b32 exec_lo, exec_lo, s10
                                        ; implicit-def: $vgpr5
.LBB6_7003:                             ;   in Loop: Header=BB6_5693 Depth=2
	s_and_not1_saveexec_b32 s10, s11
	s_cbranch_execz .LBB6_7009
; %bb.7004:                             ;   in Loop: Header=BB6_5693 Depth=2
	s_mov_b32 s11, exec_lo
                                        ; implicit-def: $vgpr23
	v_cmpx_ne_u64_e32 0, v[0:1]
	s_xor_b32 s11, exec_lo, s11
; %bb.7005:                             ;   in Loop: Header=BB6_5693 Depth=2
	v_lshrrev_b32_e32 v0, 24, v5
                                        ; implicit-def: $vgpr5
	s_delay_alu instid0(VALU_DEP_1)
	v_or_b32_e32 v23, 0x7f, v0
; %bb.7006:                             ;   in Loop: Header=BB6_5693 Depth=2
	s_and_not1_saveexec_b32 s11, s11
; %bb.7007:                             ;   in Loop: Header=BB6_5693 Depth=2
	v_cmp_lt_i32_e32 vcc_lo, -1, v5
	v_cndmask_b32_e64 v23, -4, 0x7c, vcc_lo
; %bb.7008:                             ;   in Loop: Header=BB6_5693 Depth=2
	s_or_b32 exec_lo, exec_lo, s11
.LBB6_7009:                             ;   in Loop: Header=BB6_5693 Depth=2
	s_delay_alu instid0(SALU_CYCLE_1) | instskip(SKIP_3) | instid1(VALU_DEP_2)
	s_or_b32 exec_lo, exec_lo, s10
	v_and_b32_e32 v7, 0xff, v122
	v_dual_mov_b32 v0, 0 :: v_dual_mov_b32 v3, 0
	s_mov_b32 s11, exec_lo
	v_cmpx_ne_u16_e32 0, v7
	s_cbranch_execz .LBB6_7019
; %bb.7010:                             ;   in Loop: Header=BB6_5693 Depth=2
	v_bfrev_b32_e32 v3, 1
	s_mov_b32 s28, exec_lo
	v_cmpx_ne_u16_e32 0x80, v7
	s_cbranch_execz .LBB6_7018
; %bb.7011:                             ;   in Loop: Header=BB6_5693 Depth=2
	v_and_b32_e32 v3, 0x7c, v122
	v_and_b32_e32 v5, 3, v122
	s_delay_alu instid0(VALU_DEP_2) | instskip(SKIP_1) | instid1(SALU_CYCLE_1)
	v_cmp_ne_u32_e32 vcc_lo, 0x7c, v3
                                        ; implicit-def: $vgpr3
	s_and_saveexec_b32 s10, vcc_lo
	s_xor_b32 s10, exec_lo, s10
	s_cbranch_execz .LBB6_7015
; %bb.7012:                             ;   in Loop: Header=BB6_5693 Depth=2
	v_bfe_u32 v3, v7, 2, 5
	s_mov_b32 s29, exec_lo
	s_delay_alu instid0(VALU_DEP_1)
	v_cmpx_eq_u32_e32 0, v3
	s_cbranch_execz .LBB6_7014
; %bb.7013:                             ;   in Loop: Header=BB6_5693 Depth=2
	v_clz_i32_u32_e32 v3, v5
	s_delay_alu instid0(VALU_DEP_1) | instskip(SKIP_1) | instid1(VALU_DEP_2)
	v_min_u32_e32 v3, 32, v3
	v_mov_b32_e32 v123, v1
	v_subrev_nc_u32_e32 v5, 29, v3
	v_sub_nc_u32_e32 v3, 30, v3
	s_delay_alu instid0(VALU_DEP_2) | instskip(NEXT) | instid1(VALU_DEP_1)
	v_lshlrev_b64_e32 v[16:17], v5, v[122:123]
	v_and_b32_e32 v5, 3, v16
.LBB6_7014:                             ;   in Loop: Header=BB6_5693 Depth=2
	s_or_b32 exec_lo, exec_lo, s29
	v_lshlrev_b32_e32 v7, 24, v122
                                        ; implicit-def: $vgpr122
	s_delay_alu instid0(VALU_DEP_1) | instskip(NEXT) | instid1(VALU_DEP_1)
	v_and_b32_e32 v7, 0x80000000, v7
	v_lshl_add_u32 v3, v3, 23, v7
	s_delay_alu instid0(VALU_DEP_1) | instskip(NEXT) | instid1(VALU_DEP_1)
	v_lshl_or_b32 v3, v5, 21, v3
                                        ; implicit-def: $vgpr5
	v_add_nc_u32_e32 v3, 0x38000000, v3
.LBB6_7015:                             ;   in Loop: Header=BB6_5693 Depth=2
	s_and_not1_saveexec_b32 s29, s10
; %bb.7016:                             ;   in Loop: Header=BB6_5693 Depth=2
	v_bfe_i32 v3, v122, 0, 8
	v_cmp_eq_u32_e32 vcc_lo, 0, v5
	s_delay_alu instid0(VALU_DEP_2) | instskip(SKIP_1) | instid1(VALU_DEP_1)
	v_cmp_lt_i16_e64 s10, -1, v3
	v_mov_b32_e32 v3, 0x7f800000
	v_cndmask_b32_e64 v3, 0xff800000, v3, s10
	s_delay_alu instid0(VALU_DEP_1)
	v_cndmask_b32_e32 v3, 0x7f800001, v3, vcc_lo
; %bb.7017:                             ;   in Loop: Header=BB6_5693 Depth=2
	s_or_b32 exec_lo, exec_lo, s29
.LBB6_7018:                             ;   in Loop: Header=BB6_5693 Depth=2
	s_delay_alu instid0(SALU_CYCLE_1)
	s_or_b32 exec_lo, exec_lo, s28
.LBB6_7019:                             ;   in Loop: Header=BB6_5693 Depth=2
	s_delay_alu instid0(SALU_CYCLE_1) | instskip(NEXT) | instid1(SALU_CYCLE_1)
	s_or_b32 exec_lo, exec_lo, s11
	s_mov_b32 s10, exec_lo
	s_wait_loadcnt_dscnt 0x1a1a
	v_cmpx_ne_u16_e32 0, v48
	s_cbranch_execz .LBB6_7029
; %bb.7020:                             ;   in Loop: Header=BB6_5693 Depth=2
	v_bfrev_b32_e32 v0, 1
	s_mov_b32 s11, exec_lo
	v_cmpx_ne_u16_e32 0xff80, v48
	s_cbranch_execz .LBB6_7028
; %bb.7021:                             ;   in Loop: Header=BB6_5693 Depth=2
	v_and_b32_e32 v0, 0x7c, v48
	v_and_b32_e32 v5, 3, v48
	s_delay_alu instid0(VALU_DEP_2) | instskip(SKIP_1) | instid1(SALU_CYCLE_1)
	v_cmp_ne_u32_e32 vcc_lo, 0x7c, v0
                                        ; implicit-def: $vgpr0
	s_and_saveexec_b32 s28, vcc_lo
	s_xor_b32 s28, exec_lo, s28
	s_cbranch_execz .LBB6_7025
; %bb.7022:                             ;   in Loop: Header=BB6_5693 Depth=2
	v_and_b32_e32 v0, 0xff, v48
	s_mov_b32 s29, exec_lo
	s_delay_alu instid0(VALU_DEP_1) | instskip(NEXT) | instid1(VALU_DEP_1)
	v_bfe_u32 v0, v0, 2, 5
	v_cmpx_eq_u32_e32 0, v0
	s_cbranch_execz .LBB6_7024
; %bb.7023:                             ;   in Loop: Header=BB6_5693 Depth=2
	v_clz_i32_u32_e32 v0, v5
	s_delay_alu instid0(VALU_DEP_1) | instskip(SKIP_1) | instid1(VALU_DEP_2)
	v_min_u32_e32 v0, 32, v0
	v_mov_b32_e32 v49, v1
	v_subrev_nc_u32_e32 v5, 29, v0
	v_sub_nc_u32_e32 v0, 30, v0
	s_delay_alu instid0(VALU_DEP_2) | instskip(NEXT) | instid1(VALU_DEP_1)
	v_lshlrev_b64_e32 v[16:17], v5, v[48:49]
	v_and_b32_e32 v5, 3, v16
.LBB6_7024:                             ;   in Loop: Header=BB6_5693 Depth=2
	s_or_b32 exec_lo, exec_lo, s29
	v_bfe_i32 v7, v48, 0, 16
                                        ; implicit-def: $vgpr48
	s_delay_alu instid0(VALU_DEP_1) | instskip(NEXT) | instid1(VALU_DEP_1)
	v_and_b32_e32 v7, 0x80000000, v7
	v_lshl_add_u32 v0, v0, 23, v7
	s_delay_alu instid0(VALU_DEP_1) | instskip(NEXT) | instid1(VALU_DEP_1)
	v_lshl_or_b32 v0, v5, 21, v0
                                        ; implicit-def: $vgpr5
	v_add_nc_u32_e32 v0, 0x38000000, v0
.LBB6_7025:                             ;   in Loop: Header=BB6_5693 Depth=2
	s_and_not1_saveexec_b32 s28, s28
; %bb.7026:                             ;   in Loop: Header=BB6_5693 Depth=2
	v_cmp_lt_i16_e32 vcc_lo, -1, v48
	v_mov_b32_e32 v0, 0x7f800000
	s_delay_alu instid0(VALU_DEP_1) | instskip(SKIP_1) | instid1(VALU_DEP_2)
	v_cndmask_b32_e32 v0, 0xff800000, v0, vcc_lo
	v_cmp_eq_u32_e32 vcc_lo, 0, v5
	v_cndmask_b32_e32 v0, 0x7f800001, v0, vcc_lo
; %bb.7027:                             ;   in Loop: Header=BB6_5693 Depth=2
	s_or_b32 exec_lo, exec_lo, s28
.LBB6_7028:                             ;   in Loop: Header=BB6_5693 Depth=2
	s_delay_alu instid0(SALU_CYCLE_1)
	s_or_b32 exec_lo, exec_lo, s11
.LBB6_7029:                             ;   in Loop: Header=BB6_5693 Depth=2
	s_delay_alu instid0(SALU_CYCLE_1) | instskip(NEXT) | instid1(VALU_DEP_1)
	s_or_b32 exec_lo, exec_lo, s10
	v_dual_add_f32 v5, v3, v0 :: v_dual_mov_b32 v17, v1
                                        ; implicit-def: $vgpr25
	s_mov_b32 s10, exec_lo
	s_delay_alu instid0(VALU_DEP_1) | instskip(SKIP_1) | instid1(VALU_DEP_2)
	v_and_b32_e32 v16, 0x7f800000, v5
	v_and_b32_e32 v0, 0x7fffff, v5
	v_cmpx_ne_u64_e32 0x7f800000, v[16:17]
	s_xor_b32 s11, exec_lo, s10
	s_cbranch_execz .LBB6_7047
; %bb.7030:                             ;   in Loop: Header=BB6_5693 Depth=2
	v_dual_mov_b32 v17, v1 :: v_dual_lshrrev_b32 v3, 24, v5
	v_and_b32_e32 v16, 0x7fffffff, v5
                                        ; implicit-def: $vgpr25
	s_mov_b32 s10, exec_lo
	s_delay_alu instid0(VALU_DEP_2) | instskip(NEXT) | instid1(VALU_DEP_2)
	v_and_b32_e32 v3, 0x80, v3
	v_cmpx_gt_u64_e32 0x47600001, v[16:17]
	s_xor_b32 s28, exec_lo, s10
	s_cbranch_execz .LBB6_7044
; %bb.7031:                             ;   in Loop: Header=BB6_5693 Depth=2
	v_mov_b32_e32 v25, 0
	s_mov_b32 s29, exec_lo
	v_cmpx_ne_u32_e32 0, v5
	s_cbranch_execz .LBB6_7043
; %bb.7032:                             ;   in Loop: Header=BB6_5693 Depth=2
	v_bfe_u32 v5, v5, 23, 8
	v_or_b32_e32 v9, 0x800000, v0
	v_mov_b32_e32 v17, v1
	s_delay_alu instid0(VALU_DEP_3) | instskip(SKIP_1) | instid1(VALU_DEP_4)
	v_cmp_eq_u32_e32 vcc_lo, 0, v5
	v_cmp_gt_u32_e64 s10, 0x72, v5
	v_dual_cndmask_b32 v16, v9, v0 :: v_dual_sub_nc_u32 v7, 0x71, v5
	s_delay_alu instid0(VALU_DEP_1) | instskip(NEXT) | instid1(VALU_DEP_1)
	v_cndmask_b32_e64 v7, 0, v7, s10
	v_cndmask_b32_e64 v7, v7, 0x70, vcc_lo
	s_delay_alu instid0(VALU_DEP_1) | instskip(NEXT) | instid1(VALU_DEP_1)
	v_add_nc_u32_e32 v0, 21, v7
	v_lshlrev_b64_e64 v[20:21], v0, -1
	v_add_nc_u32_e32 v0, 20, v7
	s_delay_alu instid0(VALU_DEP_1) | instskip(NEXT) | instid1(VALU_DEP_3)
	v_lshlrev_b64_e64 v[28:29], v0, 1
	v_bfi_b32 v20, v20, 0, v16
	v_lshrrev_b64 v[16:17], v7, v[16:17]
	v_bfi_b32 v21, v21, 0, 0
	s_delay_alu instid0(VALU_DEP_1) | instskip(NEXT) | instid1(VALU_DEP_3)
	v_cmp_eq_u64_e64 s10, v[20:21], v[28:29]
	v_mov_b64_e32 v[20:21], v[16:17]
	s_and_saveexec_b32 s40, s10
; %bb.7033:                             ;   in Loop: Header=BB6_5693 Depth=2
	v_bfe_u32 v20, v16, 21, 1
	v_mov_b32_e32 v21, v1
	s_delay_alu instid0(VALU_DEP_1) | instskip(NEXT) | instid1(VALU_DEP_1)
	v_add_nc_u64_e32 v[20:21], v[16:17], v[20:21]
	v_add_nc_u64_e32 v[20:21], -1, v[20:21]
; %bb.7034:                             ;   in Loop: Header=BB6_5693 Depth=2
	s_or_b32 exec_lo, exec_lo, s40
	v_add_nc_u32_e32 v0, 0xffffff81, v5
	s_delay_alu instid0(VALU_DEP_2) | instskip(SKIP_2) | instid1(VALU_DEP_3)
	v_and_b32_e32 v17, 0x1fffff, v20
	v_lshrrev_b32_e32 v5, 23, v16
	s_mov_b32 s10, exec_lo
	v_cndmask_b32_e64 v0, v0, 0xffffff82, vcc_lo
	s_delay_alu instid0(VALU_DEP_1) | instskip(SKIP_1) | instid1(VALU_DEP_2)
	v_add3_u32 v9, v7, v0, v5
	v_add_nc_u32_e32 v0, v17, v16
                                        ; implicit-def: $vgpr16_vgpr17
                                        ; implicit-def: $vgpr5
	v_add_nc_u32_e32 v7, 14, v9
	s_delay_alu instid0(VALU_DEP_1)
	v_cmpx_ne_u32_e32 0, v7
	s_xor_b32 s10, exec_lo, s10
; %bb.7035:                             ;   in Loop: Header=BB6_5693 Depth=2
	s_delay_alu instid0(VALU_DEP_3) | instskip(SKIP_1) | instid1(VALU_DEP_1)
	v_cmp_lt_u64_e32 vcc_lo, 0xffffff, v[0:1]
	v_add_nc_u32_e32 v5, 15, v9
	v_cndmask_b32_e32 v5, v7, v5, vcc_lo
	v_cndmask_b32_e64 v7, 0, 1, vcc_lo
	s_delay_alu instid0(VALU_DEP_1)
	v_lshrrev_b64 v[16:17], v7, v[0:1]
; %bb.7036:                             ;   in Loop: Header=BB6_5693 Depth=2
	s_and_not1_saveexec_b32 s10, s10
; %bb.7037:                             ;   in Loop: Header=BB6_5693 Depth=2
	v_mov_b64_e32 v[16:17], v[0:1]
	v_bfe_u32 v5, v0, 23, 1
; %bb.7038:                             ;   in Loop: Header=BB6_5693 Depth=2
	s_or_b32 exec_lo, exec_lo, s10
	s_delay_alu instid0(VALU_DEP_2) | instskip(NEXT) | instid1(VALU_DEP_2)
	v_lshrrev_b64 v[16:17], 21, v[16:17]
	v_cmp_gt_i32_e32 vcc_lo, 32, v5
	v_cmp_ne_u32_e64 s10, 0, v5
                                        ; implicit-def: $vgpr25
	s_delay_alu instid0(VALU_DEP_3) | instskip(NEXT) | instid1(VALU_DEP_1)
	v_dual_cndmask_b32 v17, 0, v17 :: v_dual_cndmask_b32 v16, 3, v16
	v_cmp_ne_u64_e32 vcc_lo, 0, v[16:17]
	s_or_b32 s10, s10, vcc_lo
	s_delay_alu instid0(SALU_CYCLE_1) | instskip(NEXT) | instid1(SALU_CYCLE_1)
	s_and_saveexec_b32 s40, s10
	s_xor_b32 s10, exec_lo, s40
; %bb.7039:                             ;   in Loop: Header=BB6_5693 Depth=2
	v_min_i32_e32 v0, 31, v5
	s_delay_alu instid0(VALU_DEP_1) | instskip(NEXT) | instid1(VALU_DEP_1)
	v_lshl_or_b32 v0, v0, 2, v3
                                        ; implicit-def: $vgpr3
	v_and_or_b32 v25, v16, 3, v0
; %bb.7040:                             ;   in Loop: Header=BB6_5693 Depth=2
	s_and_not1_saveexec_b32 s10, s10
; %bb.7041:                             ;   in Loop: Header=BB6_5693 Depth=2
	v_mov_b32_e32 v25, v3
; %bb.7042:                             ;   in Loop: Header=BB6_5693 Depth=2
	s_or_b32 exec_lo, exec_lo, s10
.LBB6_7043:                             ;   in Loop: Header=BB6_5693 Depth=2
	s_delay_alu instid0(SALU_CYCLE_1)
	s_or_b32 exec_lo, exec_lo, s29
                                        ; implicit-def: $vgpr3
.LBB6_7044:                             ;   in Loop: Header=BB6_5693 Depth=2
	s_and_not1_saveexec_b32 s10, s28
; %bb.7045:                             ;   in Loop: Header=BB6_5693 Depth=2
	v_or_b32_e32 v25, 0x7b, v3
; %bb.7046:                             ;   in Loop: Header=BB6_5693 Depth=2
	s_or_b32 exec_lo, exec_lo, s10
                                        ; implicit-def: $vgpr5
.LBB6_7047:                             ;   in Loop: Header=BB6_5693 Depth=2
	s_and_not1_saveexec_b32 s10, s11
	s_cbranch_execz .LBB6_7053
; %bb.7048:                             ;   in Loop: Header=BB6_5693 Depth=2
	s_mov_b32 s11, exec_lo
                                        ; implicit-def: $vgpr25
	v_cmpx_ne_u64_e32 0, v[0:1]
	s_xor_b32 s11, exec_lo, s11
; %bb.7049:                             ;   in Loop: Header=BB6_5693 Depth=2
	v_lshrrev_b32_e32 v0, 24, v5
                                        ; implicit-def: $vgpr5
	s_delay_alu instid0(VALU_DEP_1)
	v_or_b32_e32 v25, 0x7f, v0
; %bb.7050:                             ;   in Loop: Header=BB6_5693 Depth=2
	s_and_not1_saveexec_b32 s11, s11
; %bb.7051:                             ;   in Loop: Header=BB6_5693 Depth=2
	v_cmp_lt_i32_e32 vcc_lo, -1, v5
	v_cndmask_b32_e64 v25, -4, 0x7c, vcc_lo
; %bb.7052:                             ;   in Loop: Header=BB6_5693 Depth=2
	s_or_b32 exec_lo, exec_lo, s11
.LBB6_7053:                             ;   in Loop: Header=BB6_5693 Depth=2
	s_delay_alu instid0(SALU_CYCLE_1) | instskip(SKIP_3) | instid1(VALU_DEP_2)
	s_or_b32 exec_lo, exec_lo, s10
	v_and_b32_e32 v7, 0xff, v120
	v_dual_mov_b32 v0, 0 :: v_dual_mov_b32 v3, 0
	s_mov_b32 s11, exec_lo
	v_cmpx_ne_u16_e32 0, v7
	s_cbranch_execz .LBB6_7063
; %bb.7054:                             ;   in Loop: Header=BB6_5693 Depth=2
	v_bfrev_b32_e32 v3, 1
	s_mov_b32 s28, exec_lo
	v_cmpx_ne_u16_e32 0x80, v7
	s_cbranch_execz .LBB6_7062
; %bb.7055:                             ;   in Loop: Header=BB6_5693 Depth=2
	v_and_b32_e32 v3, 0x7c, v120
	v_and_b32_e32 v5, 3, v120
	s_delay_alu instid0(VALU_DEP_2) | instskip(SKIP_1) | instid1(SALU_CYCLE_1)
	v_cmp_ne_u32_e32 vcc_lo, 0x7c, v3
                                        ; implicit-def: $vgpr3
	s_and_saveexec_b32 s10, vcc_lo
	s_xor_b32 s10, exec_lo, s10
	s_cbranch_execz .LBB6_7059
; %bb.7056:                             ;   in Loop: Header=BB6_5693 Depth=2
	v_bfe_u32 v3, v7, 2, 5
	s_mov_b32 s29, exec_lo
	s_delay_alu instid0(VALU_DEP_1)
	v_cmpx_eq_u32_e32 0, v3
	s_cbranch_execz .LBB6_7058
; %bb.7057:                             ;   in Loop: Header=BB6_5693 Depth=2
	v_clz_i32_u32_e32 v3, v5
	s_delay_alu instid0(VALU_DEP_1) | instskip(SKIP_1) | instid1(VALU_DEP_2)
	v_min_u32_e32 v3, 32, v3
	v_mov_b32_e32 v121, v1
	v_subrev_nc_u32_e32 v5, 29, v3
	v_sub_nc_u32_e32 v3, 30, v3
	s_delay_alu instid0(VALU_DEP_2) | instskip(NEXT) | instid1(VALU_DEP_1)
	v_lshlrev_b64_e32 v[16:17], v5, v[120:121]
	v_and_b32_e32 v5, 3, v16
.LBB6_7058:                             ;   in Loop: Header=BB6_5693 Depth=2
	s_or_b32 exec_lo, exec_lo, s29
	v_lshlrev_b32_e32 v7, 24, v120
                                        ; implicit-def: $vgpr120
	s_delay_alu instid0(VALU_DEP_1) | instskip(NEXT) | instid1(VALU_DEP_1)
	v_and_b32_e32 v7, 0x80000000, v7
	v_lshl_add_u32 v3, v3, 23, v7
	s_delay_alu instid0(VALU_DEP_1) | instskip(NEXT) | instid1(VALU_DEP_1)
	v_lshl_or_b32 v3, v5, 21, v3
                                        ; implicit-def: $vgpr5
	v_add_nc_u32_e32 v3, 0x38000000, v3
.LBB6_7059:                             ;   in Loop: Header=BB6_5693 Depth=2
	s_and_not1_saveexec_b32 s29, s10
; %bb.7060:                             ;   in Loop: Header=BB6_5693 Depth=2
	v_bfe_i32 v3, v120, 0, 8
	v_cmp_eq_u32_e32 vcc_lo, 0, v5
	s_delay_alu instid0(VALU_DEP_2) | instskip(SKIP_1) | instid1(VALU_DEP_1)
	v_cmp_lt_i16_e64 s10, -1, v3
	v_mov_b32_e32 v3, 0x7f800000
	v_cndmask_b32_e64 v3, 0xff800000, v3, s10
	s_delay_alu instid0(VALU_DEP_1)
	v_cndmask_b32_e32 v3, 0x7f800001, v3, vcc_lo
; %bb.7061:                             ;   in Loop: Header=BB6_5693 Depth=2
	s_or_b32 exec_lo, exec_lo, s29
.LBB6_7062:                             ;   in Loop: Header=BB6_5693 Depth=2
	s_delay_alu instid0(SALU_CYCLE_1)
	s_or_b32 exec_lo, exec_lo, s28
.LBB6_7063:                             ;   in Loop: Header=BB6_5693 Depth=2
	s_delay_alu instid0(SALU_CYCLE_1) | instskip(NEXT) | instid1(SALU_CYCLE_1)
	s_or_b32 exec_lo, exec_lo, s11
	s_mov_b32 s10, exec_lo
	s_wait_loadcnt_dscnt 0x1919
	v_cmpx_ne_u16_e32 0, v32
	s_cbranch_execz .LBB6_7073
; %bb.7064:                             ;   in Loop: Header=BB6_5693 Depth=2
	v_bfrev_b32_e32 v0, 1
	s_mov_b32 s11, exec_lo
	v_cmpx_ne_u16_e32 0xff80, v32
	s_cbranch_execz .LBB6_7072
; %bb.7065:                             ;   in Loop: Header=BB6_5693 Depth=2
	v_and_b32_e32 v0, 0x7c, v32
	v_and_b32_e32 v5, 3, v32
	s_delay_alu instid0(VALU_DEP_2) | instskip(SKIP_1) | instid1(SALU_CYCLE_1)
	v_cmp_ne_u32_e32 vcc_lo, 0x7c, v0
                                        ; implicit-def: $vgpr0
	s_and_saveexec_b32 s28, vcc_lo
	s_xor_b32 s28, exec_lo, s28
	s_cbranch_execz .LBB6_7069
; %bb.7066:                             ;   in Loop: Header=BB6_5693 Depth=2
	v_and_b32_e32 v0, 0xff, v32
	s_mov_b32 s29, exec_lo
	s_delay_alu instid0(VALU_DEP_1) | instskip(NEXT) | instid1(VALU_DEP_1)
	v_bfe_u32 v0, v0, 2, 5
	v_cmpx_eq_u32_e32 0, v0
	s_cbranch_execz .LBB6_7068
; %bb.7067:                             ;   in Loop: Header=BB6_5693 Depth=2
	v_clz_i32_u32_e32 v0, v5
	s_delay_alu instid0(VALU_DEP_1) | instskip(SKIP_1) | instid1(VALU_DEP_2)
	v_min_u32_e32 v0, 32, v0
	v_mov_b32_e32 v33, v1
	v_subrev_nc_u32_e32 v5, 29, v0
	v_sub_nc_u32_e32 v0, 30, v0
	s_delay_alu instid0(VALU_DEP_2) | instskip(NEXT) | instid1(VALU_DEP_1)
	v_lshlrev_b64_e32 v[16:17], v5, v[32:33]
	v_and_b32_e32 v5, 3, v16
.LBB6_7068:                             ;   in Loop: Header=BB6_5693 Depth=2
	s_or_b32 exec_lo, exec_lo, s29
	v_bfe_i32 v7, v32, 0, 16
                                        ; implicit-def: $vgpr32
	s_delay_alu instid0(VALU_DEP_1) | instskip(NEXT) | instid1(VALU_DEP_1)
	v_and_b32_e32 v7, 0x80000000, v7
	v_lshl_add_u32 v0, v0, 23, v7
	s_delay_alu instid0(VALU_DEP_1) | instskip(NEXT) | instid1(VALU_DEP_1)
	v_lshl_or_b32 v0, v5, 21, v0
                                        ; implicit-def: $vgpr5
	v_add_nc_u32_e32 v0, 0x38000000, v0
.LBB6_7069:                             ;   in Loop: Header=BB6_5693 Depth=2
	s_and_not1_saveexec_b32 s28, s28
; %bb.7070:                             ;   in Loop: Header=BB6_5693 Depth=2
	v_cmp_lt_i16_e32 vcc_lo, -1, v32
	v_mov_b32_e32 v0, 0x7f800000
	s_delay_alu instid0(VALU_DEP_1) | instskip(SKIP_1) | instid1(VALU_DEP_2)
	v_cndmask_b32_e32 v0, 0xff800000, v0, vcc_lo
	v_cmp_eq_u32_e32 vcc_lo, 0, v5
	v_cndmask_b32_e32 v0, 0x7f800001, v0, vcc_lo
; %bb.7071:                             ;   in Loop: Header=BB6_5693 Depth=2
	s_or_b32 exec_lo, exec_lo, s28
.LBB6_7072:                             ;   in Loop: Header=BB6_5693 Depth=2
	s_delay_alu instid0(SALU_CYCLE_1)
	s_or_b32 exec_lo, exec_lo, s11
.LBB6_7073:                             ;   in Loop: Header=BB6_5693 Depth=2
	s_delay_alu instid0(SALU_CYCLE_1) | instskip(NEXT) | instid1(VALU_DEP_1)
	s_or_b32 exec_lo, exec_lo, s10
	v_dual_add_f32 v5, v3, v0 :: v_dual_mov_b32 v17, v1
                                        ; implicit-def: $vgpr28
	s_mov_b32 s10, exec_lo
	s_delay_alu instid0(VALU_DEP_1) | instskip(SKIP_1) | instid1(VALU_DEP_2)
	v_and_b32_e32 v16, 0x7f800000, v5
	v_and_b32_e32 v0, 0x7fffff, v5
	v_cmpx_ne_u64_e32 0x7f800000, v[16:17]
	s_xor_b32 s11, exec_lo, s10
	s_cbranch_execz .LBB6_7091
; %bb.7074:                             ;   in Loop: Header=BB6_5693 Depth=2
	v_dual_mov_b32 v17, v1 :: v_dual_lshrrev_b32 v3, 24, v5
	v_and_b32_e32 v16, 0x7fffffff, v5
                                        ; implicit-def: $vgpr28
	s_mov_b32 s10, exec_lo
	s_delay_alu instid0(VALU_DEP_2) | instskip(NEXT) | instid1(VALU_DEP_2)
	v_and_b32_e32 v3, 0x80, v3
	v_cmpx_gt_u64_e32 0x47600001, v[16:17]
	s_xor_b32 s28, exec_lo, s10
	s_cbranch_execz .LBB6_7088
; %bb.7075:                             ;   in Loop: Header=BB6_5693 Depth=2
	v_mov_b32_e32 v28, 0
	s_mov_b32 s29, exec_lo
	v_cmpx_ne_u32_e32 0, v5
	s_cbranch_execz .LBB6_7087
; %bb.7076:                             ;   in Loop: Header=BB6_5693 Depth=2
	v_bfe_u32 v5, v5, 23, 8
	v_or_b32_e32 v9, 0x800000, v0
	v_mov_b32_e32 v17, v1
	s_delay_alu instid0(VALU_DEP_3) | instskip(SKIP_1) | instid1(VALU_DEP_4)
	v_cmp_eq_u32_e32 vcc_lo, 0, v5
	v_cmp_gt_u32_e64 s10, 0x72, v5
	v_dual_cndmask_b32 v16, v9, v0 :: v_dual_sub_nc_u32 v7, 0x71, v5
	s_delay_alu instid0(VALU_DEP_1) | instskip(NEXT) | instid1(VALU_DEP_1)
	v_cndmask_b32_e64 v7, 0, v7, s10
	v_cndmask_b32_e64 v7, v7, 0x70, vcc_lo
	s_delay_alu instid0(VALU_DEP_1) | instskip(NEXT) | instid1(VALU_DEP_1)
	v_add_nc_u32_e32 v0, 21, v7
	v_lshlrev_b64_e64 v[20:21], v0, -1
	v_add_nc_u32_e32 v0, 20, v7
	s_delay_alu instid0(VALU_DEP_1) | instskip(NEXT) | instid1(VALU_DEP_3)
	v_lshlrev_b64_e64 v[28:29], v0, 1
	v_bfi_b32 v20, v20, 0, v16
	v_lshrrev_b64 v[16:17], v7, v[16:17]
	v_bfi_b32 v21, v21, 0, 0
	s_delay_alu instid0(VALU_DEP_1) | instskip(NEXT) | instid1(VALU_DEP_3)
	v_cmp_eq_u64_e64 s10, v[20:21], v[28:29]
	v_mov_b64_e32 v[20:21], v[16:17]
	s_and_saveexec_b32 s40, s10
; %bb.7077:                             ;   in Loop: Header=BB6_5693 Depth=2
	v_bfe_u32 v20, v16, 21, 1
	v_mov_b32_e32 v21, v1
	s_delay_alu instid0(VALU_DEP_1) | instskip(NEXT) | instid1(VALU_DEP_1)
	v_add_nc_u64_e32 v[20:21], v[16:17], v[20:21]
	v_add_nc_u64_e32 v[20:21], -1, v[20:21]
; %bb.7078:                             ;   in Loop: Header=BB6_5693 Depth=2
	s_or_b32 exec_lo, exec_lo, s40
	v_add_nc_u32_e32 v0, 0xffffff81, v5
	s_delay_alu instid0(VALU_DEP_2) | instskip(SKIP_2) | instid1(VALU_DEP_3)
	v_and_b32_e32 v17, 0x1fffff, v20
	v_lshrrev_b32_e32 v5, 23, v16
	s_mov_b32 s10, exec_lo
	v_cndmask_b32_e64 v0, v0, 0xffffff82, vcc_lo
	s_delay_alu instid0(VALU_DEP_1) | instskip(SKIP_1) | instid1(VALU_DEP_2)
	v_add3_u32 v9, v7, v0, v5
	v_add_nc_u32_e32 v0, v17, v16
                                        ; implicit-def: $vgpr16_vgpr17
                                        ; implicit-def: $vgpr5
	v_add_nc_u32_e32 v7, 14, v9
	s_delay_alu instid0(VALU_DEP_1)
	v_cmpx_ne_u32_e32 0, v7
	s_xor_b32 s10, exec_lo, s10
; %bb.7079:                             ;   in Loop: Header=BB6_5693 Depth=2
	s_delay_alu instid0(VALU_DEP_3) | instskip(SKIP_1) | instid1(VALU_DEP_1)
	v_cmp_lt_u64_e32 vcc_lo, 0xffffff, v[0:1]
	v_add_nc_u32_e32 v5, 15, v9
	v_cndmask_b32_e32 v5, v7, v5, vcc_lo
	v_cndmask_b32_e64 v7, 0, 1, vcc_lo
	s_delay_alu instid0(VALU_DEP_1)
	v_lshrrev_b64 v[16:17], v7, v[0:1]
; %bb.7080:                             ;   in Loop: Header=BB6_5693 Depth=2
	s_and_not1_saveexec_b32 s10, s10
; %bb.7081:                             ;   in Loop: Header=BB6_5693 Depth=2
	v_mov_b64_e32 v[16:17], v[0:1]
	v_bfe_u32 v5, v0, 23, 1
; %bb.7082:                             ;   in Loop: Header=BB6_5693 Depth=2
	s_or_b32 exec_lo, exec_lo, s10
	s_delay_alu instid0(VALU_DEP_2) | instskip(NEXT) | instid1(VALU_DEP_2)
	v_lshrrev_b64 v[16:17], 21, v[16:17]
	v_cmp_gt_i32_e32 vcc_lo, 32, v5
	v_cmp_ne_u32_e64 s10, 0, v5
                                        ; implicit-def: $vgpr28
	s_delay_alu instid0(VALU_DEP_3) | instskip(NEXT) | instid1(VALU_DEP_1)
	v_dual_cndmask_b32 v17, 0, v17 :: v_dual_cndmask_b32 v16, 3, v16
	v_cmp_ne_u64_e32 vcc_lo, 0, v[16:17]
	s_or_b32 s10, s10, vcc_lo
	s_delay_alu instid0(SALU_CYCLE_1) | instskip(NEXT) | instid1(SALU_CYCLE_1)
	s_and_saveexec_b32 s40, s10
	s_xor_b32 s10, exec_lo, s40
; %bb.7083:                             ;   in Loop: Header=BB6_5693 Depth=2
	v_min_i32_e32 v0, 31, v5
	s_delay_alu instid0(VALU_DEP_1) | instskip(NEXT) | instid1(VALU_DEP_1)
	v_lshl_or_b32 v0, v0, 2, v3
                                        ; implicit-def: $vgpr3
	v_and_or_b32 v28, v16, 3, v0
; %bb.7084:                             ;   in Loop: Header=BB6_5693 Depth=2
	s_and_not1_saveexec_b32 s10, s10
; %bb.7085:                             ;   in Loop: Header=BB6_5693 Depth=2
	v_mov_b32_e32 v28, v3
; %bb.7086:                             ;   in Loop: Header=BB6_5693 Depth=2
	s_or_b32 exec_lo, exec_lo, s10
.LBB6_7087:                             ;   in Loop: Header=BB6_5693 Depth=2
	s_delay_alu instid0(SALU_CYCLE_1)
	s_or_b32 exec_lo, exec_lo, s29
                                        ; implicit-def: $vgpr3
.LBB6_7088:                             ;   in Loop: Header=BB6_5693 Depth=2
	s_and_not1_saveexec_b32 s10, s28
; %bb.7089:                             ;   in Loop: Header=BB6_5693 Depth=2
	v_or_b32_e32 v28, 0x7b, v3
; %bb.7090:                             ;   in Loop: Header=BB6_5693 Depth=2
	s_or_b32 exec_lo, exec_lo, s10
                                        ; implicit-def: $vgpr5
.LBB6_7091:                             ;   in Loop: Header=BB6_5693 Depth=2
	s_and_not1_saveexec_b32 s10, s11
	s_cbranch_execz .LBB6_7097
; %bb.7092:                             ;   in Loop: Header=BB6_5693 Depth=2
	s_mov_b32 s11, exec_lo
                                        ; implicit-def: $vgpr28
	v_cmpx_ne_u64_e32 0, v[0:1]
	s_xor_b32 s11, exec_lo, s11
; %bb.7093:                             ;   in Loop: Header=BB6_5693 Depth=2
	v_lshrrev_b32_e32 v0, 24, v5
                                        ; implicit-def: $vgpr5
	s_delay_alu instid0(VALU_DEP_1)
	v_or_b32_e32 v28, 0x7f, v0
; %bb.7094:                             ;   in Loop: Header=BB6_5693 Depth=2
	s_and_not1_saveexec_b32 s11, s11
; %bb.7095:                             ;   in Loop: Header=BB6_5693 Depth=2
	v_cmp_lt_i32_e32 vcc_lo, -1, v5
	v_cndmask_b32_e64 v28, -4, 0x7c, vcc_lo
; %bb.7096:                             ;   in Loop: Header=BB6_5693 Depth=2
	s_or_b32 exec_lo, exec_lo, s11
.LBB6_7097:                             ;   in Loop: Header=BB6_5693 Depth=2
	s_delay_alu instid0(SALU_CYCLE_1) | instskip(SKIP_3) | instid1(VALU_DEP_2)
	s_or_b32 exec_lo, exec_lo, s10
	v_and_b32_e32 v7, 0xff, v108
	v_dual_mov_b32 v0, 0 :: v_dual_mov_b32 v3, 0
	s_mov_b32 s10, exec_lo
	v_cmpx_ne_u16_e32 0, v7
	s_cbranch_execz .LBB6_7107
; %bb.7098:                             ;   in Loop: Header=BB6_5693 Depth=2
	v_bfrev_b32_e32 v3, 1
	s_mov_b32 s11, exec_lo
	v_cmpx_ne_u16_e32 0x80, v7
	s_cbranch_execz .LBB6_7106
; %bb.7099:                             ;   in Loop: Header=BB6_5693 Depth=2
	v_and_b32_e32 v3, 0x7c, v108
	v_and_b32_e32 v5, 3, v108
	s_delay_alu instid0(VALU_DEP_2) | instskip(SKIP_1) | instid1(SALU_CYCLE_1)
	v_cmp_ne_u32_e32 vcc_lo, 0x7c, v3
                                        ; implicit-def: $vgpr3
	s_and_saveexec_b32 s28, vcc_lo
	s_xor_b32 s28, exec_lo, s28
	s_cbranch_execz .LBB6_7103
; %bb.7100:                             ;   in Loop: Header=BB6_5693 Depth=2
	v_bfe_u32 v3, v7, 2, 5
	s_mov_b32 s29, exec_lo
	s_delay_alu instid0(VALU_DEP_1)
	v_cmpx_eq_u32_e32 0, v3
	s_cbranch_execz .LBB6_7102
; %bb.7101:                             ;   in Loop: Header=BB6_5693 Depth=2
	v_clz_i32_u32_e32 v3, v5
	s_delay_alu instid0(VALU_DEP_1) | instskip(SKIP_1) | instid1(VALU_DEP_2)
	v_min_u32_e32 v3, 32, v3
	v_mov_b32_e32 v109, v1
	v_subrev_nc_u32_e32 v5, 29, v3
	v_sub_nc_u32_e32 v3, 30, v3
	s_delay_alu instid0(VALU_DEP_2) | instskip(NEXT) | instid1(VALU_DEP_1)
	v_lshlrev_b64_e32 v[16:17], v5, v[108:109]
	v_and_b32_e32 v5, 3, v16
.LBB6_7102:                             ;   in Loop: Header=BB6_5693 Depth=2
	s_or_b32 exec_lo, exec_lo, s29
	v_lshlrev_b32_e32 v7, 24, v108
                                        ; implicit-def: $vgpr108
	s_delay_alu instid0(VALU_DEP_1) | instskip(NEXT) | instid1(VALU_DEP_1)
	v_and_b32_e32 v7, 0x80000000, v7
	v_lshl_add_u32 v3, v3, 23, v7
	s_delay_alu instid0(VALU_DEP_1) | instskip(NEXT) | instid1(VALU_DEP_1)
	v_lshl_or_b32 v3, v5, 21, v3
                                        ; implicit-def: $vgpr5
	v_add_nc_u32_e32 v3, 0x38000000, v3
.LBB6_7103:                             ;   in Loop: Header=BB6_5693 Depth=2
	s_and_not1_saveexec_b32 s28, s28
; %bb.7104:                             ;   in Loop: Header=BB6_5693 Depth=2
	v_bfe_i32 v3, v108, 0, 8
	s_delay_alu instid0(VALU_DEP_1) | instskip(SKIP_1) | instid1(VALU_DEP_1)
	v_cmp_lt_i16_e32 vcc_lo, -1, v3
	v_mov_b32_e32 v3, 0x7f800000
	v_cndmask_b32_e32 v3, 0xff800000, v3, vcc_lo
	v_cmp_eq_u32_e32 vcc_lo, 0, v5
	s_delay_alu instid0(VALU_DEP_2)
	v_cndmask_b32_e32 v3, 0x7f800001, v3, vcc_lo
; %bb.7105:                             ;   in Loop: Header=BB6_5693 Depth=2
	s_or_b32 exec_lo, exec_lo, s28
.LBB6_7106:                             ;   in Loop: Header=BB6_5693 Depth=2
	s_delay_alu instid0(SALU_CYCLE_1)
	s_or_b32 exec_lo, exec_lo, s11
.LBB6_7107:                             ;   in Loop: Header=BB6_5693 Depth=2
	s_delay_alu instid0(SALU_CYCLE_1) | instskip(NEXT) | instid1(SALU_CYCLE_1)
	s_or_b32 exec_lo, exec_lo, s10
	s_mov_b32 s10, exec_lo
	s_wait_loadcnt_dscnt 0x1818
	v_cmpx_ne_u16_e32 0, v84
	s_cbranch_execz .LBB6_7117
; %bb.7108:                             ;   in Loop: Header=BB6_5693 Depth=2
	v_bfrev_b32_e32 v0, 1
	s_mov_b32 s11, exec_lo
	v_cmpx_ne_u16_e32 0xff80, v84
	s_cbranch_execz .LBB6_7116
; %bb.7109:                             ;   in Loop: Header=BB6_5693 Depth=2
	v_and_b32_e32 v0, 0x7c, v84
	v_and_b32_e32 v5, 3, v84
	s_delay_alu instid0(VALU_DEP_2) | instskip(SKIP_1) | instid1(SALU_CYCLE_1)
	v_cmp_ne_u32_e32 vcc_lo, 0x7c, v0
                                        ; implicit-def: $vgpr0
	s_and_saveexec_b32 s28, vcc_lo
	s_xor_b32 s28, exec_lo, s28
	s_cbranch_execz .LBB6_7113
; %bb.7110:                             ;   in Loop: Header=BB6_5693 Depth=2
	v_and_b32_e32 v0, 0xff, v84
	s_mov_b32 s29, exec_lo
	s_delay_alu instid0(VALU_DEP_1) | instskip(NEXT) | instid1(VALU_DEP_1)
	v_bfe_u32 v0, v0, 2, 5
	v_cmpx_eq_u32_e32 0, v0
	s_cbranch_execz .LBB6_7112
; %bb.7111:                             ;   in Loop: Header=BB6_5693 Depth=2
	v_clz_i32_u32_e32 v0, v5
	s_delay_alu instid0(VALU_DEP_1) | instskip(SKIP_1) | instid1(VALU_DEP_2)
	v_min_u32_e32 v0, 32, v0
	v_mov_b32_e32 v85, v1
	v_subrev_nc_u32_e32 v5, 29, v0
	v_sub_nc_u32_e32 v0, 30, v0
	s_delay_alu instid0(VALU_DEP_2) | instskip(NEXT) | instid1(VALU_DEP_1)
	v_lshlrev_b64_e32 v[16:17], v5, v[84:85]
	v_and_b32_e32 v5, 3, v16
.LBB6_7112:                             ;   in Loop: Header=BB6_5693 Depth=2
	s_or_b32 exec_lo, exec_lo, s29
	v_bfe_i32 v7, v84, 0, 16
                                        ; implicit-def: $vgpr84
	s_delay_alu instid0(VALU_DEP_1) | instskip(NEXT) | instid1(VALU_DEP_1)
	v_and_b32_e32 v7, 0x80000000, v7
	v_lshl_add_u32 v0, v0, 23, v7
	s_delay_alu instid0(VALU_DEP_1) | instskip(NEXT) | instid1(VALU_DEP_1)
	v_lshl_or_b32 v0, v5, 21, v0
                                        ; implicit-def: $vgpr5
	v_add_nc_u32_e32 v0, 0x38000000, v0
.LBB6_7113:                             ;   in Loop: Header=BB6_5693 Depth=2
	s_and_not1_saveexec_b32 s28, s28
; %bb.7114:                             ;   in Loop: Header=BB6_5693 Depth=2
	v_cmp_lt_i16_e32 vcc_lo, -1, v84
	v_mov_b32_e32 v0, 0x7f800000
	s_delay_alu instid0(VALU_DEP_1) | instskip(SKIP_1) | instid1(VALU_DEP_2)
	v_cndmask_b32_e32 v0, 0xff800000, v0, vcc_lo
	v_cmp_eq_u32_e32 vcc_lo, 0, v5
	v_cndmask_b32_e32 v0, 0x7f800001, v0, vcc_lo
; %bb.7115:                             ;   in Loop: Header=BB6_5693 Depth=2
	s_or_b32 exec_lo, exec_lo, s28
.LBB6_7116:                             ;   in Loop: Header=BB6_5693 Depth=2
	s_delay_alu instid0(SALU_CYCLE_1)
	s_or_b32 exec_lo, exec_lo, s11
.LBB6_7117:                             ;   in Loop: Header=BB6_5693 Depth=2
	s_delay_alu instid0(SALU_CYCLE_1) | instskip(NEXT) | instid1(VALU_DEP_1)
	s_or_b32 exec_lo, exec_lo, s10
	v_dual_add_f32 v5, v3, v0 :: v_dual_mov_b32 v17, v1
                                        ; implicit-def: $vgpr20
	s_mov_b32 s10, exec_lo
	s_delay_alu instid0(VALU_DEP_1) | instskip(SKIP_1) | instid1(VALU_DEP_2)
	v_and_b32_e32 v16, 0x7f800000, v5
	v_and_b32_e32 v0, 0x7fffff, v5
	v_cmpx_ne_u64_e32 0x7f800000, v[16:17]
	s_xor_b32 s11, exec_lo, s10
	s_cbranch_execz .LBB6_7135
; %bb.7118:                             ;   in Loop: Header=BB6_5693 Depth=2
	v_dual_mov_b32 v17, v1 :: v_dual_lshrrev_b32 v3, 24, v5
	v_and_b32_e32 v16, 0x7fffffff, v5
                                        ; implicit-def: $vgpr20
	s_mov_b32 s10, exec_lo
	s_delay_alu instid0(VALU_DEP_2) | instskip(NEXT) | instid1(VALU_DEP_2)
	v_and_b32_e32 v3, 0x80, v3
	v_cmpx_gt_u64_e32 0x47600001, v[16:17]
	s_xor_b32 s28, exec_lo, s10
	s_cbranch_execz .LBB6_7132
; %bb.7119:                             ;   in Loop: Header=BB6_5693 Depth=2
	v_mov_b32_e32 v20, 0
	s_mov_b32 s29, exec_lo
	v_cmpx_ne_u32_e32 0, v5
	s_cbranch_execz .LBB6_7131
; %bb.7120:                             ;   in Loop: Header=BB6_5693 Depth=2
	v_bfe_u32 v5, v5, 23, 8
	v_or_b32_e32 v9, 0x800000, v0
	v_mov_b32_e32 v17, v1
	s_delay_alu instid0(VALU_DEP_3) | instskip(SKIP_1) | instid1(VALU_DEP_4)
	v_cmp_eq_u32_e32 vcc_lo, 0, v5
	v_cmp_gt_u32_e64 s10, 0x72, v5
	v_dual_cndmask_b32 v16, v9, v0 :: v_dual_sub_nc_u32 v7, 0x71, v5
	s_delay_alu instid0(VALU_DEP_1) | instskip(NEXT) | instid1(VALU_DEP_1)
	v_cndmask_b32_e64 v7, 0, v7, s10
	v_cndmask_b32_e64 v7, v7, 0x70, vcc_lo
	s_delay_alu instid0(VALU_DEP_1) | instskip(NEXT) | instid1(VALU_DEP_1)
	v_add_nc_u32_e32 v0, 21, v7
	v_lshlrev_b64_e64 v[20:21], v0, -1
	v_add_nc_u32_e32 v0, 20, v7
	s_delay_alu instid0(VALU_DEP_1) | instskip(NEXT) | instid1(VALU_DEP_3)
	v_lshlrev_b64_e64 v[32:33], v0, 1
	v_bfi_b32 v20, v20, 0, v16
	v_lshrrev_b64 v[16:17], v7, v[16:17]
	v_bfi_b32 v21, v21, 0, 0
	s_delay_alu instid0(VALU_DEP_1) | instskip(NEXT) | instid1(VALU_DEP_3)
	v_cmp_eq_u64_e64 s10, v[20:21], v[32:33]
	v_mov_b64_e32 v[20:21], v[16:17]
	s_and_saveexec_b32 s40, s10
; %bb.7121:                             ;   in Loop: Header=BB6_5693 Depth=2
	v_bfe_u32 v20, v16, 21, 1
	v_mov_b32_e32 v21, v1
	s_delay_alu instid0(VALU_DEP_1) | instskip(NEXT) | instid1(VALU_DEP_1)
	v_add_nc_u64_e32 v[20:21], v[16:17], v[20:21]
	v_add_nc_u64_e32 v[20:21], -1, v[20:21]
; %bb.7122:                             ;   in Loop: Header=BB6_5693 Depth=2
	s_or_b32 exec_lo, exec_lo, s40
	v_add_nc_u32_e32 v0, 0xffffff81, v5
	s_delay_alu instid0(VALU_DEP_2) | instskip(SKIP_2) | instid1(VALU_DEP_3)
	v_and_b32_e32 v17, 0x1fffff, v20
	v_lshrrev_b32_e32 v5, 23, v16
	s_mov_b32 s10, exec_lo
	v_cndmask_b32_e64 v0, v0, 0xffffff82, vcc_lo
	s_delay_alu instid0(VALU_DEP_1) | instskip(SKIP_1) | instid1(VALU_DEP_2)
	v_add3_u32 v9, v7, v0, v5
	v_add_nc_u32_e32 v0, v17, v16
                                        ; implicit-def: $vgpr16_vgpr17
                                        ; implicit-def: $vgpr5
	v_add_nc_u32_e32 v7, 14, v9
	s_delay_alu instid0(VALU_DEP_1)
	v_cmpx_ne_u32_e32 0, v7
	s_xor_b32 s10, exec_lo, s10
; %bb.7123:                             ;   in Loop: Header=BB6_5693 Depth=2
	s_delay_alu instid0(VALU_DEP_3) | instskip(SKIP_1) | instid1(VALU_DEP_1)
	v_cmp_lt_u64_e32 vcc_lo, 0xffffff, v[0:1]
	v_add_nc_u32_e32 v5, 15, v9
	v_cndmask_b32_e32 v5, v7, v5, vcc_lo
	v_cndmask_b32_e64 v7, 0, 1, vcc_lo
	s_delay_alu instid0(VALU_DEP_1)
	v_lshrrev_b64 v[16:17], v7, v[0:1]
; %bb.7124:                             ;   in Loop: Header=BB6_5693 Depth=2
	s_and_not1_saveexec_b32 s10, s10
; %bb.7125:                             ;   in Loop: Header=BB6_5693 Depth=2
	v_mov_b64_e32 v[16:17], v[0:1]
	v_bfe_u32 v5, v0, 23, 1
; %bb.7126:                             ;   in Loop: Header=BB6_5693 Depth=2
	s_or_b32 exec_lo, exec_lo, s10
	s_delay_alu instid0(VALU_DEP_2) | instskip(NEXT) | instid1(VALU_DEP_2)
	v_lshrrev_b64 v[16:17], 21, v[16:17]
	v_cmp_gt_i32_e32 vcc_lo, 32, v5
	v_cmp_ne_u32_e64 s10, 0, v5
                                        ; implicit-def: $vgpr20
	s_delay_alu instid0(VALU_DEP_3) | instskip(NEXT) | instid1(VALU_DEP_1)
	v_dual_cndmask_b32 v17, 0, v17 :: v_dual_cndmask_b32 v16, 3, v16
	v_cmp_ne_u64_e32 vcc_lo, 0, v[16:17]
	s_or_b32 s10, s10, vcc_lo
	s_delay_alu instid0(SALU_CYCLE_1) | instskip(NEXT) | instid1(SALU_CYCLE_1)
	s_and_saveexec_b32 s40, s10
	s_xor_b32 s10, exec_lo, s40
; %bb.7127:                             ;   in Loop: Header=BB6_5693 Depth=2
	v_min_i32_e32 v0, 31, v5
	s_delay_alu instid0(VALU_DEP_1) | instskip(NEXT) | instid1(VALU_DEP_1)
	v_lshl_or_b32 v0, v0, 2, v3
                                        ; implicit-def: $vgpr3
	v_and_or_b32 v20, v16, 3, v0
; %bb.7128:                             ;   in Loop: Header=BB6_5693 Depth=2
	s_and_not1_saveexec_b32 s10, s10
; %bb.7129:                             ;   in Loop: Header=BB6_5693 Depth=2
	v_mov_b32_e32 v20, v3
; %bb.7130:                             ;   in Loop: Header=BB6_5693 Depth=2
	s_or_b32 exec_lo, exec_lo, s10
.LBB6_7131:                             ;   in Loop: Header=BB6_5693 Depth=2
	s_delay_alu instid0(SALU_CYCLE_1)
	s_or_b32 exec_lo, exec_lo, s29
                                        ; implicit-def: $vgpr3
.LBB6_7132:                             ;   in Loop: Header=BB6_5693 Depth=2
	s_and_not1_saveexec_b32 s10, s28
; %bb.7133:                             ;   in Loop: Header=BB6_5693 Depth=2
	v_or_b32_e32 v20, 0x7b, v3
; %bb.7134:                             ;   in Loop: Header=BB6_5693 Depth=2
	s_or_b32 exec_lo, exec_lo, s10
                                        ; implicit-def: $vgpr5
.LBB6_7135:                             ;   in Loop: Header=BB6_5693 Depth=2
	s_and_not1_saveexec_b32 s10, s11
	s_cbranch_execz .LBB6_7141
; %bb.7136:                             ;   in Loop: Header=BB6_5693 Depth=2
	s_mov_b32 s11, exec_lo
                                        ; implicit-def: $vgpr20
	v_cmpx_ne_u64_e32 0, v[0:1]
	s_xor_b32 s11, exec_lo, s11
; %bb.7137:                             ;   in Loop: Header=BB6_5693 Depth=2
	v_lshrrev_b32_e32 v0, 24, v5
                                        ; implicit-def: $vgpr5
	s_delay_alu instid0(VALU_DEP_1)
	v_or_b32_e32 v20, 0x7f, v0
; %bb.7138:                             ;   in Loop: Header=BB6_5693 Depth=2
	s_and_not1_saveexec_b32 s11, s11
; %bb.7139:                             ;   in Loop: Header=BB6_5693 Depth=2
	v_cmp_lt_i32_e32 vcc_lo, -1, v5
	v_cndmask_b32_e64 v20, -4, 0x7c, vcc_lo
; %bb.7140:                             ;   in Loop: Header=BB6_5693 Depth=2
	s_or_b32 exec_lo, exec_lo, s11
.LBB6_7141:                             ;   in Loop: Header=BB6_5693 Depth=2
	s_delay_alu instid0(SALU_CYCLE_1) | instskip(SKIP_3) | instid1(VALU_DEP_2)
	s_or_b32 exec_lo, exec_lo, s10
	v_and_b32_e32 v7, 0xff, v106
	v_dual_mov_b32 v0, 0 :: v_dual_mov_b32 v3, 0
	s_mov_b32 s10, exec_lo
	v_cmpx_ne_u16_e32 0, v7
	s_cbranch_execz .LBB6_7151
; %bb.7142:                             ;   in Loop: Header=BB6_5693 Depth=2
	v_bfrev_b32_e32 v3, 1
	s_mov_b32 s11, exec_lo
	v_cmpx_ne_u16_e32 0x80, v7
	s_cbranch_execz .LBB6_7150
; %bb.7143:                             ;   in Loop: Header=BB6_5693 Depth=2
	v_and_b32_e32 v3, 0x7c, v106
	v_and_b32_e32 v5, 3, v106
	s_delay_alu instid0(VALU_DEP_2) | instskip(SKIP_1) | instid1(SALU_CYCLE_1)
	v_cmp_ne_u32_e32 vcc_lo, 0x7c, v3
                                        ; implicit-def: $vgpr3
	s_and_saveexec_b32 s28, vcc_lo
	s_xor_b32 s28, exec_lo, s28
	s_cbranch_execz .LBB6_7147
; %bb.7144:                             ;   in Loop: Header=BB6_5693 Depth=2
	v_bfe_u32 v3, v7, 2, 5
	s_mov_b32 s29, exec_lo
	s_delay_alu instid0(VALU_DEP_1)
	v_cmpx_eq_u32_e32 0, v3
	s_cbranch_execz .LBB6_7146
; %bb.7145:                             ;   in Loop: Header=BB6_5693 Depth=2
	v_clz_i32_u32_e32 v3, v5
	s_delay_alu instid0(VALU_DEP_1) | instskip(SKIP_1) | instid1(VALU_DEP_2)
	v_min_u32_e32 v3, 32, v3
	v_mov_b32_e32 v107, v1
	v_subrev_nc_u32_e32 v5, 29, v3
	v_sub_nc_u32_e32 v3, 30, v3
	s_delay_alu instid0(VALU_DEP_2) | instskip(NEXT) | instid1(VALU_DEP_1)
	v_lshlrev_b64_e32 v[16:17], v5, v[106:107]
	v_and_b32_e32 v5, 3, v16
.LBB6_7146:                             ;   in Loop: Header=BB6_5693 Depth=2
	s_or_b32 exec_lo, exec_lo, s29
	v_lshlrev_b32_e32 v7, 24, v106
                                        ; implicit-def: $vgpr106
	s_delay_alu instid0(VALU_DEP_1) | instskip(NEXT) | instid1(VALU_DEP_1)
	v_and_b32_e32 v7, 0x80000000, v7
	v_lshl_add_u32 v3, v3, 23, v7
	s_delay_alu instid0(VALU_DEP_1) | instskip(NEXT) | instid1(VALU_DEP_1)
	v_lshl_or_b32 v3, v5, 21, v3
                                        ; implicit-def: $vgpr5
	v_add_nc_u32_e32 v3, 0x38000000, v3
.LBB6_7147:                             ;   in Loop: Header=BB6_5693 Depth=2
	s_and_not1_saveexec_b32 s28, s28
; %bb.7148:                             ;   in Loop: Header=BB6_5693 Depth=2
	v_bfe_i32 v3, v106, 0, 8
	s_delay_alu instid0(VALU_DEP_1) | instskip(SKIP_1) | instid1(VALU_DEP_1)
	v_cmp_lt_i16_e32 vcc_lo, -1, v3
	v_mov_b32_e32 v3, 0x7f800000
	v_cndmask_b32_e32 v3, 0xff800000, v3, vcc_lo
	v_cmp_eq_u32_e32 vcc_lo, 0, v5
	s_delay_alu instid0(VALU_DEP_2)
	v_cndmask_b32_e32 v3, 0x7f800001, v3, vcc_lo
; %bb.7149:                             ;   in Loop: Header=BB6_5693 Depth=2
	s_or_b32 exec_lo, exec_lo, s28
.LBB6_7150:                             ;   in Loop: Header=BB6_5693 Depth=2
	s_delay_alu instid0(SALU_CYCLE_1)
	s_or_b32 exec_lo, exec_lo, s11
.LBB6_7151:                             ;   in Loop: Header=BB6_5693 Depth=2
	s_delay_alu instid0(SALU_CYCLE_1) | instskip(NEXT) | instid1(SALU_CYCLE_1)
	s_or_b32 exec_lo, exec_lo, s10
	s_mov_b32 s10, exec_lo
	s_wait_loadcnt_dscnt 0x1717
	v_cmpx_ne_u16_e32 0, v8
	s_cbranch_execz .LBB6_7161
; %bb.7152:                             ;   in Loop: Header=BB6_5693 Depth=2
	v_bfrev_b32_e32 v0, 1
	s_mov_b32 s11, exec_lo
	v_cmpx_ne_u16_e32 0xff80, v8
	s_cbranch_execz .LBB6_7160
; %bb.7153:                             ;   in Loop: Header=BB6_5693 Depth=2
	v_and_b32_e32 v0, 0x7c, v8
	v_and_b32_e32 v5, 3, v8
	s_delay_alu instid0(VALU_DEP_2) | instskip(SKIP_1) | instid1(SALU_CYCLE_1)
	v_cmp_ne_u32_e32 vcc_lo, 0x7c, v0
                                        ; implicit-def: $vgpr0
	s_and_saveexec_b32 s28, vcc_lo
	s_xor_b32 s28, exec_lo, s28
	s_cbranch_execz .LBB6_7157
; %bb.7154:                             ;   in Loop: Header=BB6_5693 Depth=2
	v_and_b32_e32 v0, 0xff, v8
	s_mov_b32 s29, exec_lo
	s_delay_alu instid0(VALU_DEP_1) | instskip(NEXT) | instid1(VALU_DEP_1)
	v_bfe_u32 v0, v0, 2, 5
	v_cmpx_eq_u32_e32 0, v0
	s_cbranch_execz .LBB6_7156
; %bb.7155:                             ;   in Loop: Header=BB6_5693 Depth=2
	v_clz_i32_u32_e32 v0, v5
	s_delay_alu instid0(VALU_DEP_1) | instskip(SKIP_1) | instid1(VALU_DEP_2)
	v_min_u32_e32 v0, 32, v0
	v_mov_b32_e32 v9, v1
	v_subrev_nc_u32_e32 v5, 29, v0
	v_sub_nc_u32_e32 v0, 30, v0
	s_delay_alu instid0(VALU_DEP_2) | instskip(NEXT) | instid1(VALU_DEP_1)
	v_lshlrev_b64_e32 v[16:17], v5, v[8:9]
	v_and_b32_e32 v5, 3, v16
.LBB6_7156:                             ;   in Loop: Header=BB6_5693 Depth=2
	s_or_b32 exec_lo, exec_lo, s29
	v_bfe_i32 v7, v8, 0, 16
                                        ; implicit-def: $vgpr8
	s_delay_alu instid0(VALU_DEP_1) | instskip(NEXT) | instid1(VALU_DEP_1)
	v_and_b32_e32 v7, 0x80000000, v7
	v_lshl_add_u32 v0, v0, 23, v7
	s_delay_alu instid0(VALU_DEP_1) | instskip(NEXT) | instid1(VALU_DEP_1)
	v_lshl_or_b32 v0, v5, 21, v0
                                        ; implicit-def: $vgpr5
	v_add_nc_u32_e32 v0, 0x38000000, v0
.LBB6_7157:                             ;   in Loop: Header=BB6_5693 Depth=2
	s_and_not1_saveexec_b32 s28, s28
; %bb.7158:                             ;   in Loop: Header=BB6_5693 Depth=2
	v_cmp_lt_i16_e32 vcc_lo, -1, v8
	v_mov_b32_e32 v0, 0x7f800000
	s_delay_alu instid0(VALU_DEP_1) | instskip(SKIP_1) | instid1(VALU_DEP_2)
	v_cndmask_b32_e32 v0, 0xff800000, v0, vcc_lo
	v_cmp_eq_u32_e32 vcc_lo, 0, v5
	v_cndmask_b32_e32 v0, 0x7f800001, v0, vcc_lo
; %bb.7159:                             ;   in Loop: Header=BB6_5693 Depth=2
	s_or_b32 exec_lo, exec_lo, s28
.LBB6_7160:                             ;   in Loop: Header=BB6_5693 Depth=2
	s_delay_alu instid0(SALU_CYCLE_1)
	s_or_b32 exec_lo, exec_lo, s11
.LBB6_7161:                             ;   in Loop: Header=BB6_5693 Depth=2
	s_delay_alu instid0(SALU_CYCLE_1) | instskip(NEXT) | instid1(VALU_DEP_1)
	s_or_b32 exec_lo, exec_lo, s10
	v_dual_add_f32 v5, v3, v0 :: v_dual_mov_b32 v9, v1
                                        ; implicit-def: $vgpr16
	s_mov_b32 s10, exec_lo
	s_delay_alu instid0(VALU_DEP_1) | instskip(SKIP_1) | instid1(VALU_DEP_2)
	v_and_b32_e32 v8, 0x7f800000, v5
	v_and_b32_e32 v0, 0x7fffff, v5
	v_cmpx_ne_u64_e32 0x7f800000, v[8:9]
	s_xor_b32 s11, exec_lo, s10
	s_cbranch_execz .LBB6_7179
; %bb.7162:                             ;   in Loop: Header=BB6_5693 Depth=2
	v_dual_mov_b32 v9, v1 :: v_dual_lshrrev_b32 v3, 24, v5
	v_and_b32_e32 v8, 0x7fffffff, v5
                                        ; implicit-def: $vgpr16
	s_mov_b32 s10, exec_lo
	s_delay_alu instid0(VALU_DEP_2) | instskip(NEXT) | instid1(VALU_DEP_2)
	v_and_b32_e32 v3, 0x80, v3
	v_cmpx_gt_u64_e32 0x47600001, v[8:9]
	s_xor_b32 s28, exec_lo, s10
	s_cbranch_execz .LBB6_7176
; %bb.7163:                             ;   in Loop: Header=BB6_5693 Depth=2
	v_mov_b32_e32 v16, 0
	s_mov_b32 s29, exec_lo
	v_cmpx_ne_u32_e32 0, v5
	s_cbranch_execz .LBB6_7175
; %bb.7164:                             ;   in Loop: Header=BB6_5693 Depth=2
	v_bfe_u32 v5, v5, 23, 8
	v_or_b32_e32 v8, 0x800000, v0
	v_mov_b32_e32 v9, v1
	s_delay_alu instid0(VALU_DEP_3) | instskip(SKIP_1) | instid1(VALU_DEP_4)
	v_cmp_eq_u32_e32 vcc_lo, 0, v5
	v_cmp_gt_u32_e64 s10, 0x72, v5
	v_dual_cndmask_b32 v8, v8, v0 :: v_dual_sub_nc_u32 v7, 0x71, v5
	s_delay_alu instid0(VALU_DEP_1) | instskip(NEXT) | instid1(VALU_DEP_1)
	v_cndmask_b32_e64 v7, 0, v7, s10
	v_cndmask_b32_e64 v7, v7, 0x70, vcc_lo
	s_delay_alu instid0(VALU_DEP_1) | instskip(NEXT) | instid1(VALU_DEP_1)
	v_add_nc_u32_e32 v0, 21, v7
	v_lshlrev_b64_e64 v[16:17], v0, -1
	v_add_nc_u32_e32 v0, 20, v7
	s_delay_alu instid0(VALU_DEP_1) | instskip(NEXT) | instid1(VALU_DEP_3)
	v_lshlrev_b64_e64 v[32:33], v0, 1
	v_bfi_b32 v16, v16, 0, v8
	v_lshrrev_b64 v[8:9], v7, v[8:9]
	v_bfi_b32 v17, v17, 0, 0
	s_delay_alu instid0(VALU_DEP_1) | instskip(NEXT) | instid1(VALU_DEP_3)
	v_cmp_eq_u64_e64 s10, v[16:17], v[32:33]
	v_mov_b64_e32 v[16:17], v[8:9]
	s_and_saveexec_b32 s40, s10
; %bb.7165:                             ;   in Loop: Header=BB6_5693 Depth=2
	v_bfe_u32 v16, v8, 21, 1
	v_mov_b32_e32 v17, v1
	s_delay_alu instid0(VALU_DEP_1) | instskip(NEXT) | instid1(VALU_DEP_1)
	v_add_nc_u64_e32 v[16:17], v[8:9], v[16:17]
	v_add_nc_u64_e32 v[16:17], -1, v[16:17]
; %bb.7166:                             ;   in Loop: Header=BB6_5693 Depth=2
	s_or_b32 exec_lo, exec_lo, s40
	v_add_nc_u32_e32 v0, 0xffffff81, v5
	s_delay_alu instid0(VALU_DEP_2) | instskip(SKIP_2) | instid1(VALU_DEP_3)
	v_and_b32_e32 v9, 0x1fffff, v16
	v_lshrrev_b32_e32 v5, 23, v8
	s_mov_b32 s10, exec_lo
	v_cndmask_b32_e64 v0, v0, 0xffffff82, vcc_lo
	s_delay_alu instid0(VALU_DEP_1) | instskip(SKIP_1) | instid1(VALU_DEP_2)
	v_add3_u32 v7, v7, v0, v5
	v_add_nc_u32_e32 v0, v9, v8
                                        ; implicit-def: $vgpr8_vgpr9
                                        ; implicit-def: $vgpr5
	v_add_nc_u32_e32 v16, 14, v7
	s_delay_alu instid0(VALU_DEP_1)
	v_cmpx_ne_u32_e32 0, v16
	s_xor_b32 s10, exec_lo, s10
; %bb.7167:                             ;   in Loop: Header=BB6_5693 Depth=2
	s_delay_alu instid0(VALU_DEP_3) | instskip(SKIP_2) | instid1(VALU_DEP_2)
	v_cmp_lt_u64_e32 vcc_lo, 0xffffff, v[0:1]
	v_add_nc_u32_e32 v5, 15, v7
	v_cndmask_b32_e64 v7, 0, 1, vcc_lo
	v_cndmask_b32_e32 v5, v16, v5, vcc_lo
	s_delay_alu instid0(VALU_DEP_2)
	v_lshrrev_b64 v[8:9], v7, v[0:1]
; %bb.7168:                             ;   in Loop: Header=BB6_5693 Depth=2
	s_and_not1_saveexec_b32 s10, s10
; %bb.7169:                             ;   in Loop: Header=BB6_5693 Depth=2
	v_mov_b64_e32 v[8:9], v[0:1]
	v_bfe_u32 v5, v0, 23, 1
; %bb.7170:                             ;   in Loop: Header=BB6_5693 Depth=2
	s_or_b32 exec_lo, exec_lo, s10
	s_delay_alu instid0(VALU_DEP_2) | instskip(NEXT) | instid1(VALU_DEP_2)
	v_lshrrev_b64 v[8:9], 21, v[8:9]
	v_cmp_gt_i32_e32 vcc_lo, 32, v5
	v_cmp_ne_u32_e64 s10, 0, v5
                                        ; implicit-def: $vgpr16
	s_delay_alu instid0(VALU_DEP_3) | instskip(NEXT) | instid1(VALU_DEP_1)
	v_dual_cndmask_b32 v9, 0, v9 :: v_dual_cndmask_b32 v8, 3, v8
	v_cmp_ne_u64_e32 vcc_lo, 0, v[8:9]
	s_or_b32 s10, s10, vcc_lo
	s_delay_alu instid0(SALU_CYCLE_1) | instskip(NEXT) | instid1(SALU_CYCLE_1)
	s_and_saveexec_b32 s40, s10
	s_xor_b32 s10, exec_lo, s40
; %bb.7171:                             ;   in Loop: Header=BB6_5693 Depth=2
	v_min_i32_e32 v0, 31, v5
	s_delay_alu instid0(VALU_DEP_1) | instskip(NEXT) | instid1(VALU_DEP_1)
	v_lshl_or_b32 v0, v0, 2, v3
                                        ; implicit-def: $vgpr3
	v_and_or_b32 v16, v8, 3, v0
; %bb.7172:                             ;   in Loop: Header=BB6_5693 Depth=2
	s_and_not1_saveexec_b32 s10, s10
; %bb.7173:                             ;   in Loop: Header=BB6_5693 Depth=2
	v_mov_b32_e32 v16, v3
; %bb.7174:                             ;   in Loop: Header=BB6_5693 Depth=2
	s_or_b32 exec_lo, exec_lo, s10
.LBB6_7175:                             ;   in Loop: Header=BB6_5693 Depth=2
	s_delay_alu instid0(SALU_CYCLE_1)
	s_or_b32 exec_lo, exec_lo, s29
                                        ; implicit-def: $vgpr3
.LBB6_7176:                             ;   in Loop: Header=BB6_5693 Depth=2
	s_and_not1_saveexec_b32 s10, s28
; %bb.7177:                             ;   in Loop: Header=BB6_5693 Depth=2
	v_or_b32_e32 v16, 0x7b, v3
; %bb.7178:                             ;   in Loop: Header=BB6_5693 Depth=2
	s_or_b32 exec_lo, exec_lo, s10
                                        ; implicit-def: $vgpr5
.LBB6_7179:                             ;   in Loop: Header=BB6_5693 Depth=2
	s_and_not1_saveexec_b32 s10, s11
	s_cbranch_execz .LBB6_7185
; %bb.7180:                             ;   in Loop: Header=BB6_5693 Depth=2
	s_mov_b32 s11, exec_lo
                                        ; implicit-def: $vgpr16
	v_cmpx_ne_u64_e32 0, v[0:1]
	s_xor_b32 s11, exec_lo, s11
; %bb.7181:                             ;   in Loop: Header=BB6_5693 Depth=2
	v_lshrrev_b32_e32 v0, 24, v5
                                        ; implicit-def: $vgpr5
	s_delay_alu instid0(VALU_DEP_1)
	v_or_b32_e32 v16, 0x7f, v0
; %bb.7182:                             ;   in Loop: Header=BB6_5693 Depth=2
	s_and_not1_saveexec_b32 s11, s11
; %bb.7183:                             ;   in Loop: Header=BB6_5693 Depth=2
	v_cmp_lt_i32_e32 vcc_lo, -1, v5
	v_cndmask_b32_e64 v16, -4, 0x7c, vcc_lo
; %bb.7184:                             ;   in Loop: Header=BB6_5693 Depth=2
	s_or_b32 exec_lo, exec_lo, s11
.LBB6_7185:                             ;   in Loop: Header=BB6_5693 Depth=2
	s_delay_alu instid0(SALU_CYCLE_1) | instskip(SKIP_3) | instid1(VALU_DEP_2)
	s_or_b32 exec_lo, exec_lo, s10
	v_and_b32_e32 v7, 0xff, v104
	v_dual_mov_b32 v0, 0 :: v_dual_mov_b32 v3, 0
	s_mov_b32 s10, exec_lo
	v_cmpx_ne_u16_e32 0, v7
	s_cbranch_execz .LBB6_7195
; %bb.7186:                             ;   in Loop: Header=BB6_5693 Depth=2
	v_bfrev_b32_e32 v3, 1
	s_mov_b32 s11, exec_lo
	v_cmpx_ne_u16_e32 0x80, v7
	s_cbranch_execz .LBB6_7194
; %bb.7187:                             ;   in Loop: Header=BB6_5693 Depth=2
	v_and_b32_e32 v3, 0x7c, v104
	v_and_b32_e32 v5, 3, v104
	s_delay_alu instid0(VALU_DEP_2) | instskip(SKIP_1) | instid1(SALU_CYCLE_1)
	v_cmp_ne_u32_e32 vcc_lo, 0x7c, v3
                                        ; implicit-def: $vgpr3
	s_and_saveexec_b32 s28, vcc_lo
	s_xor_b32 s28, exec_lo, s28
	s_cbranch_execz .LBB6_7191
; %bb.7188:                             ;   in Loop: Header=BB6_5693 Depth=2
	v_bfe_u32 v3, v7, 2, 5
	s_mov_b32 s29, exec_lo
	s_delay_alu instid0(VALU_DEP_1)
	v_cmpx_eq_u32_e32 0, v3
	s_cbranch_execz .LBB6_7190
; %bb.7189:                             ;   in Loop: Header=BB6_5693 Depth=2
	v_clz_i32_u32_e32 v3, v5
	s_delay_alu instid0(VALU_DEP_1) | instskip(SKIP_1) | instid1(VALU_DEP_2)
	v_min_u32_e32 v3, 32, v3
	v_mov_b32_e32 v105, v1
	v_subrev_nc_u32_e32 v5, 29, v3
	v_sub_nc_u32_e32 v3, 30, v3
	s_delay_alu instid0(VALU_DEP_2) | instskip(NEXT) | instid1(VALU_DEP_1)
	v_lshlrev_b64_e32 v[8:9], v5, v[104:105]
	v_and_b32_e32 v5, 3, v8
.LBB6_7190:                             ;   in Loop: Header=BB6_5693 Depth=2
	s_or_b32 exec_lo, exec_lo, s29
	v_lshlrev_b32_e32 v7, 24, v104
                                        ; implicit-def: $vgpr104
	s_delay_alu instid0(VALU_DEP_1) | instskip(NEXT) | instid1(VALU_DEP_1)
	v_and_b32_e32 v7, 0x80000000, v7
	v_lshl_add_u32 v3, v3, 23, v7
	s_delay_alu instid0(VALU_DEP_1) | instskip(NEXT) | instid1(VALU_DEP_1)
	v_lshl_or_b32 v3, v5, 21, v3
                                        ; implicit-def: $vgpr5
	v_add_nc_u32_e32 v3, 0x38000000, v3
.LBB6_7191:                             ;   in Loop: Header=BB6_5693 Depth=2
	s_and_not1_saveexec_b32 s28, s28
; %bb.7192:                             ;   in Loop: Header=BB6_5693 Depth=2
	v_bfe_i32 v3, v104, 0, 8
	s_delay_alu instid0(VALU_DEP_1) | instskip(SKIP_1) | instid1(VALU_DEP_1)
	v_cmp_lt_i16_e32 vcc_lo, -1, v3
	v_mov_b32_e32 v3, 0x7f800000
	v_cndmask_b32_e32 v3, 0xff800000, v3, vcc_lo
	v_cmp_eq_u32_e32 vcc_lo, 0, v5
	s_delay_alu instid0(VALU_DEP_2)
	v_cndmask_b32_e32 v3, 0x7f800001, v3, vcc_lo
; %bb.7193:                             ;   in Loop: Header=BB6_5693 Depth=2
	s_or_b32 exec_lo, exec_lo, s28
.LBB6_7194:                             ;   in Loop: Header=BB6_5693 Depth=2
	s_delay_alu instid0(SALU_CYCLE_1)
	s_or_b32 exec_lo, exec_lo, s11
.LBB6_7195:                             ;   in Loop: Header=BB6_5693 Depth=2
	s_delay_alu instid0(SALU_CYCLE_1) | instskip(NEXT) | instid1(SALU_CYCLE_1)
	s_or_b32 exec_lo, exec_lo, s10
	s_mov_b32 s10, exec_lo
	s_wait_loadcnt_dscnt 0x1616
	v_cmpx_ne_u16_e32 0, v6
	s_cbranch_execz .LBB6_7205
; %bb.7196:                             ;   in Loop: Header=BB6_5693 Depth=2
	v_bfrev_b32_e32 v0, 1
	s_mov_b32 s11, exec_lo
	v_cmpx_ne_u16_e32 0xff80, v6
	s_cbranch_execz .LBB6_7204
; %bb.7197:                             ;   in Loop: Header=BB6_5693 Depth=2
	v_and_b32_e32 v0, 0x7c, v6
	v_and_b32_e32 v5, 3, v6
	s_delay_alu instid0(VALU_DEP_2) | instskip(SKIP_1) | instid1(SALU_CYCLE_1)
	v_cmp_ne_u32_e32 vcc_lo, 0x7c, v0
                                        ; implicit-def: $vgpr0
	s_and_saveexec_b32 s28, vcc_lo
	s_xor_b32 s28, exec_lo, s28
	s_cbranch_execz .LBB6_7201
; %bb.7198:                             ;   in Loop: Header=BB6_5693 Depth=2
	v_and_b32_e32 v0, 0xff, v6
	s_mov_b32 s29, exec_lo
	s_delay_alu instid0(VALU_DEP_1) | instskip(NEXT) | instid1(VALU_DEP_1)
	v_bfe_u32 v0, v0, 2, 5
	v_cmpx_eq_u32_e32 0, v0
	s_cbranch_execz .LBB6_7200
; %bb.7199:                             ;   in Loop: Header=BB6_5693 Depth=2
	v_clz_i32_u32_e32 v0, v5
	s_delay_alu instid0(VALU_DEP_1) | instskip(SKIP_1) | instid1(VALU_DEP_2)
	v_min_u32_e32 v0, 32, v0
	v_mov_b32_e32 v7, v1
	v_subrev_nc_u32_e32 v5, 29, v0
	v_sub_nc_u32_e32 v0, 30, v0
	s_delay_alu instid0(VALU_DEP_2) | instskip(NEXT) | instid1(VALU_DEP_1)
	v_lshlrev_b64_e32 v[8:9], v5, v[6:7]
	v_and_b32_e32 v5, 3, v8
.LBB6_7200:                             ;   in Loop: Header=BB6_5693 Depth=2
	s_or_b32 exec_lo, exec_lo, s29
	v_bfe_i32 v6, v6, 0, 16
	s_delay_alu instid0(VALU_DEP_1) | instskip(NEXT) | instid1(VALU_DEP_1)
	v_and_b32_e32 v6, 0x80000000, v6
	v_lshl_add_u32 v0, v0, 23, v6
                                        ; implicit-def: $vgpr6
	s_delay_alu instid0(VALU_DEP_1) | instskip(NEXT) | instid1(VALU_DEP_1)
	v_lshl_or_b32 v0, v5, 21, v0
                                        ; implicit-def: $vgpr5
	v_add_nc_u32_e32 v0, 0x38000000, v0
.LBB6_7201:                             ;   in Loop: Header=BB6_5693 Depth=2
	s_and_not1_saveexec_b32 s28, s28
; %bb.7202:                             ;   in Loop: Header=BB6_5693 Depth=2
	v_cmp_lt_i16_e32 vcc_lo, -1, v6
	v_mov_b32_e32 v0, 0x7f800000
	s_delay_alu instid0(VALU_DEP_1) | instskip(SKIP_1) | instid1(VALU_DEP_2)
	v_cndmask_b32_e32 v0, 0xff800000, v0, vcc_lo
	v_cmp_eq_u32_e32 vcc_lo, 0, v5
	v_cndmask_b32_e32 v0, 0x7f800001, v0, vcc_lo
; %bb.7203:                             ;   in Loop: Header=BB6_5693 Depth=2
	s_or_b32 exec_lo, exec_lo, s28
.LBB6_7204:                             ;   in Loop: Header=BB6_5693 Depth=2
	s_delay_alu instid0(SALU_CYCLE_1)
	s_or_b32 exec_lo, exec_lo, s11
.LBB6_7205:                             ;   in Loop: Header=BB6_5693 Depth=2
	s_delay_alu instid0(SALU_CYCLE_1) | instskip(NEXT) | instid1(VALU_DEP_1)
	s_or_b32 exec_lo, exec_lo, s10
	v_dual_add_f32 v5, v3, v0 :: v_dual_mov_b32 v7, v1
                                        ; implicit-def: $vgpr17
	s_mov_b32 s10, exec_lo
	s_delay_alu instid0(VALU_DEP_1) | instskip(SKIP_1) | instid1(VALU_DEP_2)
	v_and_b32_e32 v6, 0x7f800000, v5
	v_and_b32_e32 v0, 0x7fffff, v5
	v_cmpx_ne_u64_e32 0x7f800000, v[6:7]
	s_xor_b32 s11, exec_lo, s10
	s_cbranch_execz .LBB6_7223
; %bb.7206:                             ;   in Loop: Header=BB6_5693 Depth=2
	v_dual_mov_b32 v7, v1 :: v_dual_lshrrev_b32 v3, 24, v5
	v_and_b32_e32 v6, 0x7fffffff, v5
                                        ; implicit-def: $vgpr17
	s_mov_b32 s10, exec_lo
	s_delay_alu instid0(VALU_DEP_2) | instskip(NEXT) | instid1(VALU_DEP_2)
	v_and_b32_e32 v3, 0x80, v3
	v_cmpx_gt_u64_e32 0x47600001, v[6:7]
	s_xor_b32 s28, exec_lo, s10
	s_cbranch_execz .LBB6_7220
; %bb.7207:                             ;   in Loop: Header=BB6_5693 Depth=2
	v_mov_b32_e32 v17, 0
	s_mov_b32 s29, exec_lo
	v_cmpx_ne_u32_e32 0, v5
	s_cbranch_execz .LBB6_7219
; %bb.7208:                             ;   in Loop: Header=BB6_5693 Depth=2
	v_bfe_u32 v5, v5, 23, 8
	v_or_b32_e32 v7, 0x800000, v0
	s_delay_alu instid0(VALU_DEP_2) | instskip(SKIP_2) | instid1(VALU_DEP_2)
	v_cmp_gt_u32_e64 s10, 0x72, v5
	v_sub_nc_u32_e32 v6, 0x71, v5
	v_cmp_eq_u32_e32 vcc_lo, 0, v5
	v_cndmask_b32_e64 v6, 0, v6, s10
	s_delay_alu instid0(VALU_DEP_1) | instskip(SKIP_1) | instid1(VALU_DEP_2)
	v_cndmask_b32_e64 v17, v6, 0x70, vcc_lo
	v_dual_cndmask_b32 v6, v7, v0 :: v_dual_mov_b32 v7, v1
	v_add_nc_u32_e32 v0, 21, v17
	s_delay_alu instid0(VALU_DEP_1) | instskip(SKIP_1) | instid1(VALU_DEP_1)
	v_lshlrev_b64_e64 v[8:9], v0, -1
	v_add_nc_u32_e32 v0, 20, v17
	v_lshlrev_b64_e64 v[32:33], v0, 1
	s_delay_alu instid0(VALU_DEP_3) | instskip(SKIP_2) | instid1(VALU_DEP_1)
	v_bfi_b32 v8, v8, 0, v6
	v_lshrrev_b64 v[6:7], v17, v[6:7]
	v_bfi_b32 v9, v9, 0, 0
	v_cmp_eq_u64_e64 s10, v[8:9], v[32:33]
	s_delay_alu instid0(VALU_DEP_3)
	v_mov_b64_e32 v[8:9], v[6:7]
	s_and_saveexec_b32 s40, s10
; %bb.7209:                             ;   in Loop: Header=BB6_5693 Depth=2
	v_bfe_u32 v8, v6, 21, 1
	v_mov_b32_e32 v9, v1
	s_delay_alu instid0(VALU_DEP_1) | instskip(NEXT) | instid1(VALU_DEP_1)
	v_add_nc_u64_e32 v[8:9], v[6:7], v[8:9]
	v_add_nc_u64_e32 v[8:9], -1, v[8:9]
; %bb.7210:                             ;   in Loop: Header=BB6_5693 Depth=2
	s_or_b32 exec_lo, exec_lo, s40
	v_add_nc_u32_e32 v0, 0xffffff81, v5
	s_delay_alu instid0(VALU_DEP_2) | instskip(SKIP_2) | instid1(VALU_DEP_3)
	v_and_b32_e32 v7, 0x1fffff, v8
	v_lshrrev_b32_e32 v5, 23, v6
	s_mov_b32 s10, exec_lo
	v_cndmask_b32_e64 v0, v0, 0xffffff82, vcc_lo
	s_delay_alu instid0(VALU_DEP_1) | instskip(SKIP_1) | instid1(VALU_DEP_2)
	v_add3_u32 v8, v17, v0, v5
	v_add_nc_u32_e32 v0, v7, v6
                                        ; implicit-def: $vgpr6_vgpr7
                                        ; implicit-def: $vgpr5
	v_add_nc_u32_e32 v9, 14, v8
	s_delay_alu instid0(VALU_DEP_1)
	v_cmpx_ne_u32_e32 0, v9
	s_xor_b32 s10, exec_lo, s10
; %bb.7211:                             ;   in Loop: Header=BB6_5693 Depth=2
	s_delay_alu instid0(VALU_DEP_3) | instskip(SKIP_2) | instid1(VALU_DEP_2)
	v_cmp_lt_u64_e32 vcc_lo, 0xffffff, v[0:1]
	v_add_nc_u32_e32 v5, 15, v8
	v_cndmask_b32_e64 v6, 0, 1, vcc_lo
	v_cndmask_b32_e32 v5, v9, v5, vcc_lo
	s_delay_alu instid0(VALU_DEP_2)
	v_lshrrev_b64 v[6:7], v6, v[0:1]
; %bb.7212:                             ;   in Loop: Header=BB6_5693 Depth=2
	s_and_not1_saveexec_b32 s10, s10
; %bb.7213:                             ;   in Loop: Header=BB6_5693 Depth=2
	v_mov_b64_e32 v[6:7], v[0:1]
	v_bfe_u32 v5, v0, 23, 1
; %bb.7214:                             ;   in Loop: Header=BB6_5693 Depth=2
	s_or_b32 exec_lo, exec_lo, s10
	s_delay_alu instid0(VALU_DEP_2) | instskip(NEXT) | instid1(VALU_DEP_2)
	v_lshrrev_b64 v[6:7], 21, v[6:7]
	v_cmp_gt_i32_e32 vcc_lo, 32, v5
	v_cmp_ne_u32_e64 s10, 0, v5
                                        ; implicit-def: $vgpr17
	s_delay_alu instid0(VALU_DEP_3) | instskip(NEXT) | instid1(VALU_DEP_1)
	v_dual_cndmask_b32 v7, 0, v7 :: v_dual_cndmask_b32 v6, 3, v6
	v_cmp_ne_u64_e32 vcc_lo, 0, v[6:7]
	s_or_b32 s10, s10, vcc_lo
	s_delay_alu instid0(SALU_CYCLE_1) | instskip(NEXT) | instid1(SALU_CYCLE_1)
	s_and_saveexec_b32 s40, s10
	s_xor_b32 s10, exec_lo, s40
; %bb.7215:                             ;   in Loop: Header=BB6_5693 Depth=2
	v_min_i32_e32 v0, 31, v5
	s_delay_alu instid0(VALU_DEP_1) | instskip(NEXT) | instid1(VALU_DEP_1)
	v_lshl_or_b32 v0, v0, 2, v3
                                        ; implicit-def: $vgpr3
	v_and_or_b32 v17, v6, 3, v0
; %bb.7216:                             ;   in Loop: Header=BB6_5693 Depth=2
	s_and_not1_saveexec_b32 s10, s10
; %bb.7217:                             ;   in Loop: Header=BB6_5693 Depth=2
	v_mov_b32_e32 v17, v3
; %bb.7218:                             ;   in Loop: Header=BB6_5693 Depth=2
	s_or_b32 exec_lo, exec_lo, s10
.LBB6_7219:                             ;   in Loop: Header=BB6_5693 Depth=2
	s_delay_alu instid0(SALU_CYCLE_1)
	s_or_b32 exec_lo, exec_lo, s29
                                        ; implicit-def: $vgpr3
.LBB6_7220:                             ;   in Loop: Header=BB6_5693 Depth=2
	s_and_not1_saveexec_b32 s10, s28
; %bb.7221:                             ;   in Loop: Header=BB6_5693 Depth=2
	v_or_b32_e32 v17, 0x7b, v3
; %bb.7222:                             ;   in Loop: Header=BB6_5693 Depth=2
	s_or_b32 exec_lo, exec_lo, s10
                                        ; implicit-def: $vgpr5
.LBB6_7223:                             ;   in Loop: Header=BB6_5693 Depth=2
	s_and_not1_saveexec_b32 s10, s11
	s_cbranch_execz .LBB6_7229
; %bb.7224:                             ;   in Loop: Header=BB6_5693 Depth=2
	s_mov_b32 s11, exec_lo
                                        ; implicit-def: $vgpr17
	v_cmpx_ne_u64_e32 0, v[0:1]
	s_xor_b32 s11, exec_lo, s11
; %bb.7225:                             ;   in Loop: Header=BB6_5693 Depth=2
	v_lshrrev_b32_e32 v0, 24, v5
                                        ; implicit-def: $vgpr5
	s_delay_alu instid0(VALU_DEP_1)
	v_or_b32_e32 v17, 0x7f, v0
; %bb.7226:                             ;   in Loop: Header=BB6_5693 Depth=2
	s_and_not1_saveexec_b32 s11, s11
; %bb.7227:                             ;   in Loop: Header=BB6_5693 Depth=2
	v_cmp_lt_i32_e32 vcc_lo, -1, v5
	v_cndmask_b32_e64 v17, -4, 0x7c, vcc_lo
; %bb.7228:                             ;   in Loop: Header=BB6_5693 Depth=2
	s_or_b32 exec_lo, exec_lo, s11
.LBB6_7229:                             ;   in Loop: Header=BB6_5693 Depth=2
	s_delay_alu instid0(SALU_CYCLE_1) | instskip(SKIP_3) | instid1(VALU_DEP_2)
	s_or_b32 exec_lo, exec_lo, s10
	v_and_b32_e32 v6, 0xff, v92
	v_dual_mov_b32 v0, 0 :: v_dual_mov_b32 v3, 0
	s_mov_b32 s10, exec_lo
	v_cmpx_ne_u16_e32 0, v6
	s_cbranch_execz .LBB6_7239
; %bb.7230:                             ;   in Loop: Header=BB6_5693 Depth=2
	v_bfrev_b32_e32 v3, 1
	s_mov_b32 s11, exec_lo
	v_cmpx_ne_u16_e32 0x80, v6
	s_cbranch_execz .LBB6_7238
; %bb.7231:                             ;   in Loop: Header=BB6_5693 Depth=2
	v_and_b32_e32 v3, 0x7c, v92
	v_and_b32_e32 v5, 3, v92
	s_delay_alu instid0(VALU_DEP_2) | instskip(SKIP_1) | instid1(SALU_CYCLE_1)
	v_cmp_ne_u32_e32 vcc_lo, 0x7c, v3
                                        ; implicit-def: $vgpr3
	s_and_saveexec_b32 s28, vcc_lo
	s_xor_b32 s28, exec_lo, s28
	s_cbranch_execz .LBB6_7235
; %bb.7232:                             ;   in Loop: Header=BB6_5693 Depth=2
	v_bfe_u32 v3, v6, 2, 5
	s_mov_b32 s29, exec_lo
	s_delay_alu instid0(VALU_DEP_1)
	v_cmpx_eq_u32_e32 0, v3
	s_cbranch_execz .LBB6_7234
; %bb.7233:                             ;   in Loop: Header=BB6_5693 Depth=2
	v_clz_i32_u32_e32 v3, v5
	s_delay_alu instid0(VALU_DEP_1) | instskip(SKIP_1) | instid1(VALU_DEP_2)
	v_min_u32_e32 v3, 32, v3
	v_mov_b32_e32 v93, v1
	v_subrev_nc_u32_e32 v5, 29, v3
	v_sub_nc_u32_e32 v3, 30, v3
	s_delay_alu instid0(VALU_DEP_2) | instskip(NEXT) | instid1(VALU_DEP_1)
	v_lshlrev_b64_e32 v[6:7], v5, v[92:93]
	v_and_b32_e32 v5, 3, v6
.LBB6_7234:                             ;   in Loop: Header=BB6_5693 Depth=2
	s_or_b32 exec_lo, exec_lo, s29
	v_lshlrev_b32_e32 v6, 24, v92
                                        ; implicit-def: $vgpr92
	s_delay_alu instid0(VALU_DEP_1) | instskip(NEXT) | instid1(VALU_DEP_1)
	v_and_b32_e32 v6, 0x80000000, v6
	v_lshl_add_u32 v3, v3, 23, v6
	s_delay_alu instid0(VALU_DEP_1) | instskip(NEXT) | instid1(VALU_DEP_1)
	v_lshl_or_b32 v3, v5, 21, v3
                                        ; implicit-def: $vgpr5
	v_add_nc_u32_e32 v3, 0x38000000, v3
.LBB6_7235:                             ;   in Loop: Header=BB6_5693 Depth=2
	s_and_not1_saveexec_b32 s28, s28
; %bb.7236:                             ;   in Loop: Header=BB6_5693 Depth=2
	v_bfe_i32 v3, v92, 0, 8
	s_delay_alu instid0(VALU_DEP_1) | instskip(SKIP_1) | instid1(VALU_DEP_1)
	v_cmp_lt_i16_e32 vcc_lo, -1, v3
	v_mov_b32_e32 v3, 0x7f800000
	v_cndmask_b32_e32 v3, 0xff800000, v3, vcc_lo
	v_cmp_eq_u32_e32 vcc_lo, 0, v5
	s_delay_alu instid0(VALU_DEP_2)
	v_cndmask_b32_e32 v3, 0x7f800001, v3, vcc_lo
; %bb.7237:                             ;   in Loop: Header=BB6_5693 Depth=2
	s_or_b32 exec_lo, exec_lo, s28
.LBB6_7238:                             ;   in Loop: Header=BB6_5693 Depth=2
	s_delay_alu instid0(SALU_CYCLE_1)
	s_or_b32 exec_lo, exec_lo, s11
.LBB6_7239:                             ;   in Loop: Header=BB6_5693 Depth=2
	s_delay_alu instid0(SALU_CYCLE_1) | instskip(NEXT) | instid1(SALU_CYCLE_1)
	s_or_b32 exec_lo, exec_lo, s10
	s_mov_b32 s10, exec_lo
	s_wait_loadcnt_dscnt 0x1515
	v_cmpx_ne_u16_e32 0, v80
	s_cbranch_execz .LBB6_7249
; %bb.7240:                             ;   in Loop: Header=BB6_5693 Depth=2
	v_bfrev_b32_e32 v0, 1
	s_mov_b32 s11, exec_lo
	v_cmpx_ne_u16_e32 0xff80, v80
	s_cbranch_execz .LBB6_7248
; %bb.7241:                             ;   in Loop: Header=BB6_5693 Depth=2
	v_and_b32_e32 v0, 0x7c, v80
	v_and_b32_e32 v5, 3, v80
	s_delay_alu instid0(VALU_DEP_2) | instskip(SKIP_1) | instid1(SALU_CYCLE_1)
	v_cmp_ne_u32_e32 vcc_lo, 0x7c, v0
                                        ; implicit-def: $vgpr0
	s_and_saveexec_b32 s28, vcc_lo
	s_xor_b32 s28, exec_lo, s28
	s_cbranch_execz .LBB6_7245
; %bb.7242:                             ;   in Loop: Header=BB6_5693 Depth=2
	v_and_b32_e32 v0, 0xff, v80
	s_mov_b32 s29, exec_lo
	s_delay_alu instid0(VALU_DEP_1) | instskip(NEXT) | instid1(VALU_DEP_1)
	v_bfe_u32 v0, v0, 2, 5
	v_cmpx_eq_u32_e32 0, v0
	s_cbranch_execz .LBB6_7244
; %bb.7243:                             ;   in Loop: Header=BB6_5693 Depth=2
	v_clz_i32_u32_e32 v0, v5
	s_delay_alu instid0(VALU_DEP_1) | instskip(SKIP_1) | instid1(VALU_DEP_2)
	v_min_u32_e32 v0, 32, v0
	v_mov_b32_e32 v81, v1
	v_subrev_nc_u32_e32 v5, 29, v0
	v_sub_nc_u32_e32 v0, 30, v0
	s_delay_alu instid0(VALU_DEP_2) | instskip(NEXT) | instid1(VALU_DEP_1)
	v_lshlrev_b64_e32 v[6:7], v5, v[80:81]
	v_and_b32_e32 v5, 3, v6
.LBB6_7244:                             ;   in Loop: Header=BB6_5693 Depth=2
	s_or_b32 exec_lo, exec_lo, s29
	v_bfe_i32 v6, v80, 0, 16
                                        ; implicit-def: $vgpr80
	s_delay_alu instid0(VALU_DEP_1) | instskip(NEXT) | instid1(VALU_DEP_1)
	v_and_b32_e32 v6, 0x80000000, v6
	v_lshl_add_u32 v0, v0, 23, v6
	s_delay_alu instid0(VALU_DEP_1) | instskip(NEXT) | instid1(VALU_DEP_1)
	v_lshl_or_b32 v0, v5, 21, v0
                                        ; implicit-def: $vgpr5
	v_add_nc_u32_e32 v0, 0x38000000, v0
.LBB6_7245:                             ;   in Loop: Header=BB6_5693 Depth=2
	s_and_not1_saveexec_b32 s28, s28
; %bb.7246:                             ;   in Loop: Header=BB6_5693 Depth=2
	v_cmp_lt_i16_e32 vcc_lo, -1, v80
	v_mov_b32_e32 v0, 0x7f800000
	s_delay_alu instid0(VALU_DEP_1) | instskip(SKIP_1) | instid1(VALU_DEP_2)
	v_cndmask_b32_e32 v0, 0xff800000, v0, vcc_lo
	v_cmp_eq_u32_e32 vcc_lo, 0, v5
	v_cndmask_b32_e32 v0, 0x7f800001, v0, vcc_lo
; %bb.7247:                             ;   in Loop: Header=BB6_5693 Depth=2
	s_or_b32 exec_lo, exec_lo, s28
.LBB6_7248:                             ;   in Loop: Header=BB6_5693 Depth=2
	s_delay_alu instid0(SALU_CYCLE_1)
	s_or_b32 exec_lo, exec_lo, s11
.LBB6_7249:                             ;   in Loop: Header=BB6_5693 Depth=2
	s_delay_alu instid0(SALU_CYCLE_1) | instskip(NEXT) | instid1(VALU_DEP_1)
	s_or_b32 exec_lo, exec_lo, s10
	v_dual_add_f32 v5, v3, v0 :: v_dual_mov_b32 v7, v1
                                        ; implicit-def: $vgpr21
	s_mov_b32 s10, exec_lo
	s_delay_alu instid0(VALU_DEP_1) | instskip(SKIP_1) | instid1(VALU_DEP_2)
	v_and_b32_e32 v6, 0x7f800000, v5
	v_and_b32_e32 v0, 0x7fffff, v5
	v_cmpx_ne_u64_e32 0x7f800000, v[6:7]
	s_xor_b32 s11, exec_lo, s10
	s_cbranch_execz .LBB6_7267
; %bb.7250:                             ;   in Loop: Header=BB6_5693 Depth=2
	v_dual_mov_b32 v7, v1 :: v_dual_lshrrev_b32 v3, 24, v5
	v_and_b32_e32 v6, 0x7fffffff, v5
                                        ; implicit-def: $vgpr21
	s_mov_b32 s10, exec_lo
	s_delay_alu instid0(VALU_DEP_2) | instskip(NEXT) | instid1(VALU_DEP_2)
	v_and_b32_e32 v3, 0x80, v3
	v_cmpx_gt_u64_e32 0x47600001, v[6:7]
	s_xor_b32 s28, exec_lo, s10
	s_cbranch_execz .LBB6_7264
; %bb.7251:                             ;   in Loop: Header=BB6_5693 Depth=2
	v_mov_b32_e32 v21, 0
	s_mov_b32 s29, exec_lo
	v_cmpx_ne_u32_e32 0, v5
	s_cbranch_execz .LBB6_7263
; %bb.7252:                             ;   in Loop: Header=BB6_5693 Depth=2
	v_bfe_u32 v5, v5, 23, 8
	v_or_b32_e32 v7, 0x800000, v0
	s_delay_alu instid0(VALU_DEP_2) | instskip(SKIP_2) | instid1(VALU_DEP_2)
	v_cmp_gt_u32_e64 s10, 0x72, v5
	v_sub_nc_u32_e32 v6, 0x71, v5
	v_cmp_eq_u32_e32 vcc_lo, 0, v5
	v_cndmask_b32_e64 v6, 0, v6, s10
	s_delay_alu instid0(VALU_DEP_1) | instskip(SKIP_1) | instid1(VALU_DEP_2)
	v_cndmask_b32_e64 v19, v6, 0x70, vcc_lo
	v_dual_cndmask_b32 v6, v7, v0 :: v_dual_mov_b32 v7, v1
	v_add_nc_u32_e32 v0, 21, v19
	s_delay_alu instid0(VALU_DEP_1) | instskip(SKIP_1) | instid1(VALU_DEP_1)
	v_lshlrev_b64_e64 v[8:9], v0, -1
	v_add_nc_u32_e32 v0, 20, v19
	v_lshlrev_b64_e64 v[32:33], v0, 1
	s_delay_alu instid0(VALU_DEP_3) | instskip(SKIP_2) | instid1(VALU_DEP_1)
	v_bfi_b32 v8, v8, 0, v6
	v_lshrrev_b64 v[6:7], v19, v[6:7]
	v_bfi_b32 v9, v9, 0, 0
	v_cmp_eq_u64_e64 s10, v[8:9], v[32:33]
	s_delay_alu instid0(VALU_DEP_3)
	v_mov_b64_e32 v[8:9], v[6:7]
	s_and_saveexec_b32 s40, s10
; %bb.7253:                             ;   in Loop: Header=BB6_5693 Depth=2
	v_bfe_u32 v8, v6, 21, 1
	v_mov_b32_e32 v9, v1
	s_delay_alu instid0(VALU_DEP_1) | instskip(NEXT) | instid1(VALU_DEP_1)
	v_add_nc_u64_e32 v[8:9], v[6:7], v[8:9]
	v_add_nc_u64_e32 v[8:9], -1, v[8:9]
; %bb.7254:                             ;   in Loop: Header=BB6_5693 Depth=2
	s_or_b32 exec_lo, exec_lo, s40
	v_add_nc_u32_e32 v0, 0xffffff81, v5
	s_delay_alu instid0(VALU_DEP_2) | instskip(SKIP_2) | instid1(VALU_DEP_3)
	v_and_b32_e32 v7, 0x1fffff, v8
	v_lshrrev_b32_e32 v5, 23, v6
	s_mov_b32 s10, exec_lo
	v_cndmask_b32_e64 v0, v0, 0xffffff82, vcc_lo
	s_delay_alu instid0(VALU_DEP_1) | instskip(SKIP_1) | instid1(VALU_DEP_2)
	v_add3_u32 v8, v19, v0, v5
	v_add_nc_u32_e32 v0, v7, v6
                                        ; implicit-def: $vgpr6_vgpr7
                                        ; implicit-def: $vgpr5
	v_add_nc_u32_e32 v9, 14, v8
	s_delay_alu instid0(VALU_DEP_1)
	v_cmpx_ne_u32_e32 0, v9
	s_xor_b32 s10, exec_lo, s10
; %bb.7255:                             ;   in Loop: Header=BB6_5693 Depth=2
	s_delay_alu instid0(VALU_DEP_3) | instskip(SKIP_2) | instid1(VALU_DEP_2)
	v_cmp_lt_u64_e32 vcc_lo, 0xffffff, v[0:1]
	v_add_nc_u32_e32 v5, 15, v8
	v_cndmask_b32_e64 v6, 0, 1, vcc_lo
	v_cndmask_b32_e32 v5, v9, v5, vcc_lo
	s_delay_alu instid0(VALU_DEP_2)
	v_lshrrev_b64 v[6:7], v6, v[0:1]
; %bb.7256:                             ;   in Loop: Header=BB6_5693 Depth=2
	s_and_not1_saveexec_b32 s10, s10
; %bb.7257:                             ;   in Loop: Header=BB6_5693 Depth=2
	v_mov_b64_e32 v[6:7], v[0:1]
	v_bfe_u32 v5, v0, 23, 1
; %bb.7258:                             ;   in Loop: Header=BB6_5693 Depth=2
	s_or_b32 exec_lo, exec_lo, s10
	s_delay_alu instid0(VALU_DEP_2) | instskip(NEXT) | instid1(VALU_DEP_2)
	v_lshrrev_b64 v[6:7], 21, v[6:7]
	v_cmp_gt_i32_e32 vcc_lo, 32, v5
	v_cmp_ne_u32_e64 s10, 0, v5
                                        ; implicit-def: $vgpr21
	s_delay_alu instid0(VALU_DEP_3) | instskip(NEXT) | instid1(VALU_DEP_1)
	v_dual_cndmask_b32 v7, 0, v7 :: v_dual_cndmask_b32 v6, 3, v6
	v_cmp_ne_u64_e32 vcc_lo, 0, v[6:7]
	s_or_b32 s10, s10, vcc_lo
	s_delay_alu instid0(SALU_CYCLE_1) | instskip(NEXT) | instid1(SALU_CYCLE_1)
	s_and_saveexec_b32 s40, s10
	s_xor_b32 s10, exec_lo, s40
; %bb.7259:                             ;   in Loop: Header=BB6_5693 Depth=2
	v_min_i32_e32 v0, 31, v5
	s_delay_alu instid0(VALU_DEP_1) | instskip(NEXT) | instid1(VALU_DEP_1)
	v_lshl_or_b32 v0, v0, 2, v3
                                        ; implicit-def: $vgpr3
	v_and_or_b32 v21, v6, 3, v0
; %bb.7260:                             ;   in Loop: Header=BB6_5693 Depth=2
	s_and_not1_saveexec_b32 s10, s10
; %bb.7261:                             ;   in Loop: Header=BB6_5693 Depth=2
	v_mov_b32_e32 v21, v3
; %bb.7262:                             ;   in Loop: Header=BB6_5693 Depth=2
	s_or_b32 exec_lo, exec_lo, s10
.LBB6_7263:                             ;   in Loop: Header=BB6_5693 Depth=2
	s_delay_alu instid0(SALU_CYCLE_1)
	s_or_b32 exec_lo, exec_lo, s29
                                        ; implicit-def: $vgpr3
.LBB6_7264:                             ;   in Loop: Header=BB6_5693 Depth=2
	s_and_not1_saveexec_b32 s10, s28
; %bb.7265:                             ;   in Loop: Header=BB6_5693 Depth=2
	v_or_b32_e32 v21, 0x7b, v3
; %bb.7266:                             ;   in Loop: Header=BB6_5693 Depth=2
	s_or_b32 exec_lo, exec_lo, s10
                                        ; implicit-def: $vgpr5
.LBB6_7267:                             ;   in Loop: Header=BB6_5693 Depth=2
	s_and_not1_saveexec_b32 s10, s11
	s_cbranch_execz .LBB6_7273
; %bb.7268:                             ;   in Loop: Header=BB6_5693 Depth=2
	s_mov_b32 s11, exec_lo
                                        ; implicit-def: $vgpr21
	v_cmpx_ne_u64_e32 0, v[0:1]
	s_xor_b32 s11, exec_lo, s11
; %bb.7269:                             ;   in Loop: Header=BB6_5693 Depth=2
	v_lshrrev_b32_e32 v0, 24, v5
                                        ; implicit-def: $vgpr5
	s_delay_alu instid0(VALU_DEP_1)
	v_or_b32_e32 v21, 0x7f, v0
; %bb.7270:                             ;   in Loop: Header=BB6_5693 Depth=2
	s_and_not1_saveexec_b32 s11, s11
; %bb.7271:                             ;   in Loop: Header=BB6_5693 Depth=2
	v_cmp_lt_i32_e32 vcc_lo, -1, v5
	v_cndmask_b32_e64 v21, -4, 0x7c, vcc_lo
; %bb.7272:                             ;   in Loop: Header=BB6_5693 Depth=2
	s_or_b32 exec_lo, exec_lo, s11
.LBB6_7273:                             ;   in Loop: Header=BB6_5693 Depth=2
	s_delay_alu instid0(SALU_CYCLE_1) | instskip(SKIP_3) | instid1(VALU_DEP_2)
	s_or_b32 exec_lo, exec_lo, s10
	v_and_b32_e32 v6, 0xff, v90
	v_dual_mov_b32 v0, 0 :: v_dual_mov_b32 v3, 0
	s_mov_b32 s10, exec_lo
	v_cmpx_ne_u16_e32 0, v6
	s_cbranch_execz .LBB6_7283
; %bb.7274:                             ;   in Loop: Header=BB6_5693 Depth=2
	v_bfrev_b32_e32 v3, 1
	s_mov_b32 s11, exec_lo
	v_cmpx_ne_u16_e32 0x80, v6
	s_cbranch_execz .LBB6_7282
; %bb.7275:                             ;   in Loop: Header=BB6_5693 Depth=2
	v_and_b32_e32 v3, 0x7c, v90
	v_and_b32_e32 v5, 3, v90
	s_delay_alu instid0(VALU_DEP_2) | instskip(SKIP_1) | instid1(SALU_CYCLE_1)
	v_cmp_ne_u32_e32 vcc_lo, 0x7c, v3
                                        ; implicit-def: $vgpr3
	s_and_saveexec_b32 s28, vcc_lo
	s_xor_b32 s28, exec_lo, s28
	s_cbranch_execz .LBB6_7279
; %bb.7276:                             ;   in Loop: Header=BB6_5693 Depth=2
	v_bfe_u32 v3, v6, 2, 5
	s_mov_b32 s29, exec_lo
	s_delay_alu instid0(VALU_DEP_1)
	v_cmpx_eq_u32_e32 0, v3
	s_cbranch_execz .LBB6_7278
; %bb.7277:                             ;   in Loop: Header=BB6_5693 Depth=2
	v_clz_i32_u32_e32 v3, v5
	s_delay_alu instid0(VALU_DEP_1) | instskip(SKIP_1) | instid1(VALU_DEP_2)
	v_min_u32_e32 v3, 32, v3
	v_mov_b32_e32 v91, v1
	v_subrev_nc_u32_e32 v5, 29, v3
	v_sub_nc_u32_e32 v3, 30, v3
	s_delay_alu instid0(VALU_DEP_2) | instskip(NEXT) | instid1(VALU_DEP_1)
	v_lshlrev_b64_e32 v[6:7], v5, v[90:91]
	v_and_b32_e32 v5, 3, v6
.LBB6_7278:                             ;   in Loop: Header=BB6_5693 Depth=2
	s_or_b32 exec_lo, exec_lo, s29
	v_lshlrev_b32_e32 v6, 24, v90
                                        ; implicit-def: $vgpr90
	s_delay_alu instid0(VALU_DEP_1) | instskip(NEXT) | instid1(VALU_DEP_1)
	v_and_b32_e32 v6, 0x80000000, v6
	v_lshl_add_u32 v3, v3, 23, v6
	s_delay_alu instid0(VALU_DEP_1) | instskip(NEXT) | instid1(VALU_DEP_1)
	v_lshl_or_b32 v3, v5, 21, v3
                                        ; implicit-def: $vgpr5
	v_add_nc_u32_e32 v3, 0x38000000, v3
.LBB6_7279:                             ;   in Loop: Header=BB6_5693 Depth=2
	s_and_not1_saveexec_b32 s28, s28
; %bb.7280:                             ;   in Loop: Header=BB6_5693 Depth=2
	v_bfe_i32 v3, v90, 0, 8
	s_delay_alu instid0(VALU_DEP_1) | instskip(SKIP_1) | instid1(VALU_DEP_1)
	v_cmp_lt_i16_e32 vcc_lo, -1, v3
	v_mov_b32_e32 v3, 0x7f800000
	v_cndmask_b32_e32 v3, 0xff800000, v3, vcc_lo
	v_cmp_eq_u32_e32 vcc_lo, 0, v5
	s_delay_alu instid0(VALU_DEP_2)
	v_cndmask_b32_e32 v3, 0x7f800001, v3, vcc_lo
; %bb.7281:                             ;   in Loop: Header=BB6_5693 Depth=2
	s_or_b32 exec_lo, exec_lo, s28
.LBB6_7282:                             ;   in Loop: Header=BB6_5693 Depth=2
	s_delay_alu instid0(SALU_CYCLE_1)
	s_or_b32 exec_lo, exec_lo, s11
.LBB6_7283:                             ;   in Loop: Header=BB6_5693 Depth=2
	s_delay_alu instid0(SALU_CYCLE_1) | instskip(NEXT) | instid1(SALU_CYCLE_1)
	s_or_b32 exec_lo, exec_lo, s10
	s_mov_b32 s10, exec_lo
	s_wait_loadcnt_dscnt 0x1414
	v_cmpx_ne_u16_e32 0, v38
	s_cbranch_execz .LBB6_7293
; %bb.7284:                             ;   in Loop: Header=BB6_5693 Depth=2
	v_bfrev_b32_e32 v0, 1
	s_mov_b32 s11, exec_lo
	v_cmpx_ne_u16_e32 0xff80, v38
	s_cbranch_execz .LBB6_7292
; %bb.7285:                             ;   in Loop: Header=BB6_5693 Depth=2
	v_and_b32_e32 v0, 0x7c, v38
	v_and_b32_e32 v5, 3, v38
	s_delay_alu instid0(VALU_DEP_2) | instskip(SKIP_1) | instid1(SALU_CYCLE_1)
	v_cmp_ne_u32_e32 vcc_lo, 0x7c, v0
                                        ; implicit-def: $vgpr0
	s_and_saveexec_b32 s28, vcc_lo
	s_xor_b32 s28, exec_lo, s28
	s_cbranch_execz .LBB6_7289
; %bb.7286:                             ;   in Loop: Header=BB6_5693 Depth=2
	v_and_b32_e32 v0, 0xff, v38
	s_mov_b32 s29, exec_lo
	s_delay_alu instid0(VALU_DEP_1) | instskip(NEXT) | instid1(VALU_DEP_1)
	v_bfe_u32 v0, v0, 2, 5
	v_cmpx_eq_u32_e32 0, v0
	s_cbranch_execz .LBB6_7288
; %bb.7287:                             ;   in Loop: Header=BB6_5693 Depth=2
	v_clz_i32_u32_e32 v0, v5
	s_delay_alu instid0(VALU_DEP_1) | instskip(SKIP_1) | instid1(VALU_DEP_2)
	v_min_u32_e32 v0, 32, v0
	v_mov_b32_e32 v39, v1
	v_subrev_nc_u32_e32 v5, 29, v0
	v_sub_nc_u32_e32 v0, 30, v0
	s_delay_alu instid0(VALU_DEP_2) | instskip(NEXT) | instid1(VALU_DEP_1)
	v_lshlrev_b64_e32 v[6:7], v5, v[38:39]
	v_and_b32_e32 v5, 3, v6
.LBB6_7288:                             ;   in Loop: Header=BB6_5693 Depth=2
	s_or_b32 exec_lo, exec_lo, s29
	v_bfe_i32 v6, v38, 0, 16
                                        ; implicit-def: $vgpr38
	s_delay_alu instid0(VALU_DEP_1) | instskip(NEXT) | instid1(VALU_DEP_1)
	v_and_b32_e32 v6, 0x80000000, v6
	v_lshl_add_u32 v0, v0, 23, v6
	s_delay_alu instid0(VALU_DEP_1) | instskip(NEXT) | instid1(VALU_DEP_1)
	v_lshl_or_b32 v0, v5, 21, v0
                                        ; implicit-def: $vgpr5
	v_add_nc_u32_e32 v0, 0x38000000, v0
.LBB6_7289:                             ;   in Loop: Header=BB6_5693 Depth=2
	s_and_not1_saveexec_b32 s28, s28
; %bb.7290:                             ;   in Loop: Header=BB6_5693 Depth=2
	v_cmp_lt_i16_e32 vcc_lo, -1, v38
	v_mov_b32_e32 v0, 0x7f800000
	s_delay_alu instid0(VALU_DEP_1) | instskip(SKIP_1) | instid1(VALU_DEP_2)
	v_cndmask_b32_e32 v0, 0xff800000, v0, vcc_lo
	v_cmp_eq_u32_e32 vcc_lo, 0, v5
	v_cndmask_b32_e32 v0, 0x7f800001, v0, vcc_lo
; %bb.7291:                             ;   in Loop: Header=BB6_5693 Depth=2
	s_or_b32 exec_lo, exec_lo, s28
.LBB6_7292:                             ;   in Loop: Header=BB6_5693 Depth=2
	s_delay_alu instid0(SALU_CYCLE_1)
	s_or_b32 exec_lo, exec_lo, s11
.LBB6_7293:                             ;   in Loop: Header=BB6_5693 Depth=2
	s_delay_alu instid0(SALU_CYCLE_1) | instskip(NEXT) | instid1(VALU_DEP_1)
	s_or_b32 exec_lo, exec_lo, s10
	v_dual_add_f32 v5, v3, v0 :: v_dual_mov_b32 v7, v1
                                        ; implicit-def: $vgpr29
	s_mov_b32 s10, exec_lo
	s_delay_alu instid0(VALU_DEP_1) | instskip(SKIP_1) | instid1(VALU_DEP_2)
	v_and_b32_e32 v6, 0x7f800000, v5
	v_and_b32_e32 v0, 0x7fffff, v5
	v_cmpx_ne_u64_e32 0x7f800000, v[6:7]
	s_xor_b32 s11, exec_lo, s10
	s_cbranch_execz .LBB6_7311
; %bb.7294:                             ;   in Loop: Header=BB6_5693 Depth=2
	v_dual_mov_b32 v7, v1 :: v_dual_lshrrev_b32 v3, 24, v5
	v_and_b32_e32 v6, 0x7fffffff, v5
                                        ; implicit-def: $vgpr29
	s_mov_b32 s10, exec_lo
	s_delay_alu instid0(VALU_DEP_2) | instskip(NEXT) | instid1(VALU_DEP_2)
	v_and_b32_e32 v3, 0x80, v3
	v_cmpx_gt_u64_e32 0x47600001, v[6:7]
	s_xor_b32 s28, exec_lo, s10
	s_cbranch_execz .LBB6_7308
; %bb.7295:                             ;   in Loop: Header=BB6_5693 Depth=2
	v_mov_b32_e32 v29, 0
	s_mov_b32 s29, exec_lo
	v_cmpx_ne_u32_e32 0, v5
	s_cbranch_execz .LBB6_7307
; %bb.7296:                             ;   in Loop: Header=BB6_5693 Depth=2
	v_bfe_u32 v5, v5, 23, 8
	v_or_b32_e32 v7, 0x800000, v0
	s_delay_alu instid0(VALU_DEP_2) | instskip(SKIP_2) | instid1(VALU_DEP_2)
	v_cmp_gt_u32_e64 s10, 0x72, v5
	v_sub_nc_u32_e32 v6, 0x71, v5
	v_cmp_eq_u32_e32 vcc_lo, 0, v5
	v_cndmask_b32_e64 v6, 0, v6, s10
	s_delay_alu instid0(VALU_DEP_1) | instskip(SKIP_1) | instid1(VALU_DEP_2)
	v_cndmask_b32_e64 v19, v6, 0x70, vcc_lo
	v_dual_cndmask_b32 v6, v7, v0 :: v_dual_mov_b32 v7, v1
	v_add_nc_u32_e32 v0, 21, v19
	s_delay_alu instid0(VALU_DEP_1) | instskip(SKIP_1) | instid1(VALU_DEP_1)
	v_lshlrev_b64_e64 v[8:9], v0, -1
	v_add_nc_u32_e32 v0, 20, v19
	v_lshlrev_b64_e64 v[32:33], v0, 1
	s_delay_alu instid0(VALU_DEP_3) | instskip(SKIP_2) | instid1(VALU_DEP_1)
	v_bfi_b32 v8, v8, 0, v6
	v_lshrrev_b64 v[6:7], v19, v[6:7]
	v_bfi_b32 v9, v9, 0, 0
	v_cmp_eq_u64_e64 s10, v[8:9], v[32:33]
	s_delay_alu instid0(VALU_DEP_3)
	v_mov_b64_e32 v[8:9], v[6:7]
	s_and_saveexec_b32 s40, s10
; %bb.7297:                             ;   in Loop: Header=BB6_5693 Depth=2
	v_bfe_u32 v8, v6, 21, 1
	v_mov_b32_e32 v9, v1
	s_delay_alu instid0(VALU_DEP_1) | instskip(NEXT) | instid1(VALU_DEP_1)
	v_add_nc_u64_e32 v[8:9], v[6:7], v[8:9]
	v_add_nc_u64_e32 v[8:9], -1, v[8:9]
; %bb.7298:                             ;   in Loop: Header=BB6_5693 Depth=2
	s_or_b32 exec_lo, exec_lo, s40
	v_add_nc_u32_e32 v0, 0xffffff81, v5
	s_delay_alu instid0(VALU_DEP_2) | instskip(SKIP_2) | instid1(VALU_DEP_3)
	v_and_b32_e32 v7, 0x1fffff, v8
	v_lshrrev_b32_e32 v5, 23, v6
	s_mov_b32 s10, exec_lo
	v_cndmask_b32_e64 v0, v0, 0xffffff82, vcc_lo
	s_delay_alu instid0(VALU_DEP_1) | instskip(SKIP_1) | instid1(VALU_DEP_2)
	v_add3_u32 v8, v19, v0, v5
	v_add_nc_u32_e32 v0, v7, v6
                                        ; implicit-def: $vgpr6_vgpr7
                                        ; implicit-def: $vgpr5
	v_add_nc_u32_e32 v9, 14, v8
	s_delay_alu instid0(VALU_DEP_1)
	v_cmpx_ne_u32_e32 0, v9
	s_xor_b32 s10, exec_lo, s10
; %bb.7299:                             ;   in Loop: Header=BB6_5693 Depth=2
	s_delay_alu instid0(VALU_DEP_3) | instskip(SKIP_2) | instid1(VALU_DEP_2)
	v_cmp_lt_u64_e32 vcc_lo, 0xffffff, v[0:1]
	v_add_nc_u32_e32 v5, 15, v8
	v_cndmask_b32_e64 v6, 0, 1, vcc_lo
	v_cndmask_b32_e32 v5, v9, v5, vcc_lo
	s_delay_alu instid0(VALU_DEP_2)
	v_lshrrev_b64 v[6:7], v6, v[0:1]
; %bb.7300:                             ;   in Loop: Header=BB6_5693 Depth=2
	s_and_not1_saveexec_b32 s10, s10
; %bb.7301:                             ;   in Loop: Header=BB6_5693 Depth=2
	v_mov_b64_e32 v[6:7], v[0:1]
	v_bfe_u32 v5, v0, 23, 1
; %bb.7302:                             ;   in Loop: Header=BB6_5693 Depth=2
	s_or_b32 exec_lo, exec_lo, s10
	s_delay_alu instid0(VALU_DEP_2) | instskip(NEXT) | instid1(VALU_DEP_2)
	v_lshrrev_b64 v[6:7], 21, v[6:7]
	v_cmp_gt_i32_e32 vcc_lo, 32, v5
	v_cmp_ne_u32_e64 s10, 0, v5
                                        ; implicit-def: $vgpr29
	s_delay_alu instid0(VALU_DEP_3) | instskip(NEXT) | instid1(VALU_DEP_1)
	v_dual_cndmask_b32 v7, 0, v7 :: v_dual_cndmask_b32 v6, 3, v6
	v_cmp_ne_u64_e32 vcc_lo, 0, v[6:7]
	s_or_b32 s10, s10, vcc_lo
	s_delay_alu instid0(SALU_CYCLE_1) | instskip(NEXT) | instid1(SALU_CYCLE_1)
	s_and_saveexec_b32 s40, s10
	s_xor_b32 s10, exec_lo, s40
; %bb.7303:                             ;   in Loop: Header=BB6_5693 Depth=2
	v_min_i32_e32 v0, 31, v5
	s_delay_alu instid0(VALU_DEP_1) | instskip(NEXT) | instid1(VALU_DEP_1)
	v_lshl_or_b32 v0, v0, 2, v3
                                        ; implicit-def: $vgpr3
	v_and_or_b32 v29, v6, 3, v0
; %bb.7304:                             ;   in Loop: Header=BB6_5693 Depth=2
	s_and_not1_saveexec_b32 s10, s10
; %bb.7305:                             ;   in Loop: Header=BB6_5693 Depth=2
	v_mov_b32_e32 v29, v3
; %bb.7306:                             ;   in Loop: Header=BB6_5693 Depth=2
	s_or_b32 exec_lo, exec_lo, s10
.LBB6_7307:                             ;   in Loop: Header=BB6_5693 Depth=2
	s_delay_alu instid0(SALU_CYCLE_1)
	s_or_b32 exec_lo, exec_lo, s29
                                        ; implicit-def: $vgpr3
.LBB6_7308:                             ;   in Loop: Header=BB6_5693 Depth=2
	s_and_not1_saveexec_b32 s10, s28
; %bb.7309:                             ;   in Loop: Header=BB6_5693 Depth=2
	v_or_b32_e32 v29, 0x7b, v3
; %bb.7310:                             ;   in Loop: Header=BB6_5693 Depth=2
	s_or_b32 exec_lo, exec_lo, s10
                                        ; implicit-def: $vgpr5
.LBB6_7311:                             ;   in Loop: Header=BB6_5693 Depth=2
	s_and_not1_saveexec_b32 s10, s11
	s_cbranch_execz .LBB6_7317
; %bb.7312:                             ;   in Loop: Header=BB6_5693 Depth=2
	s_mov_b32 s11, exec_lo
                                        ; implicit-def: $vgpr29
	v_cmpx_ne_u64_e32 0, v[0:1]
	s_xor_b32 s11, exec_lo, s11
; %bb.7313:                             ;   in Loop: Header=BB6_5693 Depth=2
	v_lshrrev_b32_e32 v0, 24, v5
                                        ; implicit-def: $vgpr5
	s_delay_alu instid0(VALU_DEP_1)
	v_or_b32_e32 v29, 0x7f, v0
; %bb.7314:                             ;   in Loop: Header=BB6_5693 Depth=2
	s_and_not1_saveexec_b32 s11, s11
; %bb.7315:                             ;   in Loop: Header=BB6_5693 Depth=2
	v_cmp_lt_i32_e32 vcc_lo, -1, v5
	v_cndmask_b32_e64 v29, -4, 0x7c, vcc_lo
; %bb.7316:                             ;   in Loop: Header=BB6_5693 Depth=2
	s_or_b32 exec_lo, exec_lo, s11
.LBB6_7317:                             ;   in Loop: Header=BB6_5693 Depth=2
	s_delay_alu instid0(SALU_CYCLE_1) | instskip(SKIP_3) | instid1(VALU_DEP_2)
	s_or_b32 exec_lo, exec_lo, s10
	v_and_b32_e32 v6, 0xff, v88
	v_dual_mov_b32 v0, 0 :: v_dual_mov_b32 v3, 0
	s_mov_b32 s10, exec_lo
	v_cmpx_ne_u16_e32 0, v6
	s_cbranch_execz .LBB6_7327
; %bb.7318:                             ;   in Loop: Header=BB6_5693 Depth=2
	v_bfrev_b32_e32 v3, 1
	s_mov_b32 s11, exec_lo
	v_cmpx_ne_u16_e32 0x80, v6
	s_cbranch_execz .LBB6_7326
; %bb.7319:                             ;   in Loop: Header=BB6_5693 Depth=2
	v_and_b32_e32 v3, 0x7c, v88
	v_and_b32_e32 v5, 3, v88
	s_delay_alu instid0(VALU_DEP_2) | instskip(SKIP_1) | instid1(SALU_CYCLE_1)
	v_cmp_ne_u32_e32 vcc_lo, 0x7c, v3
                                        ; implicit-def: $vgpr3
	s_and_saveexec_b32 s28, vcc_lo
	s_xor_b32 s28, exec_lo, s28
	s_cbranch_execz .LBB6_7323
; %bb.7320:                             ;   in Loop: Header=BB6_5693 Depth=2
	v_bfe_u32 v3, v6, 2, 5
	s_mov_b32 s29, exec_lo
	s_delay_alu instid0(VALU_DEP_1)
	v_cmpx_eq_u32_e32 0, v3
	s_cbranch_execz .LBB6_7322
; %bb.7321:                             ;   in Loop: Header=BB6_5693 Depth=2
	v_clz_i32_u32_e32 v3, v5
	s_delay_alu instid0(VALU_DEP_1) | instskip(SKIP_1) | instid1(VALU_DEP_2)
	v_min_u32_e32 v3, 32, v3
	v_mov_b32_e32 v89, v1
	v_subrev_nc_u32_e32 v5, 29, v3
	v_sub_nc_u32_e32 v3, 30, v3
	s_delay_alu instid0(VALU_DEP_2) | instskip(NEXT) | instid1(VALU_DEP_1)
	v_lshlrev_b64_e32 v[6:7], v5, v[88:89]
	v_and_b32_e32 v5, 3, v6
.LBB6_7322:                             ;   in Loop: Header=BB6_5693 Depth=2
	s_or_b32 exec_lo, exec_lo, s29
	v_lshlrev_b32_e32 v6, 24, v88
                                        ; implicit-def: $vgpr88
	s_delay_alu instid0(VALU_DEP_1) | instskip(NEXT) | instid1(VALU_DEP_1)
	v_and_b32_e32 v6, 0x80000000, v6
	v_lshl_add_u32 v3, v3, 23, v6
	s_delay_alu instid0(VALU_DEP_1) | instskip(NEXT) | instid1(VALU_DEP_1)
	v_lshl_or_b32 v3, v5, 21, v3
                                        ; implicit-def: $vgpr5
	v_add_nc_u32_e32 v3, 0x38000000, v3
.LBB6_7323:                             ;   in Loop: Header=BB6_5693 Depth=2
	s_and_not1_saveexec_b32 s28, s28
; %bb.7324:                             ;   in Loop: Header=BB6_5693 Depth=2
	v_bfe_i32 v3, v88, 0, 8
	s_delay_alu instid0(VALU_DEP_1) | instskip(SKIP_1) | instid1(VALU_DEP_1)
	v_cmp_lt_i16_e32 vcc_lo, -1, v3
	v_mov_b32_e32 v3, 0x7f800000
	v_cndmask_b32_e32 v3, 0xff800000, v3, vcc_lo
	v_cmp_eq_u32_e32 vcc_lo, 0, v5
	s_delay_alu instid0(VALU_DEP_2)
	v_cndmask_b32_e32 v3, 0x7f800001, v3, vcc_lo
; %bb.7325:                             ;   in Loop: Header=BB6_5693 Depth=2
	s_or_b32 exec_lo, exec_lo, s28
.LBB6_7326:                             ;   in Loop: Header=BB6_5693 Depth=2
	s_delay_alu instid0(SALU_CYCLE_1)
	s_or_b32 exec_lo, exec_lo, s11
.LBB6_7327:                             ;   in Loop: Header=BB6_5693 Depth=2
	s_delay_alu instid0(SALU_CYCLE_1) | instskip(NEXT) | instid1(SALU_CYCLE_1)
	s_or_b32 exec_lo, exec_lo, s10
	s_mov_b32 s10, exec_lo
	s_wait_loadcnt_dscnt 0x1313
	v_cmpx_ne_u16_e32 0, v86
	s_cbranch_execz .LBB6_7337
; %bb.7328:                             ;   in Loop: Header=BB6_5693 Depth=2
	v_bfrev_b32_e32 v0, 1
	s_mov_b32 s11, exec_lo
	v_cmpx_ne_u16_e32 0xff80, v86
	s_cbranch_execz .LBB6_7336
; %bb.7329:                             ;   in Loop: Header=BB6_5693 Depth=2
	v_and_b32_e32 v0, 0x7c, v86
	v_and_b32_e32 v5, 3, v86
	s_delay_alu instid0(VALU_DEP_2) | instskip(SKIP_1) | instid1(SALU_CYCLE_1)
	v_cmp_ne_u32_e32 vcc_lo, 0x7c, v0
                                        ; implicit-def: $vgpr0
	s_and_saveexec_b32 s28, vcc_lo
	s_xor_b32 s28, exec_lo, s28
	s_cbranch_execz .LBB6_7333
; %bb.7330:                             ;   in Loop: Header=BB6_5693 Depth=2
	v_and_b32_e32 v0, 0xff, v86
	s_mov_b32 s29, exec_lo
	s_delay_alu instid0(VALU_DEP_1) | instskip(NEXT) | instid1(VALU_DEP_1)
	v_bfe_u32 v0, v0, 2, 5
	v_cmpx_eq_u32_e32 0, v0
	s_cbranch_execz .LBB6_7332
; %bb.7331:                             ;   in Loop: Header=BB6_5693 Depth=2
	v_clz_i32_u32_e32 v0, v5
	s_delay_alu instid0(VALU_DEP_1) | instskip(SKIP_1) | instid1(VALU_DEP_2)
	v_min_u32_e32 v0, 32, v0
	v_mov_b32_e32 v87, v1
	v_subrev_nc_u32_e32 v5, 29, v0
	v_sub_nc_u32_e32 v0, 30, v0
	s_delay_alu instid0(VALU_DEP_2) | instskip(NEXT) | instid1(VALU_DEP_1)
	v_lshlrev_b64_e32 v[6:7], v5, v[86:87]
	v_and_b32_e32 v5, 3, v6
.LBB6_7332:                             ;   in Loop: Header=BB6_5693 Depth=2
	s_or_b32 exec_lo, exec_lo, s29
	v_bfe_i32 v6, v86, 0, 16
                                        ; implicit-def: $vgpr86
	s_delay_alu instid0(VALU_DEP_1) | instskip(NEXT) | instid1(VALU_DEP_1)
	v_and_b32_e32 v6, 0x80000000, v6
	v_lshl_add_u32 v0, v0, 23, v6
	s_delay_alu instid0(VALU_DEP_1) | instskip(NEXT) | instid1(VALU_DEP_1)
	v_lshl_or_b32 v0, v5, 21, v0
                                        ; implicit-def: $vgpr5
	v_add_nc_u32_e32 v0, 0x38000000, v0
.LBB6_7333:                             ;   in Loop: Header=BB6_5693 Depth=2
	s_and_not1_saveexec_b32 s28, s28
; %bb.7334:                             ;   in Loop: Header=BB6_5693 Depth=2
	v_cmp_lt_i16_e32 vcc_lo, -1, v86
	v_mov_b32_e32 v0, 0x7f800000
	s_delay_alu instid0(VALU_DEP_1) | instskip(SKIP_1) | instid1(VALU_DEP_2)
	v_cndmask_b32_e32 v0, 0xff800000, v0, vcc_lo
	v_cmp_eq_u32_e32 vcc_lo, 0, v5
	v_cndmask_b32_e32 v0, 0x7f800001, v0, vcc_lo
; %bb.7335:                             ;   in Loop: Header=BB6_5693 Depth=2
	s_or_b32 exec_lo, exec_lo, s28
.LBB6_7336:                             ;   in Loop: Header=BB6_5693 Depth=2
	s_delay_alu instid0(SALU_CYCLE_1)
	s_or_b32 exec_lo, exec_lo, s11
.LBB6_7337:                             ;   in Loop: Header=BB6_5693 Depth=2
	s_delay_alu instid0(SALU_CYCLE_1) | instskip(NEXT) | instid1(VALU_DEP_1)
	s_or_b32 exec_lo, exec_lo, s10
	v_dual_add_f32 v5, v3, v0 :: v_dual_mov_b32 v7, v1
                                        ; implicit-def: $vgpr31
	s_mov_b32 s10, exec_lo
	s_delay_alu instid0(VALU_DEP_1) | instskip(SKIP_1) | instid1(VALU_DEP_2)
	v_and_b32_e32 v6, 0x7f800000, v5
	v_and_b32_e32 v0, 0x7fffff, v5
	v_cmpx_ne_u64_e32 0x7f800000, v[6:7]
	s_xor_b32 s11, exec_lo, s10
	s_cbranch_execz .LBB6_7355
; %bb.7338:                             ;   in Loop: Header=BB6_5693 Depth=2
	v_dual_mov_b32 v7, v1 :: v_dual_lshrrev_b32 v3, 24, v5
	v_and_b32_e32 v6, 0x7fffffff, v5
                                        ; implicit-def: $vgpr31
	s_mov_b32 s10, exec_lo
	s_delay_alu instid0(VALU_DEP_2) | instskip(NEXT) | instid1(VALU_DEP_2)
	v_and_b32_e32 v3, 0x80, v3
	v_cmpx_gt_u64_e32 0x47600001, v[6:7]
	s_xor_b32 s28, exec_lo, s10
	s_cbranch_execz .LBB6_7352
; %bb.7339:                             ;   in Loop: Header=BB6_5693 Depth=2
	v_mov_b32_e32 v31, 0
	s_mov_b32 s29, exec_lo
	v_cmpx_ne_u32_e32 0, v5
	s_cbranch_execz .LBB6_7351
; %bb.7340:                             ;   in Loop: Header=BB6_5693 Depth=2
	v_bfe_u32 v5, v5, 23, 8
	v_or_b32_e32 v7, 0x800000, v0
	s_delay_alu instid0(VALU_DEP_2) | instskip(SKIP_2) | instid1(VALU_DEP_2)
	v_cmp_gt_u32_e64 s10, 0x72, v5
	v_sub_nc_u32_e32 v6, 0x71, v5
	v_cmp_eq_u32_e32 vcc_lo, 0, v5
	v_cndmask_b32_e64 v6, 0, v6, s10
	s_delay_alu instid0(VALU_DEP_1) | instskip(SKIP_1) | instid1(VALU_DEP_2)
	v_cndmask_b32_e64 v19, v6, 0x70, vcc_lo
	v_dual_cndmask_b32 v6, v7, v0 :: v_dual_mov_b32 v7, v1
	v_add_nc_u32_e32 v0, 21, v19
	s_delay_alu instid0(VALU_DEP_1) | instskip(SKIP_1) | instid1(VALU_DEP_1)
	v_lshlrev_b64_e64 v[8:9], v0, -1
	v_add_nc_u32_e32 v0, 20, v19
	v_lshlrev_b64_e64 v[32:33], v0, 1
	s_delay_alu instid0(VALU_DEP_3) | instskip(SKIP_2) | instid1(VALU_DEP_1)
	v_bfi_b32 v8, v8, 0, v6
	v_lshrrev_b64 v[6:7], v19, v[6:7]
	v_bfi_b32 v9, v9, 0, 0
	v_cmp_eq_u64_e64 s10, v[8:9], v[32:33]
	s_delay_alu instid0(VALU_DEP_3)
	v_mov_b64_e32 v[8:9], v[6:7]
	s_and_saveexec_b32 s40, s10
; %bb.7341:                             ;   in Loop: Header=BB6_5693 Depth=2
	v_bfe_u32 v8, v6, 21, 1
	v_mov_b32_e32 v9, v1
	s_delay_alu instid0(VALU_DEP_1) | instskip(NEXT) | instid1(VALU_DEP_1)
	v_add_nc_u64_e32 v[8:9], v[6:7], v[8:9]
	v_add_nc_u64_e32 v[8:9], -1, v[8:9]
; %bb.7342:                             ;   in Loop: Header=BB6_5693 Depth=2
	s_or_b32 exec_lo, exec_lo, s40
	v_add_nc_u32_e32 v0, 0xffffff81, v5
	s_delay_alu instid0(VALU_DEP_2) | instskip(SKIP_2) | instid1(VALU_DEP_3)
	v_and_b32_e32 v7, 0x1fffff, v8
	v_lshrrev_b32_e32 v5, 23, v6
	s_mov_b32 s10, exec_lo
	v_cndmask_b32_e64 v0, v0, 0xffffff82, vcc_lo
	s_delay_alu instid0(VALU_DEP_1) | instskip(SKIP_1) | instid1(VALU_DEP_2)
	v_add3_u32 v8, v19, v0, v5
	v_add_nc_u32_e32 v0, v7, v6
                                        ; implicit-def: $vgpr6_vgpr7
                                        ; implicit-def: $vgpr5
	v_add_nc_u32_e32 v9, 14, v8
	s_delay_alu instid0(VALU_DEP_1)
	v_cmpx_ne_u32_e32 0, v9
	s_xor_b32 s10, exec_lo, s10
; %bb.7343:                             ;   in Loop: Header=BB6_5693 Depth=2
	s_delay_alu instid0(VALU_DEP_3) | instskip(SKIP_2) | instid1(VALU_DEP_2)
	v_cmp_lt_u64_e32 vcc_lo, 0xffffff, v[0:1]
	v_add_nc_u32_e32 v5, 15, v8
	v_cndmask_b32_e64 v6, 0, 1, vcc_lo
	v_cndmask_b32_e32 v5, v9, v5, vcc_lo
	s_delay_alu instid0(VALU_DEP_2)
	v_lshrrev_b64 v[6:7], v6, v[0:1]
; %bb.7344:                             ;   in Loop: Header=BB6_5693 Depth=2
	s_and_not1_saveexec_b32 s10, s10
; %bb.7345:                             ;   in Loop: Header=BB6_5693 Depth=2
	v_mov_b64_e32 v[6:7], v[0:1]
	v_bfe_u32 v5, v0, 23, 1
; %bb.7346:                             ;   in Loop: Header=BB6_5693 Depth=2
	s_or_b32 exec_lo, exec_lo, s10
	s_delay_alu instid0(VALU_DEP_2) | instskip(NEXT) | instid1(VALU_DEP_2)
	v_lshrrev_b64 v[6:7], 21, v[6:7]
	v_cmp_gt_i32_e32 vcc_lo, 32, v5
	v_cmp_ne_u32_e64 s10, 0, v5
                                        ; implicit-def: $vgpr31
	s_delay_alu instid0(VALU_DEP_3) | instskip(NEXT) | instid1(VALU_DEP_1)
	v_dual_cndmask_b32 v7, 0, v7 :: v_dual_cndmask_b32 v6, 3, v6
	v_cmp_ne_u64_e32 vcc_lo, 0, v[6:7]
	s_or_b32 s10, s10, vcc_lo
	s_delay_alu instid0(SALU_CYCLE_1) | instskip(NEXT) | instid1(SALU_CYCLE_1)
	s_and_saveexec_b32 s40, s10
	s_xor_b32 s10, exec_lo, s40
; %bb.7347:                             ;   in Loop: Header=BB6_5693 Depth=2
	v_min_i32_e32 v0, 31, v5
	s_delay_alu instid0(VALU_DEP_1) | instskip(NEXT) | instid1(VALU_DEP_1)
	v_lshl_or_b32 v0, v0, 2, v3
                                        ; implicit-def: $vgpr3
	v_and_or_b32 v31, v6, 3, v0
; %bb.7348:                             ;   in Loop: Header=BB6_5693 Depth=2
	s_and_not1_saveexec_b32 s10, s10
; %bb.7349:                             ;   in Loop: Header=BB6_5693 Depth=2
	v_mov_b32_e32 v31, v3
; %bb.7350:                             ;   in Loop: Header=BB6_5693 Depth=2
	s_or_b32 exec_lo, exec_lo, s10
.LBB6_7351:                             ;   in Loop: Header=BB6_5693 Depth=2
	s_delay_alu instid0(SALU_CYCLE_1)
	s_or_b32 exec_lo, exec_lo, s29
                                        ; implicit-def: $vgpr3
.LBB6_7352:                             ;   in Loop: Header=BB6_5693 Depth=2
	s_and_not1_saveexec_b32 s10, s28
; %bb.7353:                             ;   in Loop: Header=BB6_5693 Depth=2
	v_or_b32_e32 v31, 0x7b, v3
; %bb.7354:                             ;   in Loop: Header=BB6_5693 Depth=2
	s_or_b32 exec_lo, exec_lo, s10
                                        ; implicit-def: $vgpr5
.LBB6_7355:                             ;   in Loop: Header=BB6_5693 Depth=2
	s_and_not1_saveexec_b32 s10, s11
	s_cbranch_execz .LBB6_7361
; %bb.7356:                             ;   in Loop: Header=BB6_5693 Depth=2
	s_mov_b32 s11, exec_lo
                                        ; implicit-def: $vgpr31
	v_cmpx_ne_u64_e32 0, v[0:1]
	s_xor_b32 s11, exec_lo, s11
; %bb.7357:                             ;   in Loop: Header=BB6_5693 Depth=2
	v_lshrrev_b32_e32 v0, 24, v5
                                        ; implicit-def: $vgpr5
	s_delay_alu instid0(VALU_DEP_1)
	v_or_b32_e32 v31, 0x7f, v0
; %bb.7358:                             ;   in Loop: Header=BB6_5693 Depth=2
	s_and_not1_saveexec_b32 s11, s11
; %bb.7359:                             ;   in Loop: Header=BB6_5693 Depth=2
	v_cmp_lt_i32_e32 vcc_lo, -1, v5
	v_cndmask_b32_e64 v31, -4, 0x7c, vcc_lo
; %bb.7360:                             ;   in Loop: Header=BB6_5693 Depth=2
	s_or_b32 exec_lo, exec_lo, s11
.LBB6_7361:                             ;   in Loop: Header=BB6_5693 Depth=2
	s_delay_alu instid0(SALU_CYCLE_1) | instskip(SKIP_3) | instid1(VALU_DEP_2)
	s_or_b32 exec_lo, exec_lo, s10
	v_and_b32_e32 v6, 0xff, v76
	v_dual_mov_b32 v0, 0 :: v_dual_mov_b32 v3, 0
	s_mov_b32 s10, exec_lo
	v_cmpx_ne_u16_e32 0, v6
	s_cbranch_execz .LBB6_7371
; %bb.7362:                             ;   in Loop: Header=BB6_5693 Depth=2
	v_bfrev_b32_e32 v3, 1
	s_mov_b32 s11, exec_lo
	v_cmpx_ne_u16_e32 0x80, v6
	s_cbranch_execz .LBB6_7370
; %bb.7363:                             ;   in Loop: Header=BB6_5693 Depth=2
	v_and_b32_e32 v3, 0x7c, v76
	v_and_b32_e32 v5, 3, v76
	s_delay_alu instid0(VALU_DEP_2) | instskip(SKIP_1) | instid1(SALU_CYCLE_1)
	v_cmp_ne_u32_e32 vcc_lo, 0x7c, v3
                                        ; implicit-def: $vgpr3
	s_and_saveexec_b32 s28, vcc_lo
	s_xor_b32 s28, exec_lo, s28
	s_cbranch_execz .LBB6_7367
; %bb.7364:                             ;   in Loop: Header=BB6_5693 Depth=2
	v_bfe_u32 v3, v6, 2, 5
	s_mov_b32 s29, exec_lo
	s_delay_alu instid0(VALU_DEP_1)
	v_cmpx_eq_u32_e32 0, v3
	s_cbranch_execz .LBB6_7366
; %bb.7365:                             ;   in Loop: Header=BB6_5693 Depth=2
	v_clz_i32_u32_e32 v3, v5
	s_delay_alu instid0(VALU_DEP_1) | instskip(SKIP_1) | instid1(VALU_DEP_2)
	v_min_u32_e32 v3, 32, v3
	v_mov_b32_e32 v77, v1
	v_subrev_nc_u32_e32 v5, 29, v3
	v_sub_nc_u32_e32 v3, 30, v3
	s_delay_alu instid0(VALU_DEP_2) | instskip(NEXT) | instid1(VALU_DEP_1)
	v_lshlrev_b64_e32 v[6:7], v5, v[76:77]
	v_and_b32_e32 v5, 3, v6
.LBB6_7366:                             ;   in Loop: Header=BB6_5693 Depth=2
	s_or_b32 exec_lo, exec_lo, s29
	v_lshlrev_b32_e32 v6, 24, v76
                                        ; implicit-def: $vgpr76
	s_delay_alu instid0(VALU_DEP_1) | instskip(NEXT) | instid1(VALU_DEP_1)
	v_and_b32_e32 v6, 0x80000000, v6
	v_lshl_add_u32 v3, v3, 23, v6
	s_delay_alu instid0(VALU_DEP_1) | instskip(NEXT) | instid1(VALU_DEP_1)
	v_lshl_or_b32 v3, v5, 21, v3
                                        ; implicit-def: $vgpr5
	v_add_nc_u32_e32 v3, 0x38000000, v3
.LBB6_7367:                             ;   in Loop: Header=BB6_5693 Depth=2
	s_and_not1_saveexec_b32 s28, s28
; %bb.7368:                             ;   in Loop: Header=BB6_5693 Depth=2
	v_bfe_i32 v3, v76, 0, 8
	s_delay_alu instid0(VALU_DEP_1) | instskip(SKIP_1) | instid1(VALU_DEP_1)
	v_cmp_lt_i16_e32 vcc_lo, -1, v3
	v_mov_b32_e32 v3, 0x7f800000
	v_cndmask_b32_e32 v3, 0xff800000, v3, vcc_lo
	v_cmp_eq_u32_e32 vcc_lo, 0, v5
	s_delay_alu instid0(VALU_DEP_2)
	v_cndmask_b32_e32 v3, 0x7f800001, v3, vcc_lo
; %bb.7369:                             ;   in Loop: Header=BB6_5693 Depth=2
	s_or_b32 exec_lo, exec_lo, s28
.LBB6_7370:                             ;   in Loop: Header=BB6_5693 Depth=2
	s_delay_alu instid0(SALU_CYCLE_1)
	s_or_b32 exec_lo, exec_lo, s11
.LBB6_7371:                             ;   in Loop: Header=BB6_5693 Depth=2
	s_delay_alu instid0(SALU_CYCLE_1) | instskip(NEXT) | instid1(SALU_CYCLE_1)
	s_or_b32 exec_lo, exec_lo, s10
	s_mov_b32 s10, exec_lo
	s_wait_loadcnt_dscnt 0x1212
	v_cmpx_ne_u16_e32 0, v64
	s_cbranch_execz .LBB6_7381
; %bb.7372:                             ;   in Loop: Header=BB6_5693 Depth=2
	v_bfrev_b32_e32 v0, 1
	s_mov_b32 s11, exec_lo
	v_cmpx_ne_u16_e32 0xff80, v64
	s_cbranch_execz .LBB6_7380
; %bb.7373:                             ;   in Loop: Header=BB6_5693 Depth=2
	v_and_b32_e32 v0, 0x7c, v64
	v_and_b32_e32 v5, 3, v64
	s_delay_alu instid0(VALU_DEP_2) | instskip(SKIP_1) | instid1(SALU_CYCLE_1)
	v_cmp_ne_u32_e32 vcc_lo, 0x7c, v0
                                        ; implicit-def: $vgpr0
	s_and_saveexec_b32 s28, vcc_lo
	s_xor_b32 s28, exec_lo, s28
	s_cbranch_execz .LBB6_7377
; %bb.7374:                             ;   in Loop: Header=BB6_5693 Depth=2
	v_and_b32_e32 v0, 0xff, v64
	s_mov_b32 s29, exec_lo
	s_delay_alu instid0(VALU_DEP_1) | instskip(NEXT) | instid1(VALU_DEP_1)
	v_bfe_u32 v0, v0, 2, 5
	v_cmpx_eq_u32_e32 0, v0
	s_cbranch_execz .LBB6_7376
; %bb.7375:                             ;   in Loop: Header=BB6_5693 Depth=2
	v_clz_i32_u32_e32 v0, v5
	s_delay_alu instid0(VALU_DEP_1) | instskip(SKIP_1) | instid1(VALU_DEP_2)
	v_min_u32_e32 v0, 32, v0
	v_mov_b32_e32 v65, v1
	v_subrev_nc_u32_e32 v5, 29, v0
	v_sub_nc_u32_e32 v0, 30, v0
	s_delay_alu instid0(VALU_DEP_2) | instskip(NEXT) | instid1(VALU_DEP_1)
	v_lshlrev_b64_e32 v[6:7], v5, v[64:65]
	v_and_b32_e32 v5, 3, v6
.LBB6_7376:                             ;   in Loop: Header=BB6_5693 Depth=2
	s_or_b32 exec_lo, exec_lo, s29
	v_bfe_i32 v6, v64, 0, 16
                                        ; implicit-def: $vgpr64
	s_delay_alu instid0(VALU_DEP_1) | instskip(NEXT) | instid1(VALU_DEP_1)
	v_and_b32_e32 v6, 0x80000000, v6
	v_lshl_add_u32 v0, v0, 23, v6
	s_delay_alu instid0(VALU_DEP_1) | instskip(NEXT) | instid1(VALU_DEP_1)
	v_lshl_or_b32 v0, v5, 21, v0
                                        ; implicit-def: $vgpr5
	v_add_nc_u32_e32 v0, 0x38000000, v0
.LBB6_7377:                             ;   in Loop: Header=BB6_5693 Depth=2
	s_and_not1_saveexec_b32 s28, s28
; %bb.7378:                             ;   in Loop: Header=BB6_5693 Depth=2
	v_cmp_lt_i16_e32 vcc_lo, -1, v64
	v_mov_b32_e32 v0, 0x7f800000
	s_delay_alu instid0(VALU_DEP_1) | instskip(SKIP_1) | instid1(VALU_DEP_2)
	v_cndmask_b32_e32 v0, 0xff800000, v0, vcc_lo
	v_cmp_eq_u32_e32 vcc_lo, 0, v5
	v_cndmask_b32_e32 v0, 0x7f800001, v0, vcc_lo
; %bb.7379:                             ;   in Loop: Header=BB6_5693 Depth=2
	s_or_b32 exec_lo, exec_lo, s28
.LBB6_7380:                             ;   in Loop: Header=BB6_5693 Depth=2
	s_delay_alu instid0(SALU_CYCLE_1)
	s_or_b32 exec_lo, exec_lo, s11
.LBB6_7381:                             ;   in Loop: Header=BB6_5693 Depth=2
	s_delay_alu instid0(SALU_CYCLE_1) | instskip(NEXT) | instid1(VALU_DEP_1)
	s_or_b32 exec_lo, exec_lo, s10
	v_dual_add_f32 v5, v3, v0 :: v_dual_mov_b32 v7, v1
                                        ; implicit-def: $vgpr32
	s_mov_b32 s10, exec_lo
	s_delay_alu instid0(VALU_DEP_1) | instskip(SKIP_1) | instid1(VALU_DEP_2)
	v_and_b32_e32 v6, 0x7f800000, v5
	v_and_b32_e32 v0, 0x7fffff, v5
	v_cmpx_ne_u64_e32 0x7f800000, v[6:7]
	s_xor_b32 s11, exec_lo, s10
	s_cbranch_execz .LBB6_7399
; %bb.7382:                             ;   in Loop: Header=BB6_5693 Depth=2
	v_dual_mov_b32 v7, v1 :: v_dual_lshrrev_b32 v3, 24, v5
	v_and_b32_e32 v6, 0x7fffffff, v5
                                        ; implicit-def: $vgpr32
	s_mov_b32 s10, exec_lo
	s_delay_alu instid0(VALU_DEP_2) | instskip(NEXT) | instid1(VALU_DEP_2)
	v_and_b32_e32 v3, 0x80, v3
	v_cmpx_gt_u64_e32 0x47600001, v[6:7]
	s_xor_b32 s28, exec_lo, s10
	s_cbranch_execz .LBB6_7396
; %bb.7383:                             ;   in Loop: Header=BB6_5693 Depth=2
	v_mov_b32_e32 v32, 0
	s_mov_b32 s29, exec_lo
	v_cmpx_ne_u32_e32 0, v5
	s_cbranch_execz .LBB6_7395
; %bb.7384:                             ;   in Loop: Header=BB6_5693 Depth=2
	v_bfe_u32 v5, v5, 23, 8
	v_or_b32_e32 v8, 0x800000, v0
	s_mov_b32 s40, exec_lo
	s_delay_alu instid0(VALU_DEP_2) | instskip(SKIP_1) | instid1(VALU_DEP_2)
	v_dual_mov_b32 v9, v1 :: v_dual_sub_nc_u32 v6, 0x71, v5
	v_cmp_gt_u32_e32 vcc_lo, 0x72, v5
	v_cndmask_b32_e32 v6, 0, v6, vcc_lo
	v_cmp_eq_u32_e32 vcc_lo, 0, v5
	s_delay_alu instid0(VALU_DEP_2) | instskip(NEXT) | instid1(VALU_DEP_1)
	v_cndmask_b32_e64 v19, v6, 0x70, vcc_lo
	v_dual_cndmask_b32 v8, v8, v0, vcc_lo :: v_dual_add_nc_u32 v6, 21, v19
	v_add_nc_u32_e32 v27, 20, v19
	s_delay_alu instid0(VALU_DEP_2) | instskip(NEXT) | instid1(VALU_DEP_2)
	v_lshlrev_b64_e64 v[6:7], v6, -1
	v_lshlrev_b64_e64 v[32:33], v27, 1
	s_delay_alu instid0(VALU_DEP_2) | instskip(NEXT) | instid1(VALU_DEP_3)
	v_bfi_b32 v39, v7, 0, 0
	v_bfi_b32 v38, v6, 0, v8
	v_lshrrev_b64 v[6:7], v19, v[8:9]
	s_delay_alu instid0(VALU_DEP_1) | instskip(NEXT) | instid1(VALU_DEP_3)
	v_mov_b64_e32 v[8:9], v[6:7]
	v_cmpx_eq_u64_e64 v[38:39], v[32:33]
; %bb.7385:                             ;   in Loop: Header=BB6_5693 Depth=2
	v_bfe_u32 v8, v6, 21, 1
	v_mov_b32_e32 v9, v1
	s_delay_alu instid0(VALU_DEP_1) | instskip(NEXT) | instid1(VALU_DEP_1)
	v_add_nc_u64_e32 v[8:9], v[6:7], v[8:9]
	v_add_nc_u64_e32 v[8:9], -1, v[8:9]
; %bb.7386:                             ;   in Loop: Header=BB6_5693 Depth=2
	s_or_b32 exec_lo, exec_lo, s40
	v_add_nc_u32_e32 v0, 0xffffff81, v5
	s_delay_alu instid0(VALU_DEP_2) | instskip(SKIP_2) | instid1(VALU_DEP_3)
	v_and_b32_e32 v7, 0x1fffff, v8
	v_lshrrev_b32_e32 v5, 23, v6
	s_mov_b32 s10, exec_lo
	v_cndmask_b32_e64 v0, v0, 0xffffff82, vcc_lo
	s_delay_alu instid0(VALU_DEP_1) | instskip(SKIP_1) | instid1(VALU_DEP_2)
	v_add3_u32 v8, v19, v0, v5
	v_add_nc_u32_e32 v0, v7, v6
                                        ; implicit-def: $vgpr6_vgpr7
                                        ; implicit-def: $vgpr5
	v_add_nc_u32_e32 v9, 14, v8
	s_delay_alu instid0(VALU_DEP_1)
	v_cmpx_ne_u32_e32 0, v9
	s_xor_b32 s10, exec_lo, s10
; %bb.7387:                             ;   in Loop: Header=BB6_5693 Depth=2
	s_delay_alu instid0(VALU_DEP_3) | instskip(SKIP_2) | instid1(VALU_DEP_2)
	v_cmp_lt_u64_e32 vcc_lo, 0xffffff, v[0:1]
	v_add_nc_u32_e32 v5, 15, v8
	v_cndmask_b32_e64 v6, 0, 1, vcc_lo
	v_cndmask_b32_e32 v5, v9, v5, vcc_lo
	s_delay_alu instid0(VALU_DEP_2)
	v_lshrrev_b64 v[6:7], v6, v[0:1]
; %bb.7388:                             ;   in Loop: Header=BB6_5693 Depth=2
	s_and_not1_saveexec_b32 s10, s10
; %bb.7389:                             ;   in Loop: Header=BB6_5693 Depth=2
	v_mov_b64_e32 v[6:7], v[0:1]
	v_bfe_u32 v5, v0, 23, 1
; %bb.7390:                             ;   in Loop: Header=BB6_5693 Depth=2
	s_or_b32 exec_lo, exec_lo, s10
	s_delay_alu instid0(VALU_DEP_2) | instskip(NEXT) | instid1(VALU_DEP_2)
	v_lshrrev_b64 v[6:7], 21, v[6:7]
	v_cmp_gt_i32_e32 vcc_lo, 32, v5
	v_cmp_ne_u32_e64 s10, 0, v5
                                        ; implicit-def: $vgpr32
	s_delay_alu instid0(VALU_DEP_3) | instskip(NEXT) | instid1(VALU_DEP_1)
	v_dual_cndmask_b32 v7, 0, v7 :: v_dual_cndmask_b32 v6, 3, v6
	v_cmp_ne_u64_e32 vcc_lo, 0, v[6:7]
	s_or_b32 s10, s10, vcc_lo
	s_delay_alu instid0(SALU_CYCLE_1) | instskip(NEXT) | instid1(SALU_CYCLE_1)
	s_and_saveexec_b32 s40, s10
	s_xor_b32 s10, exec_lo, s40
; %bb.7391:                             ;   in Loop: Header=BB6_5693 Depth=2
	v_min_i32_e32 v0, 31, v5
	s_delay_alu instid0(VALU_DEP_1) | instskip(NEXT) | instid1(VALU_DEP_1)
	v_lshl_or_b32 v0, v0, 2, v3
                                        ; implicit-def: $vgpr3
	v_and_or_b32 v32, v6, 3, v0
; %bb.7392:                             ;   in Loop: Header=BB6_5693 Depth=2
	s_and_not1_saveexec_b32 s10, s10
; %bb.7393:                             ;   in Loop: Header=BB6_5693 Depth=2
	v_mov_b32_e32 v32, v3
; %bb.7394:                             ;   in Loop: Header=BB6_5693 Depth=2
	s_or_b32 exec_lo, exec_lo, s10
.LBB6_7395:                             ;   in Loop: Header=BB6_5693 Depth=2
	s_delay_alu instid0(SALU_CYCLE_1)
	s_or_b32 exec_lo, exec_lo, s29
                                        ; implicit-def: $vgpr3
.LBB6_7396:                             ;   in Loop: Header=BB6_5693 Depth=2
	s_and_not1_saveexec_b32 s10, s28
; %bb.7397:                             ;   in Loop: Header=BB6_5693 Depth=2
	v_or_b32_e32 v32, 0x7b, v3
; %bb.7398:                             ;   in Loop: Header=BB6_5693 Depth=2
	s_or_b32 exec_lo, exec_lo, s10
                                        ; implicit-def: $vgpr5
.LBB6_7399:                             ;   in Loop: Header=BB6_5693 Depth=2
	s_and_not1_saveexec_b32 s10, s11
	s_cbranch_execz .LBB6_7405
; %bb.7400:                             ;   in Loop: Header=BB6_5693 Depth=2
	s_mov_b32 s11, exec_lo
                                        ; implicit-def: $vgpr32
	v_cmpx_ne_u64_e32 0, v[0:1]
	s_xor_b32 s11, exec_lo, s11
; %bb.7401:                             ;   in Loop: Header=BB6_5693 Depth=2
	v_lshrrev_b32_e32 v0, 24, v5
                                        ; implicit-def: $vgpr5
	s_delay_alu instid0(VALU_DEP_1)
	v_or_b32_e32 v32, 0x7f, v0
; %bb.7402:                             ;   in Loop: Header=BB6_5693 Depth=2
	s_and_not1_saveexec_b32 s11, s11
; %bb.7403:                             ;   in Loop: Header=BB6_5693 Depth=2
	v_cmp_lt_i32_e32 vcc_lo, -1, v5
	v_cndmask_b32_e64 v32, -4, 0x7c, vcc_lo
; %bb.7404:                             ;   in Loop: Header=BB6_5693 Depth=2
	s_or_b32 exec_lo, exec_lo, s11
.LBB6_7405:                             ;   in Loop: Header=BB6_5693 Depth=2
	s_delay_alu instid0(SALU_CYCLE_1) | instskip(SKIP_3) | instid1(VALU_DEP_2)
	s_or_b32 exec_lo, exec_lo, s10
	v_and_b32_e32 v6, 0xff, v74
	v_dual_mov_b32 v0, 0 :: v_dual_mov_b32 v3, 0
	s_mov_b32 s10, exec_lo
	v_cmpx_ne_u16_e32 0, v6
	s_cbranch_execz .LBB6_7415
; %bb.7406:                             ;   in Loop: Header=BB6_5693 Depth=2
	v_bfrev_b32_e32 v3, 1
	s_mov_b32 s11, exec_lo
	v_cmpx_ne_u16_e32 0x80, v6
	s_cbranch_execz .LBB6_7414
; %bb.7407:                             ;   in Loop: Header=BB6_5693 Depth=2
	v_and_b32_e32 v3, 0x7c, v74
	v_and_b32_e32 v5, 3, v74
	s_delay_alu instid0(VALU_DEP_2) | instskip(SKIP_1) | instid1(SALU_CYCLE_1)
	v_cmp_ne_u32_e32 vcc_lo, 0x7c, v3
                                        ; implicit-def: $vgpr3
	s_and_saveexec_b32 s28, vcc_lo
	s_xor_b32 s28, exec_lo, s28
	s_cbranch_execz .LBB6_7411
; %bb.7408:                             ;   in Loop: Header=BB6_5693 Depth=2
	v_bfe_u32 v3, v6, 2, 5
	s_mov_b32 s29, exec_lo
	s_delay_alu instid0(VALU_DEP_1)
	v_cmpx_eq_u32_e32 0, v3
	s_cbranch_execz .LBB6_7410
; %bb.7409:                             ;   in Loop: Header=BB6_5693 Depth=2
	v_clz_i32_u32_e32 v3, v5
	s_delay_alu instid0(VALU_DEP_1) | instskip(SKIP_1) | instid1(VALU_DEP_2)
	v_min_u32_e32 v3, 32, v3
	v_mov_b32_e32 v75, v1
	v_subrev_nc_u32_e32 v5, 29, v3
	v_sub_nc_u32_e32 v3, 30, v3
	s_delay_alu instid0(VALU_DEP_2) | instskip(NEXT) | instid1(VALU_DEP_1)
	v_lshlrev_b64_e32 v[6:7], v5, v[74:75]
	v_and_b32_e32 v5, 3, v6
.LBB6_7410:                             ;   in Loop: Header=BB6_5693 Depth=2
	s_or_b32 exec_lo, exec_lo, s29
	v_lshlrev_b32_e32 v6, 24, v74
                                        ; implicit-def: $vgpr74
	s_delay_alu instid0(VALU_DEP_1) | instskip(NEXT) | instid1(VALU_DEP_1)
	v_and_b32_e32 v6, 0x80000000, v6
	v_lshl_add_u32 v3, v3, 23, v6
	s_delay_alu instid0(VALU_DEP_1) | instskip(NEXT) | instid1(VALU_DEP_1)
	v_lshl_or_b32 v3, v5, 21, v3
                                        ; implicit-def: $vgpr5
	v_add_nc_u32_e32 v3, 0x38000000, v3
.LBB6_7411:                             ;   in Loop: Header=BB6_5693 Depth=2
	s_and_not1_saveexec_b32 s28, s28
; %bb.7412:                             ;   in Loop: Header=BB6_5693 Depth=2
	v_bfe_i32 v3, v74, 0, 8
	s_delay_alu instid0(VALU_DEP_1) | instskip(SKIP_1) | instid1(VALU_DEP_1)
	v_cmp_lt_i16_e32 vcc_lo, -1, v3
	v_mov_b32_e32 v3, 0x7f800000
	v_cndmask_b32_e32 v3, 0xff800000, v3, vcc_lo
	v_cmp_eq_u32_e32 vcc_lo, 0, v5
	s_delay_alu instid0(VALU_DEP_2)
	v_cndmask_b32_e32 v3, 0x7f800001, v3, vcc_lo
; %bb.7413:                             ;   in Loop: Header=BB6_5693 Depth=2
	s_or_b32 exec_lo, exec_lo, s28
.LBB6_7414:                             ;   in Loop: Header=BB6_5693 Depth=2
	s_delay_alu instid0(SALU_CYCLE_1)
	s_or_b32 exec_lo, exec_lo, s11
.LBB6_7415:                             ;   in Loop: Header=BB6_5693 Depth=2
	s_delay_alu instid0(SALU_CYCLE_1) | instskip(NEXT) | instid1(SALU_CYCLE_1)
	s_or_b32 exec_lo, exec_lo, s10
	s_mov_b32 s10, exec_lo
	s_wait_loadcnt_dscnt 0x1111
	v_cmpx_ne_u16_e32 0, v68
	s_cbranch_execz .LBB6_7425
; %bb.7416:                             ;   in Loop: Header=BB6_5693 Depth=2
	v_bfrev_b32_e32 v0, 1
	s_mov_b32 s11, exec_lo
	v_cmpx_ne_u16_e32 0xff80, v68
	s_cbranch_execz .LBB6_7424
; %bb.7417:                             ;   in Loop: Header=BB6_5693 Depth=2
	v_and_b32_e32 v0, 0x7c, v68
	v_and_b32_e32 v5, 3, v68
	s_delay_alu instid0(VALU_DEP_2) | instskip(SKIP_1) | instid1(SALU_CYCLE_1)
	v_cmp_ne_u32_e32 vcc_lo, 0x7c, v0
                                        ; implicit-def: $vgpr0
	s_and_saveexec_b32 s28, vcc_lo
	s_xor_b32 s28, exec_lo, s28
	s_cbranch_execz .LBB6_7421
; %bb.7418:                             ;   in Loop: Header=BB6_5693 Depth=2
	v_and_b32_e32 v0, 0xff, v68
	s_mov_b32 s29, exec_lo
	s_delay_alu instid0(VALU_DEP_1) | instskip(NEXT) | instid1(VALU_DEP_1)
	v_bfe_u32 v0, v0, 2, 5
	v_cmpx_eq_u32_e32 0, v0
	s_cbranch_execz .LBB6_7420
; %bb.7419:                             ;   in Loop: Header=BB6_5693 Depth=2
	v_clz_i32_u32_e32 v0, v5
	s_delay_alu instid0(VALU_DEP_1) | instskip(SKIP_1) | instid1(VALU_DEP_2)
	v_min_u32_e32 v0, 32, v0
	v_mov_b32_e32 v69, v1
	v_subrev_nc_u32_e32 v5, 29, v0
	v_sub_nc_u32_e32 v0, 30, v0
	s_delay_alu instid0(VALU_DEP_2) | instskip(NEXT) | instid1(VALU_DEP_1)
	v_lshlrev_b64_e32 v[6:7], v5, v[68:69]
	v_and_b32_e32 v5, 3, v6
.LBB6_7420:                             ;   in Loop: Header=BB6_5693 Depth=2
	s_or_b32 exec_lo, exec_lo, s29
	v_bfe_i32 v6, v68, 0, 16
                                        ; implicit-def: $vgpr68
	s_delay_alu instid0(VALU_DEP_1) | instskip(NEXT) | instid1(VALU_DEP_1)
	v_and_b32_e32 v6, 0x80000000, v6
	v_lshl_add_u32 v0, v0, 23, v6
	s_delay_alu instid0(VALU_DEP_1) | instskip(NEXT) | instid1(VALU_DEP_1)
	v_lshl_or_b32 v0, v5, 21, v0
                                        ; implicit-def: $vgpr5
	v_add_nc_u32_e32 v0, 0x38000000, v0
.LBB6_7421:                             ;   in Loop: Header=BB6_5693 Depth=2
	s_and_not1_saveexec_b32 s28, s28
; %bb.7422:                             ;   in Loop: Header=BB6_5693 Depth=2
	v_cmp_lt_i16_e32 vcc_lo, -1, v68
	v_mov_b32_e32 v0, 0x7f800000
	s_delay_alu instid0(VALU_DEP_1) | instskip(SKIP_1) | instid1(VALU_DEP_2)
	v_cndmask_b32_e32 v0, 0xff800000, v0, vcc_lo
	v_cmp_eq_u32_e32 vcc_lo, 0, v5
	v_cndmask_b32_e32 v0, 0x7f800001, v0, vcc_lo
; %bb.7423:                             ;   in Loop: Header=BB6_5693 Depth=2
	s_or_b32 exec_lo, exec_lo, s28
.LBB6_7424:                             ;   in Loop: Header=BB6_5693 Depth=2
	s_delay_alu instid0(SALU_CYCLE_1)
	s_or_b32 exec_lo, exec_lo, s11
.LBB6_7425:                             ;   in Loop: Header=BB6_5693 Depth=2
	s_delay_alu instid0(SALU_CYCLE_1) | instskip(NEXT) | instid1(VALU_DEP_1)
	s_or_b32 exec_lo, exec_lo, s10
	v_dual_add_f32 v5, v3, v0 :: v_dual_mov_b32 v7, v1
                                        ; implicit-def: $vgpr33
	s_mov_b32 s10, exec_lo
	s_delay_alu instid0(VALU_DEP_1) | instskip(SKIP_1) | instid1(VALU_DEP_2)
	v_and_b32_e32 v6, 0x7f800000, v5
	v_and_b32_e32 v0, 0x7fffff, v5
	v_cmpx_ne_u64_e32 0x7f800000, v[6:7]
	s_xor_b32 s11, exec_lo, s10
	s_cbranch_execz .LBB6_7443
; %bb.7426:                             ;   in Loop: Header=BB6_5693 Depth=2
	v_dual_mov_b32 v7, v1 :: v_dual_lshrrev_b32 v3, 24, v5
	v_and_b32_e32 v6, 0x7fffffff, v5
                                        ; implicit-def: $vgpr33
	s_mov_b32 s10, exec_lo
	s_delay_alu instid0(VALU_DEP_2) | instskip(NEXT) | instid1(VALU_DEP_2)
	v_and_b32_e32 v3, 0x80, v3
	v_cmpx_gt_u64_e32 0x47600001, v[6:7]
	s_xor_b32 s28, exec_lo, s10
	s_cbranch_execz .LBB6_7440
; %bb.7427:                             ;   in Loop: Header=BB6_5693 Depth=2
	v_mov_b32_e32 v33, 0
	s_mov_b32 s29, exec_lo
	v_cmpx_ne_u32_e32 0, v5
	s_cbranch_execz .LBB6_7439
; %bb.7428:                             ;   in Loop: Header=BB6_5693 Depth=2
	v_bfe_u32 v5, v5, 23, 8
	v_or_b32_e32 v8, 0x800000, v0
	s_mov_b32 s40, exec_lo
	s_delay_alu instid0(VALU_DEP_2) | instskip(SKIP_1) | instid1(VALU_DEP_2)
	v_dual_mov_b32 v9, v1 :: v_dual_sub_nc_u32 v6, 0x71, v5
	v_cmp_gt_u32_e32 vcc_lo, 0x72, v5
	v_cndmask_b32_e32 v6, 0, v6, vcc_lo
	v_cmp_eq_u32_e32 vcc_lo, 0, v5
	s_delay_alu instid0(VALU_DEP_2) | instskip(NEXT) | instid1(VALU_DEP_1)
	v_cndmask_b32_e64 v19, v6, 0x70, vcc_lo
	v_dual_cndmask_b32 v8, v8, v0, vcc_lo :: v_dual_add_nc_u32 v6, 21, v19
	v_add_nc_u32_e32 v27, 20, v19
	s_delay_alu instid0(VALU_DEP_2) | instskip(NEXT) | instid1(VALU_DEP_2)
	v_lshlrev_b64_e64 v[6:7], v6, -1
	v_lshlrev_b64_e64 v[38:39], v27, 1
	s_delay_alu instid0(VALU_DEP_2) | instskip(NEXT) | instid1(VALU_DEP_3)
	v_bfi_b32 v49, v7, 0, 0
	v_bfi_b32 v48, v6, 0, v8
	v_lshrrev_b64 v[6:7], v19, v[8:9]
	s_delay_alu instid0(VALU_DEP_1) | instskip(NEXT) | instid1(VALU_DEP_3)
	v_mov_b64_e32 v[8:9], v[6:7]
	v_cmpx_eq_u64_e64 v[48:49], v[38:39]
; %bb.7429:                             ;   in Loop: Header=BB6_5693 Depth=2
	v_bfe_u32 v8, v6, 21, 1
	v_mov_b32_e32 v9, v1
	s_delay_alu instid0(VALU_DEP_1) | instskip(NEXT) | instid1(VALU_DEP_1)
	v_add_nc_u64_e32 v[8:9], v[6:7], v[8:9]
	v_add_nc_u64_e32 v[8:9], -1, v[8:9]
; %bb.7430:                             ;   in Loop: Header=BB6_5693 Depth=2
	s_or_b32 exec_lo, exec_lo, s40
	v_add_nc_u32_e32 v0, 0xffffff81, v5
	s_delay_alu instid0(VALU_DEP_2) | instskip(SKIP_2) | instid1(VALU_DEP_3)
	v_and_b32_e32 v7, 0x1fffff, v8
	v_lshrrev_b32_e32 v5, 23, v6
	s_mov_b32 s10, exec_lo
	v_cndmask_b32_e64 v0, v0, 0xffffff82, vcc_lo
	s_delay_alu instid0(VALU_DEP_1) | instskip(SKIP_1) | instid1(VALU_DEP_2)
	v_add3_u32 v8, v19, v0, v5
	v_add_nc_u32_e32 v0, v7, v6
                                        ; implicit-def: $vgpr6_vgpr7
                                        ; implicit-def: $vgpr5
	v_add_nc_u32_e32 v9, 14, v8
	s_delay_alu instid0(VALU_DEP_1)
	v_cmpx_ne_u32_e32 0, v9
	s_xor_b32 s10, exec_lo, s10
; %bb.7431:                             ;   in Loop: Header=BB6_5693 Depth=2
	s_delay_alu instid0(VALU_DEP_3) | instskip(SKIP_2) | instid1(VALU_DEP_2)
	v_cmp_lt_u64_e32 vcc_lo, 0xffffff, v[0:1]
	v_add_nc_u32_e32 v5, 15, v8
	v_cndmask_b32_e64 v6, 0, 1, vcc_lo
	v_cndmask_b32_e32 v5, v9, v5, vcc_lo
	s_delay_alu instid0(VALU_DEP_2)
	v_lshrrev_b64 v[6:7], v6, v[0:1]
; %bb.7432:                             ;   in Loop: Header=BB6_5693 Depth=2
	s_and_not1_saveexec_b32 s10, s10
; %bb.7433:                             ;   in Loop: Header=BB6_5693 Depth=2
	v_mov_b64_e32 v[6:7], v[0:1]
	v_bfe_u32 v5, v0, 23, 1
; %bb.7434:                             ;   in Loop: Header=BB6_5693 Depth=2
	s_or_b32 exec_lo, exec_lo, s10
	s_delay_alu instid0(VALU_DEP_2) | instskip(NEXT) | instid1(VALU_DEP_2)
	v_lshrrev_b64 v[6:7], 21, v[6:7]
	v_cmp_gt_i32_e32 vcc_lo, 32, v5
	v_cmp_ne_u32_e64 s10, 0, v5
                                        ; implicit-def: $vgpr33
	s_delay_alu instid0(VALU_DEP_3) | instskip(NEXT) | instid1(VALU_DEP_1)
	v_dual_cndmask_b32 v7, 0, v7 :: v_dual_cndmask_b32 v6, 3, v6
	v_cmp_ne_u64_e32 vcc_lo, 0, v[6:7]
	s_or_b32 s10, s10, vcc_lo
	s_delay_alu instid0(SALU_CYCLE_1) | instskip(NEXT) | instid1(SALU_CYCLE_1)
	s_and_saveexec_b32 s40, s10
	s_xor_b32 s10, exec_lo, s40
; %bb.7435:                             ;   in Loop: Header=BB6_5693 Depth=2
	v_min_i32_e32 v0, 31, v5
	s_delay_alu instid0(VALU_DEP_1) | instskip(NEXT) | instid1(VALU_DEP_1)
	v_lshl_or_b32 v0, v0, 2, v3
                                        ; implicit-def: $vgpr3
	v_and_or_b32 v33, v6, 3, v0
; %bb.7436:                             ;   in Loop: Header=BB6_5693 Depth=2
	s_and_not1_saveexec_b32 s10, s10
; %bb.7437:                             ;   in Loop: Header=BB6_5693 Depth=2
	v_mov_b32_e32 v33, v3
; %bb.7438:                             ;   in Loop: Header=BB6_5693 Depth=2
	s_or_b32 exec_lo, exec_lo, s10
.LBB6_7439:                             ;   in Loop: Header=BB6_5693 Depth=2
	s_delay_alu instid0(SALU_CYCLE_1)
	s_or_b32 exec_lo, exec_lo, s29
                                        ; implicit-def: $vgpr3
.LBB6_7440:                             ;   in Loop: Header=BB6_5693 Depth=2
	s_and_not1_saveexec_b32 s10, s28
; %bb.7441:                             ;   in Loop: Header=BB6_5693 Depth=2
	v_or_b32_e32 v33, 0x7b, v3
; %bb.7442:                             ;   in Loop: Header=BB6_5693 Depth=2
	s_or_b32 exec_lo, exec_lo, s10
                                        ; implicit-def: $vgpr5
.LBB6_7443:                             ;   in Loop: Header=BB6_5693 Depth=2
	s_and_not1_saveexec_b32 s10, s11
	s_cbranch_execz .LBB6_7449
; %bb.7444:                             ;   in Loop: Header=BB6_5693 Depth=2
	s_mov_b32 s11, exec_lo
                                        ; implicit-def: $vgpr33
	v_cmpx_ne_u64_e32 0, v[0:1]
	s_xor_b32 s11, exec_lo, s11
; %bb.7445:                             ;   in Loop: Header=BB6_5693 Depth=2
	v_lshrrev_b32_e32 v0, 24, v5
                                        ; implicit-def: $vgpr5
	s_delay_alu instid0(VALU_DEP_1)
	v_or_b32_e32 v33, 0x7f, v0
; %bb.7446:                             ;   in Loop: Header=BB6_5693 Depth=2
	s_and_not1_saveexec_b32 s11, s11
; %bb.7447:                             ;   in Loop: Header=BB6_5693 Depth=2
	v_cmp_lt_i32_e32 vcc_lo, -1, v5
	v_cndmask_b32_e64 v33, -4, 0x7c, vcc_lo
; %bb.7448:                             ;   in Loop: Header=BB6_5693 Depth=2
	s_or_b32 exec_lo, exec_lo, s11
.LBB6_7449:                             ;   in Loop: Header=BB6_5693 Depth=2
	s_delay_alu instid0(SALU_CYCLE_1) | instskip(SKIP_3) | instid1(VALU_DEP_2)
	s_or_b32 exec_lo, exec_lo, s10
	v_and_b32_e32 v6, 0xff, v72
	v_dual_mov_b32 v0, 0 :: v_dual_mov_b32 v3, 0
	s_mov_b32 s10, exec_lo
	v_cmpx_ne_u16_e32 0, v6
	s_cbranch_execz .LBB6_7459
; %bb.7450:                             ;   in Loop: Header=BB6_5693 Depth=2
	v_bfrev_b32_e32 v3, 1
	s_mov_b32 s11, exec_lo
	v_cmpx_ne_u16_e32 0x80, v6
	s_cbranch_execz .LBB6_7458
; %bb.7451:                             ;   in Loop: Header=BB6_5693 Depth=2
	v_and_b32_e32 v3, 0x7c, v72
	v_and_b32_e32 v5, 3, v72
	s_delay_alu instid0(VALU_DEP_2) | instskip(SKIP_1) | instid1(SALU_CYCLE_1)
	v_cmp_ne_u32_e32 vcc_lo, 0x7c, v3
                                        ; implicit-def: $vgpr3
	s_and_saveexec_b32 s28, vcc_lo
	s_xor_b32 s28, exec_lo, s28
	s_cbranch_execz .LBB6_7455
; %bb.7452:                             ;   in Loop: Header=BB6_5693 Depth=2
	v_bfe_u32 v3, v6, 2, 5
	s_mov_b32 s29, exec_lo
	s_delay_alu instid0(VALU_DEP_1)
	v_cmpx_eq_u32_e32 0, v3
	s_cbranch_execz .LBB6_7454
; %bb.7453:                             ;   in Loop: Header=BB6_5693 Depth=2
	v_clz_i32_u32_e32 v3, v5
	s_delay_alu instid0(VALU_DEP_1) | instskip(SKIP_1) | instid1(VALU_DEP_2)
	v_min_u32_e32 v3, 32, v3
	v_mov_b32_e32 v73, v1
	v_subrev_nc_u32_e32 v5, 29, v3
	v_sub_nc_u32_e32 v3, 30, v3
	s_delay_alu instid0(VALU_DEP_2) | instskip(NEXT) | instid1(VALU_DEP_1)
	v_lshlrev_b64_e32 v[6:7], v5, v[72:73]
	v_and_b32_e32 v5, 3, v6
.LBB6_7454:                             ;   in Loop: Header=BB6_5693 Depth=2
	s_or_b32 exec_lo, exec_lo, s29
	v_lshlrev_b32_e32 v6, 24, v72
                                        ; implicit-def: $vgpr72
	s_delay_alu instid0(VALU_DEP_1) | instskip(NEXT) | instid1(VALU_DEP_1)
	v_and_b32_e32 v6, 0x80000000, v6
	v_lshl_add_u32 v3, v3, 23, v6
	s_delay_alu instid0(VALU_DEP_1) | instskip(NEXT) | instid1(VALU_DEP_1)
	v_lshl_or_b32 v3, v5, 21, v3
                                        ; implicit-def: $vgpr5
	v_add_nc_u32_e32 v3, 0x38000000, v3
.LBB6_7455:                             ;   in Loop: Header=BB6_5693 Depth=2
	s_and_not1_saveexec_b32 s28, s28
; %bb.7456:                             ;   in Loop: Header=BB6_5693 Depth=2
	v_bfe_i32 v3, v72, 0, 8
	s_delay_alu instid0(VALU_DEP_1) | instskip(SKIP_1) | instid1(VALU_DEP_1)
	v_cmp_lt_i16_e32 vcc_lo, -1, v3
	v_mov_b32_e32 v3, 0x7f800000
	v_cndmask_b32_e32 v3, 0xff800000, v3, vcc_lo
	v_cmp_eq_u32_e32 vcc_lo, 0, v5
	s_delay_alu instid0(VALU_DEP_2)
	v_cndmask_b32_e32 v3, 0x7f800001, v3, vcc_lo
; %bb.7457:                             ;   in Loop: Header=BB6_5693 Depth=2
	s_or_b32 exec_lo, exec_lo, s28
.LBB6_7458:                             ;   in Loop: Header=BB6_5693 Depth=2
	s_delay_alu instid0(SALU_CYCLE_1)
	s_or_b32 exec_lo, exec_lo, s11
.LBB6_7459:                             ;   in Loop: Header=BB6_5693 Depth=2
	s_delay_alu instid0(SALU_CYCLE_1) | instskip(NEXT) | instid1(SALU_CYCLE_1)
	s_or_b32 exec_lo, exec_lo, s10
	s_mov_b32 s10, exec_lo
	s_wait_loadcnt_dscnt 0x1010
	v_cmpx_ne_u16_e32 0, v96
	s_cbranch_execz .LBB6_7469
; %bb.7460:                             ;   in Loop: Header=BB6_5693 Depth=2
	v_bfrev_b32_e32 v0, 1
	s_mov_b32 s11, exec_lo
	v_cmpx_ne_u16_e32 0xff80, v96
	s_cbranch_execz .LBB6_7468
; %bb.7461:                             ;   in Loop: Header=BB6_5693 Depth=2
	v_and_b32_e32 v0, 0x7c, v96
	v_and_b32_e32 v5, 3, v96
	s_delay_alu instid0(VALU_DEP_2) | instskip(SKIP_1) | instid1(SALU_CYCLE_1)
	v_cmp_ne_u32_e32 vcc_lo, 0x7c, v0
                                        ; implicit-def: $vgpr0
	s_and_saveexec_b32 s28, vcc_lo
	s_xor_b32 s28, exec_lo, s28
	s_cbranch_execz .LBB6_7465
; %bb.7462:                             ;   in Loop: Header=BB6_5693 Depth=2
	v_and_b32_e32 v0, 0xff, v96
	s_mov_b32 s29, exec_lo
	s_delay_alu instid0(VALU_DEP_1) | instskip(NEXT) | instid1(VALU_DEP_1)
	v_bfe_u32 v0, v0, 2, 5
	v_cmpx_eq_u32_e32 0, v0
	s_cbranch_execz .LBB6_7464
; %bb.7463:                             ;   in Loop: Header=BB6_5693 Depth=2
	v_clz_i32_u32_e32 v0, v5
	s_delay_alu instid0(VALU_DEP_1) | instskip(SKIP_1) | instid1(VALU_DEP_2)
	v_min_u32_e32 v0, 32, v0
	v_mov_b32_e32 v97, v1
	v_subrev_nc_u32_e32 v5, 29, v0
	v_sub_nc_u32_e32 v0, 30, v0
	s_delay_alu instid0(VALU_DEP_2) | instskip(NEXT) | instid1(VALU_DEP_1)
	v_lshlrev_b64_e32 v[6:7], v5, v[96:97]
	v_and_b32_e32 v5, 3, v6
.LBB6_7464:                             ;   in Loop: Header=BB6_5693 Depth=2
	s_or_b32 exec_lo, exec_lo, s29
	v_bfe_i32 v6, v96, 0, 16
                                        ; implicit-def: $vgpr96
	s_delay_alu instid0(VALU_DEP_1) | instskip(NEXT) | instid1(VALU_DEP_1)
	v_and_b32_e32 v6, 0x80000000, v6
	v_lshl_add_u32 v0, v0, 23, v6
	s_delay_alu instid0(VALU_DEP_1) | instskip(NEXT) | instid1(VALU_DEP_1)
	v_lshl_or_b32 v0, v5, 21, v0
                                        ; implicit-def: $vgpr5
	v_add_nc_u32_e32 v0, 0x38000000, v0
.LBB6_7465:                             ;   in Loop: Header=BB6_5693 Depth=2
	s_and_not1_saveexec_b32 s28, s28
; %bb.7466:                             ;   in Loop: Header=BB6_5693 Depth=2
	v_cmp_lt_i16_e32 vcc_lo, -1, v96
	v_mov_b32_e32 v0, 0x7f800000
	s_delay_alu instid0(VALU_DEP_1) | instskip(SKIP_1) | instid1(VALU_DEP_2)
	v_cndmask_b32_e32 v0, 0xff800000, v0, vcc_lo
	v_cmp_eq_u32_e32 vcc_lo, 0, v5
	v_cndmask_b32_e32 v0, 0x7f800001, v0, vcc_lo
; %bb.7467:                             ;   in Loop: Header=BB6_5693 Depth=2
	s_or_b32 exec_lo, exec_lo, s28
.LBB6_7468:                             ;   in Loop: Header=BB6_5693 Depth=2
	s_delay_alu instid0(SALU_CYCLE_1)
	s_or_b32 exec_lo, exec_lo, s11
.LBB6_7469:                             ;   in Loop: Header=BB6_5693 Depth=2
	s_delay_alu instid0(SALU_CYCLE_1) | instskip(NEXT) | instid1(VALU_DEP_1)
	s_or_b32 exec_lo, exec_lo, s10
	v_dual_add_f32 v5, v3, v0 :: v_dual_mov_b32 v7, v1
                                        ; implicit-def: $vgpr8
	s_mov_b32 s10, exec_lo
	s_delay_alu instid0(VALU_DEP_1) | instskip(SKIP_1) | instid1(VALU_DEP_2)
	v_and_b32_e32 v6, 0x7f800000, v5
	v_and_b32_e32 v0, 0x7fffff, v5
	v_cmpx_ne_u64_e32 0x7f800000, v[6:7]
	s_xor_b32 s11, exec_lo, s10
	s_cbranch_execz .LBB6_7487
; %bb.7470:                             ;   in Loop: Header=BB6_5693 Depth=2
	v_dual_mov_b32 v7, v1 :: v_dual_lshrrev_b32 v3, 24, v5
	v_and_b32_e32 v6, 0x7fffffff, v5
                                        ; implicit-def: $vgpr8
	s_mov_b32 s10, exec_lo
	s_delay_alu instid0(VALU_DEP_2) | instskip(NEXT) | instid1(VALU_DEP_2)
	v_and_b32_e32 v3, 0x80, v3
	v_cmpx_gt_u64_e32 0x47600001, v[6:7]
	s_xor_b32 s28, exec_lo, s10
	s_cbranch_execz .LBB6_7484
; %bb.7471:                             ;   in Loop: Header=BB6_5693 Depth=2
	v_mov_b32_e32 v8, 0
	s_mov_b32 s29, exec_lo
	v_cmpx_ne_u32_e32 0, v5
	s_cbranch_execz .LBB6_7483
; %bb.7472:                             ;   in Loop: Header=BB6_5693 Depth=2
	v_bfe_u32 v5, v5, 23, 8
	v_or_b32_e32 v8, 0x800000, v0
	s_mov_b32 s40, exec_lo
	s_delay_alu instid0(VALU_DEP_2) | instskip(SKIP_1) | instid1(VALU_DEP_2)
	v_dual_mov_b32 v9, v1 :: v_dual_sub_nc_u32 v6, 0x71, v5
	v_cmp_gt_u32_e32 vcc_lo, 0x72, v5
	v_cndmask_b32_e32 v6, 0, v6, vcc_lo
	v_cmp_eq_u32_e32 vcc_lo, 0, v5
	s_delay_alu instid0(VALU_DEP_2) | instskip(NEXT) | instid1(VALU_DEP_1)
	v_cndmask_b32_e64 v19, v6, 0x70, vcc_lo
	v_dual_cndmask_b32 v8, v8, v0, vcc_lo :: v_dual_add_nc_u32 v6, 21, v19
	v_add_nc_u32_e32 v27, 20, v19
	s_delay_alu instid0(VALU_DEP_2) | instskip(NEXT) | instid1(VALU_DEP_2)
	v_lshlrev_b64_e64 v[6:7], v6, -1
	v_lshlrev_b64_e64 v[38:39], v27, 1
	s_delay_alu instid0(VALU_DEP_2) | instskip(NEXT) | instid1(VALU_DEP_3)
	v_bfi_b32 v49, v7, 0, 0
	v_bfi_b32 v48, v6, 0, v8
	v_lshrrev_b64 v[6:7], v19, v[8:9]
	s_delay_alu instid0(VALU_DEP_1) | instskip(NEXT) | instid1(VALU_DEP_3)
	v_mov_b64_e32 v[8:9], v[6:7]
	v_cmpx_eq_u64_e64 v[48:49], v[38:39]
; %bb.7473:                             ;   in Loop: Header=BB6_5693 Depth=2
	v_bfe_u32 v8, v6, 21, 1
	v_mov_b32_e32 v9, v1
	s_delay_alu instid0(VALU_DEP_1) | instskip(NEXT) | instid1(VALU_DEP_1)
	v_add_nc_u64_e32 v[8:9], v[6:7], v[8:9]
	v_add_nc_u64_e32 v[8:9], -1, v[8:9]
; %bb.7474:                             ;   in Loop: Header=BB6_5693 Depth=2
	s_or_b32 exec_lo, exec_lo, s40
	v_add_nc_u32_e32 v0, 0xffffff81, v5
	s_delay_alu instid0(VALU_DEP_2) | instskip(SKIP_2) | instid1(VALU_DEP_3)
	v_and_b32_e32 v7, 0x1fffff, v8
	v_lshrrev_b32_e32 v5, 23, v6
	s_mov_b32 s10, exec_lo
	v_cndmask_b32_e64 v0, v0, 0xffffff82, vcc_lo
	s_delay_alu instid0(VALU_DEP_1) | instskip(SKIP_1) | instid1(VALU_DEP_2)
	v_add3_u32 v8, v19, v0, v5
	v_add_nc_u32_e32 v0, v7, v6
                                        ; implicit-def: $vgpr6_vgpr7
                                        ; implicit-def: $vgpr5
	v_add_nc_u32_e32 v9, 14, v8
	s_delay_alu instid0(VALU_DEP_1)
	v_cmpx_ne_u32_e32 0, v9
	s_xor_b32 s10, exec_lo, s10
; %bb.7475:                             ;   in Loop: Header=BB6_5693 Depth=2
	s_delay_alu instid0(VALU_DEP_3) | instskip(SKIP_2) | instid1(VALU_DEP_2)
	v_cmp_lt_u64_e32 vcc_lo, 0xffffff, v[0:1]
	v_add_nc_u32_e32 v5, 15, v8
	v_cndmask_b32_e64 v6, 0, 1, vcc_lo
	v_cndmask_b32_e32 v5, v9, v5, vcc_lo
	s_delay_alu instid0(VALU_DEP_2)
	v_lshrrev_b64 v[6:7], v6, v[0:1]
; %bb.7476:                             ;   in Loop: Header=BB6_5693 Depth=2
	s_and_not1_saveexec_b32 s10, s10
; %bb.7477:                             ;   in Loop: Header=BB6_5693 Depth=2
	v_mov_b64_e32 v[6:7], v[0:1]
	v_bfe_u32 v5, v0, 23, 1
; %bb.7478:                             ;   in Loop: Header=BB6_5693 Depth=2
	s_or_b32 exec_lo, exec_lo, s10
	s_delay_alu instid0(VALU_DEP_2) | instskip(NEXT) | instid1(VALU_DEP_2)
	v_lshrrev_b64 v[6:7], 21, v[6:7]
	v_cmp_gt_i32_e32 vcc_lo, 32, v5
	v_cmp_ne_u32_e64 s10, 0, v5
                                        ; implicit-def: $vgpr8
	s_delay_alu instid0(VALU_DEP_3) | instskip(NEXT) | instid1(VALU_DEP_1)
	v_dual_cndmask_b32 v7, 0, v7 :: v_dual_cndmask_b32 v6, 3, v6
	v_cmp_ne_u64_e32 vcc_lo, 0, v[6:7]
	s_or_b32 s10, s10, vcc_lo
	s_delay_alu instid0(SALU_CYCLE_1) | instskip(NEXT) | instid1(SALU_CYCLE_1)
	s_and_saveexec_b32 s40, s10
	s_xor_b32 s10, exec_lo, s40
; %bb.7479:                             ;   in Loop: Header=BB6_5693 Depth=2
	v_min_i32_e32 v0, 31, v5
	s_delay_alu instid0(VALU_DEP_1) | instskip(NEXT) | instid1(VALU_DEP_1)
	v_lshl_or_b32 v0, v0, 2, v3
                                        ; implicit-def: $vgpr3
	v_and_or_b32 v8, v6, 3, v0
; %bb.7480:                             ;   in Loop: Header=BB6_5693 Depth=2
	s_and_not1_saveexec_b32 s10, s10
; %bb.7481:                             ;   in Loop: Header=BB6_5693 Depth=2
	v_mov_b32_e32 v8, v3
; %bb.7482:                             ;   in Loop: Header=BB6_5693 Depth=2
	s_or_b32 exec_lo, exec_lo, s10
.LBB6_7483:                             ;   in Loop: Header=BB6_5693 Depth=2
	s_delay_alu instid0(SALU_CYCLE_1)
	s_or_b32 exec_lo, exec_lo, s29
                                        ; implicit-def: $vgpr3
.LBB6_7484:                             ;   in Loop: Header=BB6_5693 Depth=2
	s_and_not1_saveexec_b32 s10, s28
; %bb.7485:                             ;   in Loop: Header=BB6_5693 Depth=2
	v_or_b32_e32 v8, 0x7b, v3
; %bb.7486:                             ;   in Loop: Header=BB6_5693 Depth=2
	s_or_b32 exec_lo, exec_lo, s10
                                        ; implicit-def: $vgpr5
.LBB6_7487:                             ;   in Loop: Header=BB6_5693 Depth=2
	s_and_not1_saveexec_b32 s10, s11
	s_cbranch_execz .LBB6_7493
; %bb.7488:                             ;   in Loop: Header=BB6_5693 Depth=2
	s_mov_b32 s11, exec_lo
                                        ; implicit-def: $vgpr8
	v_cmpx_ne_u64_e32 0, v[0:1]
	s_xor_b32 s11, exec_lo, s11
; %bb.7489:                             ;   in Loop: Header=BB6_5693 Depth=2
	v_lshrrev_b32_e32 v0, 24, v5
                                        ; implicit-def: $vgpr5
	s_delay_alu instid0(VALU_DEP_1)
	v_or_b32_e32 v8, 0x7f, v0
; %bb.7490:                             ;   in Loop: Header=BB6_5693 Depth=2
	s_and_not1_saveexec_b32 s11, s11
; %bb.7491:                             ;   in Loop: Header=BB6_5693 Depth=2
	v_cmp_lt_i32_e32 vcc_lo, -1, v5
	v_cndmask_b32_e64 v8, -4, 0x7c, vcc_lo
; %bb.7492:                             ;   in Loop: Header=BB6_5693 Depth=2
	s_or_b32 exec_lo, exec_lo, s11
.LBB6_7493:                             ;   in Loop: Header=BB6_5693 Depth=2
	s_delay_alu instid0(SALU_CYCLE_1) | instskip(SKIP_3) | instid1(VALU_DEP_2)
	s_or_b32 exec_lo, exec_lo, s10
	v_and_b32_e32 v6, 0xff, v62
	v_dual_mov_b32 v0, 0 :: v_dual_mov_b32 v3, 0
	s_mov_b32 s10, exec_lo
	v_cmpx_ne_u16_e32 0, v6
	s_cbranch_execz .LBB6_7503
; %bb.7494:                             ;   in Loop: Header=BB6_5693 Depth=2
	v_bfrev_b32_e32 v3, 1
	s_mov_b32 s11, exec_lo
	v_cmpx_ne_u16_e32 0x80, v6
	s_cbranch_execz .LBB6_7502
; %bb.7495:                             ;   in Loop: Header=BB6_5693 Depth=2
	v_and_b32_e32 v3, 0x7c, v62
	v_and_b32_e32 v5, 3, v62
	s_delay_alu instid0(VALU_DEP_2) | instskip(SKIP_1) | instid1(SALU_CYCLE_1)
	v_cmp_ne_u32_e32 vcc_lo, 0x7c, v3
                                        ; implicit-def: $vgpr3
	s_and_saveexec_b32 s28, vcc_lo
	s_xor_b32 s28, exec_lo, s28
	s_cbranch_execz .LBB6_7499
; %bb.7496:                             ;   in Loop: Header=BB6_5693 Depth=2
	v_bfe_u32 v3, v6, 2, 5
	s_mov_b32 s29, exec_lo
	s_delay_alu instid0(VALU_DEP_1)
	v_cmpx_eq_u32_e32 0, v3
	s_cbranch_execz .LBB6_7498
; %bb.7497:                             ;   in Loop: Header=BB6_5693 Depth=2
	v_clz_i32_u32_e32 v3, v5
	s_delay_alu instid0(VALU_DEP_1) | instskip(SKIP_1) | instid1(VALU_DEP_2)
	v_min_u32_e32 v3, 32, v3
	v_mov_b32_e32 v63, v1
	v_subrev_nc_u32_e32 v5, 29, v3
	v_sub_nc_u32_e32 v3, 30, v3
	s_delay_alu instid0(VALU_DEP_2) | instskip(NEXT) | instid1(VALU_DEP_1)
	v_lshlrev_b64_e32 v[6:7], v5, v[62:63]
	v_and_b32_e32 v5, 3, v6
.LBB6_7498:                             ;   in Loop: Header=BB6_5693 Depth=2
	s_or_b32 exec_lo, exec_lo, s29
	v_lshlrev_b32_e32 v6, 24, v62
                                        ; implicit-def: $vgpr62
	s_delay_alu instid0(VALU_DEP_1) | instskip(NEXT) | instid1(VALU_DEP_1)
	v_and_b32_e32 v6, 0x80000000, v6
	v_lshl_add_u32 v3, v3, 23, v6
	s_delay_alu instid0(VALU_DEP_1) | instskip(NEXT) | instid1(VALU_DEP_1)
	v_lshl_or_b32 v3, v5, 21, v3
                                        ; implicit-def: $vgpr5
	v_add_nc_u32_e32 v3, 0x38000000, v3
.LBB6_7499:                             ;   in Loop: Header=BB6_5693 Depth=2
	s_and_not1_saveexec_b32 s28, s28
; %bb.7500:                             ;   in Loop: Header=BB6_5693 Depth=2
	v_bfe_i32 v3, v62, 0, 8
	s_delay_alu instid0(VALU_DEP_1) | instskip(SKIP_1) | instid1(VALU_DEP_1)
	v_cmp_lt_i16_e32 vcc_lo, -1, v3
	v_mov_b32_e32 v3, 0x7f800000
	v_cndmask_b32_e32 v3, 0xff800000, v3, vcc_lo
	v_cmp_eq_u32_e32 vcc_lo, 0, v5
	s_delay_alu instid0(VALU_DEP_2)
	v_cndmask_b32_e32 v3, 0x7f800001, v3, vcc_lo
; %bb.7501:                             ;   in Loop: Header=BB6_5693 Depth=2
	s_or_b32 exec_lo, exec_lo, s28
.LBB6_7502:                             ;   in Loop: Header=BB6_5693 Depth=2
	s_delay_alu instid0(SALU_CYCLE_1)
	s_or_b32 exec_lo, exec_lo, s11
.LBB6_7503:                             ;   in Loop: Header=BB6_5693 Depth=2
	s_delay_alu instid0(SALU_CYCLE_1) | instskip(NEXT) | instid1(SALU_CYCLE_1)
	s_or_b32 exec_lo, exec_lo, s10
	s_mov_b32 s10, exec_lo
	s_wait_loadcnt_dscnt 0xf0f
	v_cmpx_ne_u16_e32 0, v4
	s_cbranch_execz .LBB6_7513
; %bb.7504:                             ;   in Loop: Header=BB6_5693 Depth=2
	v_bfrev_b32_e32 v0, 1
	s_mov_b32 s11, exec_lo
	v_cmpx_ne_u16_e32 0xff80, v4
	s_cbranch_execz .LBB6_7512
; %bb.7505:                             ;   in Loop: Header=BB6_5693 Depth=2
	v_and_b32_e32 v0, 0x7c, v4
	v_and_b32_e32 v5, 3, v4
	s_delay_alu instid0(VALU_DEP_2) | instskip(SKIP_1) | instid1(SALU_CYCLE_1)
	v_cmp_ne_u32_e32 vcc_lo, 0x7c, v0
                                        ; implicit-def: $vgpr0
	s_and_saveexec_b32 s28, vcc_lo
	s_xor_b32 s28, exec_lo, s28
	s_cbranch_execz .LBB6_7509
; %bb.7506:                             ;   in Loop: Header=BB6_5693 Depth=2
	v_and_b32_e32 v0, 0xff, v4
	s_mov_b32 s29, exec_lo
	s_delay_alu instid0(VALU_DEP_1) | instskip(NEXT) | instid1(VALU_DEP_1)
	v_bfe_u32 v0, v0, 2, 5
	v_cmpx_eq_u32_e32 0, v0
	s_cbranch_execz .LBB6_7508
; %bb.7507:                             ;   in Loop: Header=BB6_5693 Depth=2
	v_clz_i32_u32_e32 v0, v5
	s_delay_alu instid0(VALU_DEP_1) | instskip(SKIP_1) | instid1(VALU_DEP_2)
	v_min_u32_e32 v0, 32, v0
	v_mov_b32_e32 v5, v1
	v_subrev_nc_u32_e32 v6, 29, v0
	v_sub_nc_u32_e32 v0, 30, v0
	s_delay_alu instid0(VALU_DEP_2) | instskip(NEXT) | instid1(VALU_DEP_1)
	v_lshlrev_b64_e32 v[6:7], v6, v[4:5]
	v_and_b32_e32 v5, 3, v6
.LBB6_7508:                             ;   in Loop: Header=BB6_5693 Depth=2
	s_or_b32 exec_lo, exec_lo, s29
	v_bfe_i32 v4, v4, 0, 16
	s_delay_alu instid0(VALU_DEP_1) | instskip(NEXT) | instid1(VALU_DEP_1)
	v_and_b32_e32 v4, 0x80000000, v4
	v_lshl_add_u32 v0, v0, 23, v4
                                        ; implicit-def: $vgpr4
	s_delay_alu instid0(VALU_DEP_1) | instskip(NEXT) | instid1(VALU_DEP_1)
	v_lshl_or_b32 v0, v5, 21, v0
                                        ; implicit-def: $vgpr5
	v_add_nc_u32_e32 v0, 0x38000000, v0
.LBB6_7509:                             ;   in Loop: Header=BB6_5693 Depth=2
	s_and_not1_saveexec_b32 s28, s28
; %bb.7510:                             ;   in Loop: Header=BB6_5693 Depth=2
	v_cmp_lt_i16_e32 vcc_lo, -1, v4
	v_mov_b32_e32 v0, 0x7f800000
	s_delay_alu instid0(VALU_DEP_1) | instskip(SKIP_1) | instid1(VALU_DEP_2)
	v_cndmask_b32_e32 v0, 0xff800000, v0, vcc_lo
	v_cmp_eq_u32_e32 vcc_lo, 0, v5
	v_cndmask_b32_e32 v0, 0x7f800001, v0, vcc_lo
; %bb.7511:                             ;   in Loop: Header=BB6_5693 Depth=2
	s_or_b32 exec_lo, exec_lo, s28
.LBB6_7512:                             ;   in Loop: Header=BB6_5693 Depth=2
	s_delay_alu instid0(SALU_CYCLE_1)
	s_or_b32 exec_lo, exec_lo, s11
.LBB6_7513:                             ;   in Loop: Header=BB6_5693 Depth=2
	s_delay_alu instid0(SALU_CYCLE_1) | instskip(NEXT) | instid1(VALU_DEP_1)
	s_or_b32 exec_lo, exec_lo, s10
	v_dual_add_f32 v4, v3, v0 :: v_dual_mov_b32 v7, v1
                                        ; implicit-def: $vgpr9
	s_mov_b32 s10, exec_lo
	s_delay_alu instid0(VALU_DEP_1) | instskip(SKIP_1) | instid1(VALU_DEP_2)
	v_and_b32_e32 v6, 0x7f800000, v4
	v_and_b32_e32 v0, 0x7fffff, v4
	v_cmpx_ne_u64_e32 0x7f800000, v[6:7]
	s_xor_b32 s11, exec_lo, s10
	s_cbranch_execz .LBB6_7531
; %bb.7514:                             ;   in Loop: Header=BB6_5693 Depth=2
	v_dual_mov_b32 v7, v1 :: v_dual_lshrrev_b32 v3, 24, v4
	v_and_b32_e32 v6, 0x7fffffff, v4
                                        ; implicit-def: $vgpr9
	s_mov_b32 s10, exec_lo
	s_delay_alu instid0(VALU_DEP_2) | instskip(NEXT) | instid1(VALU_DEP_2)
	v_and_b32_e32 v3, 0x80, v3
	v_cmpx_gt_u64_e32 0x47600001, v[6:7]
	s_xor_b32 s28, exec_lo, s10
	s_cbranch_execz .LBB6_7528
; %bb.7515:                             ;   in Loop: Header=BB6_5693 Depth=2
	v_mov_b32_e32 v9, 0
	s_mov_b32 s29, exec_lo
	v_cmpx_ne_u32_e32 0, v4
	s_cbranch_execz .LBB6_7527
; %bb.7516:                             ;   in Loop: Header=BB6_5693 Depth=2
	v_bfe_u32 v9, v4, 23, 8
	v_or_b32_e32 v6, 0x800000, v0
	s_mov_b32 s40, exec_lo
	s_delay_alu instid0(VALU_DEP_2) | instskip(SKIP_1) | instid1(VALU_DEP_2)
	v_dual_mov_b32 v7, v1 :: v_dual_sub_nc_u32 v4, 0x71, v9
	v_cmp_gt_u32_e32 vcc_lo, 0x72, v9
	v_cndmask_b32_e32 v4, 0, v4, vcc_lo
	v_cmp_eq_u32_e32 vcc_lo, 0, v9
	s_delay_alu instid0(VALU_DEP_2) | instskip(NEXT) | instid1(VALU_DEP_1)
	v_cndmask_b32_e64 v19, v4, 0x70, vcc_lo
	v_dual_cndmask_b32 v6, v6, v0, vcc_lo :: v_dual_add_nc_u32 v4, 21, v19
	v_add_nc_u32_e32 v27, 20, v19
	s_delay_alu instid0(VALU_DEP_2) | instskip(NEXT) | instid1(VALU_DEP_2)
	v_lshlrev_b64_e64 v[4:5], v4, -1
	v_lshlrev_b64_e64 v[38:39], v27, 1
	s_delay_alu instid0(VALU_DEP_2) | instskip(NEXT) | instid1(VALU_DEP_3)
	v_bfi_b32 v49, v5, 0, 0
	v_bfi_b32 v48, v4, 0, v6
	v_lshrrev_b64 v[4:5], v19, v[6:7]
	s_delay_alu instid0(VALU_DEP_1) | instskip(NEXT) | instid1(VALU_DEP_3)
	v_mov_b64_e32 v[6:7], v[4:5]
	v_cmpx_eq_u64_e64 v[48:49], v[38:39]
; %bb.7517:                             ;   in Loop: Header=BB6_5693 Depth=2
	v_bfe_u32 v6, v4, 21, 1
	v_mov_b32_e32 v7, v1
	s_delay_alu instid0(VALU_DEP_1) | instskip(NEXT) | instid1(VALU_DEP_1)
	v_add_nc_u64_e32 v[6:7], v[4:5], v[6:7]
	v_add_nc_u64_e32 v[6:7], -1, v[6:7]
; %bb.7518:                             ;   in Loop: Header=BB6_5693 Depth=2
	s_or_b32 exec_lo, exec_lo, s40
	v_add_nc_u32_e32 v0, 0xffffff81, v9
	s_delay_alu instid0(VALU_DEP_2) | instskip(SKIP_2) | instid1(VALU_DEP_3)
	v_and_b32_e32 v6, 0x1fffff, v6
	v_lshrrev_b32_e32 v5, 23, v4
	s_mov_b32 s10, exec_lo
	v_cndmask_b32_e64 v0, v0, 0xffffff82, vcc_lo
	s_delay_alu instid0(VALU_DEP_1) | instskip(SKIP_1) | instid1(VALU_DEP_2)
	v_add3_u32 v7, v19, v0, v5
	v_add_nc_u32_e32 v0, v6, v4
                                        ; implicit-def: $vgpr4_vgpr5
                                        ; implicit-def: $vgpr6
	v_add_nc_u32_e32 v9, 14, v7
	s_delay_alu instid0(VALU_DEP_1)
	v_cmpx_ne_u32_e32 0, v9
	s_xor_b32 s10, exec_lo, s10
; %bb.7519:                             ;   in Loop: Header=BB6_5693 Depth=2
	s_delay_alu instid0(VALU_DEP_3) | instskip(SKIP_1) | instid1(VALU_DEP_1)
	v_cmp_lt_u64_e32 vcc_lo, 0xffffff, v[0:1]
	v_add_nc_u32_e32 v4, 15, v7
	v_cndmask_b32_e32 v6, v9, v4, vcc_lo
	v_cndmask_b32_e64 v4, 0, 1, vcc_lo
	s_delay_alu instid0(VALU_DEP_1)
	v_lshrrev_b64 v[4:5], v4, v[0:1]
; %bb.7520:                             ;   in Loop: Header=BB6_5693 Depth=2
	s_and_not1_saveexec_b32 s10, s10
; %bb.7521:                             ;   in Loop: Header=BB6_5693 Depth=2
	v_mov_b64_e32 v[4:5], v[0:1]
	v_bfe_u32 v6, v0, 23, 1
; %bb.7522:                             ;   in Loop: Header=BB6_5693 Depth=2
	s_or_b32 exec_lo, exec_lo, s10
	s_delay_alu instid0(VALU_DEP_2) | instskip(NEXT) | instid1(VALU_DEP_2)
	v_lshrrev_b64 v[4:5], 21, v[4:5]
	v_cmp_gt_i32_e32 vcc_lo, 32, v6
	v_cmp_ne_u32_e64 s10, 0, v6
                                        ; implicit-def: $vgpr9
	s_delay_alu instid0(VALU_DEP_3) | instskip(NEXT) | instid1(VALU_DEP_1)
	v_dual_cndmask_b32 v5, 0, v5 :: v_dual_cndmask_b32 v4, 3, v4
	v_cmp_ne_u64_e32 vcc_lo, 0, v[4:5]
	s_or_b32 s10, s10, vcc_lo
	s_delay_alu instid0(SALU_CYCLE_1) | instskip(NEXT) | instid1(SALU_CYCLE_1)
	s_and_saveexec_b32 s40, s10
	s_xor_b32 s10, exec_lo, s40
; %bb.7523:                             ;   in Loop: Header=BB6_5693 Depth=2
	v_min_i32_e32 v0, 31, v6
	s_delay_alu instid0(VALU_DEP_1) | instskip(NEXT) | instid1(VALU_DEP_1)
	v_lshl_or_b32 v0, v0, 2, v3
                                        ; implicit-def: $vgpr3
	v_and_or_b32 v9, v4, 3, v0
; %bb.7524:                             ;   in Loop: Header=BB6_5693 Depth=2
	s_and_not1_saveexec_b32 s10, s10
; %bb.7525:                             ;   in Loop: Header=BB6_5693 Depth=2
	v_mov_b32_e32 v9, v3
; %bb.7526:                             ;   in Loop: Header=BB6_5693 Depth=2
	s_or_b32 exec_lo, exec_lo, s10
.LBB6_7527:                             ;   in Loop: Header=BB6_5693 Depth=2
	s_delay_alu instid0(SALU_CYCLE_1)
	s_or_b32 exec_lo, exec_lo, s29
                                        ; implicit-def: $vgpr3
.LBB6_7528:                             ;   in Loop: Header=BB6_5693 Depth=2
	s_and_not1_saveexec_b32 s10, s28
; %bb.7529:                             ;   in Loop: Header=BB6_5693 Depth=2
	v_or_b32_e32 v9, 0x7b, v3
; %bb.7530:                             ;   in Loop: Header=BB6_5693 Depth=2
	s_or_b32 exec_lo, exec_lo, s10
                                        ; implicit-def: $vgpr4
.LBB6_7531:                             ;   in Loop: Header=BB6_5693 Depth=2
	s_and_not1_saveexec_b32 s10, s11
	s_cbranch_execz .LBB6_7537
; %bb.7532:                             ;   in Loop: Header=BB6_5693 Depth=2
	s_mov_b32 s11, exec_lo
                                        ; implicit-def: $vgpr9
	v_cmpx_ne_u64_e32 0, v[0:1]
	s_xor_b32 s11, exec_lo, s11
; %bb.7533:                             ;   in Loop: Header=BB6_5693 Depth=2
	v_lshrrev_b32_e32 v0, 24, v4
                                        ; implicit-def: $vgpr4
	s_delay_alu instid0(VALU_DEP_1)
	v_or_b32_e32 v9, 0x7f, v0
; %bb.7534:                             ;   in Loop: Header=BB6_5693 Depth=2
	s_and_not1_saveexec_b32 s11, s11
; %bb.7535:                             ;   in Loop: Header=BB6_5693 Depth=2
	v_cmp_lt_i32_e32 vcc_lo, -1, v4
	v_cndmask_b32_e64 v9, -4, 0x7c, vcc_lo
; %bb.7536:                             ;   in Loop: Header=BB6_5693 Depth=2
	s_or_b32 exec_lo, exec_lo, s11
.LBB6_7537:                             ;   in Loop: Header=BB6_5693 Depth=2
	s_delay_alu instid0(SALU_CYCLE_1) | instskip(SKIP_3) | instid1(VALU_DEP_2)
	s_or_b32 exec_lo, exec_lo, s10
	v_and_b32_e32 v5, 0xff, v58
	v_dual_mov_b32 v0, 0 :: v_dual_mov_b32 v3, 0
	s_mov_b32 s10, exec_lo
	v_cmpx_ne_u16_e32 0, v5
	s_cbranch_execz .LBB6_7547
; %bb.7538:                             ;   in Loop: Header=BB6_5693 Depth=2
	v_bfrev_b32_e32 v3, 1
	s_mov_b32 s11, exec_lo
	v_cmpx_ne_u16_e32 0x80, v5
	s_cbranch_execz .LBB6_7546
; %bb.7539:                             ;   in Loop: Header=BB6_5693 Depth=2
	v_and_b32_e32 v3, 0x7c, v58
	v_and_b32_e32 v4, 3, v58
	s_delay_alu instid0(VALU_DEP_2) | instskip(SKIP_1) | instid1(SALU_CYCLE_1)
	v_cmp_ne_u32_e32 vcc_lo, 0x7c, v3
                                        ; implicit-def: $vgpr3
	s_and_saveexec_b32 s28, vcc_lo
	s_xor_b32 s28, exec_lo, s28
	s_cbranch_execz .LBB6_7543
; %bb.7540:                             ;   in Loop: Header=BB6_5693 Depth=2
	v_bfe_u32 v3, v5, 2, 5
	s_mov_b32 s29, exec_lo
	s_delay_alu instid0(VALU_DEP_1)
	v_cmpx_eq_u32_e32 0, v3
	s_cbranch_execz .LBB6_7542
; %bb.7541:                             ;   in Loop: Header=BB6_5693 Depth=2
	v_clz_i32_u32_e32 v3, v4
	s_delay_alu instid0(VALU_DEP_1) | instskip(SKIP_1) | instid1(VALU_DEP_2)
	v_min_u32_e32 v3, 32, v3
	v_mov_b32_e32 v59, v1
	v_subrev_nc_u32_e32 v4, 29, v3
	v_sub_nc_u32_e32 v3, 30, v3
	s_delay_alu instid0(VALU_DEP_2) | instskip(NEXT) | instid1(VALU_DEP_1)
	v_lshlrev_b64_e32 v[4:5], v4, v[58:59]
	v_and_b32_e32 v4, 3, v4
.LBB6_7542:                             ;   in Loop: Header=BB6_5693 Depth=2
	s_or_b32 exec_lo, exec_lo, s29
	v_lshlrev_b32_e32 v5, 24, v58
                                        ; implicit-def: $vgpr58
	s_delay_alu instid0(VALU_DEP_1) | instskip(NEXT) | instid1(VALU_DEP_1)
	v_and_b32_e32 v5, 0x80000000, v5
	v_lshl_add_u32 v3, v3, 23, v5
	s_delay_alu instid0(VALU_DEP_1) | instskip(NEXT) | instid1(VALU_DEP_1)
	v_lshl_or_b32 v3, v4, 21, v3
                                        ; implicit-def: $vgpr4
	v_add_nc_u32_e32 v3, 0x38000000, v3
.LBB6_7543:                             ;   in Loop: Header=BB6_5693 Depth=2
	s_and_not1_saveexec_b32 s28, s28
; %bb.7544:                             ;   in Loop: Header=BB6_5693 Depth=2
	v_bfe_i32 v3, v58, 0, 8
	s_delay_alu instid0(VALU_DEP_1) | instskip(SKIP_1) | instid1(VALU_DEP_1)
	v_cmp_lt_i16_e32 vcc_lo, -1, v3
	v_mov_b32_e32 v3, 0x7f800000
	v_cndmask_b32_e32 v3, 0xff800000, v3, vcc_lo
	v_cmp_eq_u32_e32 vcc_lo, 0, v4
	s_delay_alu instid0(VALU_DEP_2)
	v_cndmask_b32_e32 v3, 0x7f800001, v3, vcc_lo
; %bb.7545:                             ;   in Loop: Header=BB6_5693 Depth=2
	s_or_b32 exec_lo, exec_lo, s28
.LBB6_7546:                             ;   in Loop: Header=BB6_5693 Depth=2
	s_delay_alu instid0(SALU_CYCLE_1)
	s_or_b32 exec_lo, exec_lo, s11
.LBB6_7547:                             ;   in Loop: Header=BB6_5693 Depth=2
	s_delay_alu instid0(SALU_CYCLE_1) | instskip(NEXT) | instid1(SALU_CYCLE_1)
	s_or_b32 exec_lo, exec_lo, s10
	s_mov_b32 s10, exec_lo
	s_wait_loadcnt_dscnt 0xe0e
	v_cmpx_ne_u16_e32 0, v50
	s_cbranch_execz .LBB6_7557
; %bb.7548:                             ;   in Loop: Header=BB6_5693 Depth=2
	v_bfrev_b32_e32 v0, 1
	s_mov_b32 s11, exec_lo
	v_cmpx_ne_u16_e32 0xff80, v50
	s_cbranch_execz .LBB6_7556
; %bb.7549:                             ;   in Loop: Header=BB6_5693 Depth=2
	v_and_b32_e32 v0, 0x7c, v50
	v_and_b32_e32 v4, 3, v50
	s_delay_alu instid0(VALU_DEP_2) | instskip(SKIP_1) | instid1(SALU_CYCLE_1)
	v_cmp_ne_u32_e32 vcc_lo, 0x7c, v0
                                        ; implicit-def: $vgpr0
	s_and_saveexec_b32 s28, vcc_lo
	s_xor_b32 s28, exec_lo, s28
	s_cbranch_execz .LBB6_7553
; %bb.7550:                             ;   in Loop: Header=BB6_5693 Depth=2
	v_and_b32_e32 v0, 0xff, v50
	s_mov_b32 s29, exec_lo
	s_delay_alu instid0(VALU_DEP_1) | instskip(NEXT) | instid1(VALU_DEP_1)
	v_bfe_u32 v0, v0, 2, 5
	v_cmpx_eq_u32_e32 0, v0
	s_cbranch_execz .LBB6_7552
; %bb.7551:                             ;   in Loop: Header=BB6_5693 Depth=2
	v_clz_i32_u32_e32 v0, v4
	s_delay_alu instid0(VALU_DEP_1) | instskip(SKIP_1) | instid1(VALU_DEP_2)
	v_min_u32_e32 v0, 32, v0
	v_mov_b32_e32 v51, v1
	v_subrev_nc_u32_e32 v4, 29, v0
	v_sub_nc_u32_e32 v0, 30, v0
	s_delay_alu instid0(VALU_DEP_2) | instskip(NEXT) | instid1(VALU_DEP_1)
	v_lshlrev_b64_e32 v[4:5], v4, v[50:51]
	v_and_b32_e32 v4, 3, v4
.LBB6_7552:                             ;   in Loop: Header=BB6_5693 Depth=2
	s_or_b32 exec_lo, exec_lo, s29
	v_bfe_i32 v5, v50, 0, 16
                                        ; implicit-def: $vgpr50
	s_delay_alu instid0(VALU_DEP_1) | instskip(NEXT) | instid1(VALU_DEP_1)
	v_and_b32_e32 v5, 0x80000000, v5
	v_lshl_add_u32 v0, v0, 23, v5
	s_delay_alu instid0(VALU_DEP_1) | instskip(NEXT) | instid1(VALU_DEP_1)
	v_lshl_or_b32 v0, v4, 21, v0
                                        ; implicit-def: $vgpr4
	v_add_nc_u32_e32 v0, 0x38000000, v0
.LBB6_7553:                             ;   in Loop: Header=BB6_5693 Depth=2
	s_and_not1_saveexec_b32 s28, s28
; %bb.7554:                             ;   in Loop: Header=BB6_5693 Depth=2
	v_cmp_lt_i16_e32 vcc_lo, -1, v50
	v_mov_b32_e32 v0, 0x7f800000
	s_delay_alu instid0(VALU_DEP_1) | instskip(SKIP_1) | instid1(VALU_DEP_2)
	v_cndmask_b32_e32 v0, 0xff800000, v0, vcc_lo
	v_cmp_eq_u32_e32 vcc_lo, 0, v4
	v_cndmask_b32_e32 v0, 0x7f800001, v0, vcc_lo
; %bb.7555:                             ;   in Loop: Header=BB6_5693 Depth=2
	s_or_b32 exec_lo, exec_lo, s28
.LBB6_7556:                             ;   in Loop: Header=BB6_5693 Depth=2
	s_delay_alu instid0(SALU_CYCLE_1)
	s_or_b32 exec_lo, exec_lo, s11
.LBB6_7557:                             ;   in Loop: Header=BB6_5693 Depth=2
	s_delay_alu instid0(SALU_CYCLE_1) | instskip(NEXT) | instid1(VALU_DEP_1)
	s_or_b32 exec_lo, exec_lo, s10
	v_dual_add_f32 v4, v3, v0 :: v_dual_mov_b32 v7, v1
                                        ; implicit-def: $vgpr38
	s_mov_b32 s10, exec_lo
	s_delay_alu instid0(VALU_DEP_1) | instskip(SKIP_1) | instid1(VALU_DEP_2)
	v_and_b32_e32 v6, 0x7f800000, v4
	v_and_b32_e32 v0, 0x7fffff, v4
	v_cmpx_ne_u64_e32 0x7f800000, v[6:7]
	s_xor_b32 s11, exec_lo, s10
	s_cbranch_execz .LBB6_7575
; %bb.7558:                             ;   in Loop: Header=BB6_5693 Depth=2
	v_dual_mov_b32 v7, v1 :: v_dual_lshrrev_b32 v3, 24, v4
	v_and_b32_e32 v6, 0x7fffffff, v4
                                        ; implicit-def: $vgpr38
	s_mov_b32 s10, exec_lo
	s_delay_alu instid0(VALU_DEP_2) | instskip(NEXT) | instid1(VALU_DEP_2)
	v_and_b32_e32 v3, 0x80, v3
	v_cmpx_gt_u64_e32 0x47600001, v[6:7]
	s_xor_b32 s28, exec_lo, s10
	s_cbranch_execz .LBB6_7572
; %bb.7559:                             ;   in Loop: Header=BB6_5693 Depth=2
	v_mov_b32_e32 v38, 0
	s_mov_b32 s29, exec_lo
	v_cmpx_ne_u32_e32 0, v4
	s_cbranch_execz .LBB6_7571
; %bb.7560:                             ;   in Loop: Header=BB6_5693 Depth=2
	v_bfe_u32 v19, v4, 23, 8
	v_or_b32_e32 v6, 0x800000, v0
	s_mov_b32 s40, exec_lo
	s_delay_alu instid0(VALU_DEP_2) | instskip(SKIP_1) | instid1(VALU_DEP_2)
	v_dual_mov_b32 v7, v1 :: v_dual_sub_nc_u32 v4, 0x71, v19
	v_cmp_gt_u32_e32 vcc_lo, 0x72, v19
	v_cndmask_b32_e32 v4, 0, v4, vcc_lo
	v_cmp_eq_u32_e32 vcc_lo, 0, v19
	s_delay_alu instid0(VALU_DEP_2) | instskip(NEXT) | instid1(VALU_DEP_1)
	v_cndmask_b32_e64 v27, v4, 0x70, vcc_lo
	v_dual_cndmask_b32 v6, v6, v0, vcc_lo :: v_dual_add_nc_u32 v4, 21, v27
	v_add_nc_u32_e32 v35, 20, v27
	s_delay_alu instid0(VALU_DEP_2) | instskip(NEXT) | instid1(VALU_DEP_2)
	v_lshlrev_b64_e64 v[4:5], v4, -1
	v_lshlrev_b64_e64 v[38:39], v35, 1
	s_delay_alu instid0(VALU_DEP_2) | instskip(NEXT) | instid1(VALU_DEP_3)
	v_bfi_b32 v49, v5, 0, 0
	v_bfi_b32 v48, v4, 0, v6
	v_lshrrev_b64 v[4:5], v27, v[6:7]
	s_delay_alu instid0(VALU_DEP_1) | instskip(NEXT) | instid1(VALU_DEP_3)
	v_mov_b64_e32 v[6:7], v[4:5]
	v_cmpx_eq_u64_e64 v[48:49], v[38:39]
; %bb.7561:                             ;   in Loop: Header=BB6_5693 Depth=2
	v_bfe_u32 v6, v4, 21, 1
	v_mov_b32_e32 v7, v1
	s_delay_alu instid0(VALU_DEP_1) | instskip(NEXT) | instid1(VALU_DEP_1)
	v_add_nc_u64_e32 v[6:7], v[4:5], v[6:7]
	v_add_nc_u64_e32 v[6:7], -1, v[6:7]
; %bb.7562:                             ;   in Loop: Header=BB6_5693 Depth=2
	s_or_b32 exec_lo, exec_lo, s40
	v_add_nc_u32_e32 v0, 0xffffff81, v19
	s_delay_alu instid0(VALU_DEP_2) | instskip(SKIP_2) | instid1(VALU_DEP_3)
	v_and_b32_e32 v6, 0x1fffff, v6
	v_lshrrev_b32_e32 v5, 23, v4
	s_mov_b32 s10, exec_lo
	v_cndmask_b32_e64 v0, v0, 0xffffff82, vcc_lo
	s_delay_alu instid0(VALU_DEP_1) | instskip(SKIP_1) | instid1(VALU_DEP_2)
	v_add3_u32 v7, v27, v0, v5
	v_add_nc_u32_e32 v0, v6, v4
                                        ; implicit-def: $vgpr4_vgpr5
                                        ; implicit-def: $vgpr6
	v_add_nc_u32_e32 v19, 14, v7
	s_delay_alu instid0(VALU_DEP_1)
	v_cmpx_ne_u32_e32 0, v19
	s_xor_b32 s10, exec_lo, s10
; %bb.7563:                             ;   in Loop: Header=BB6_5693 Depth=2
	s_delay_alu instid0(VALU_DEP_3) | instskip(SKIP_1) | instid1(VALU_DEP_1)
	v_cmp_lt_u64_e32 vcc_lo, 0xffffff, v[0:1]
	v_add_nc_u32_e32 v4, 15, v7
	v_cndmask_b32_e32 v6, v19, v4, vcc_lo
	v_cndmask_b32_e64 v4, 0, 1, vcc_lo
	s_delay_alu instid0(VALU_DEP_1)
	v_lshrrev_b64 v[4:5], v4, v[0:1]
; %bb.7564:                             ;   in Loop: Header=BB6_5693 Depth=2
	s_and_not1_saveexec_b32 s10, s10
; %bb.7565:                             ;   in Loop: Header=BB6_5693 Depth=2
	v_mov_b64_e32 v[4:5], v[0:1]
	v_bfe_u32 v6, v0, 23, 1
; %bb.7566:                             ;   in Loop: Header=BB6_5693 Depth=2
	s_or_b32 exec_lo, exec_lo, s10
	s_delay_alu instid0(VALU_DEP_2) | instskip(NEXT) | instid1(VALU_DEP_2)
	v_lshrrev_b64 v[4:5], 21, v[4:5]
	v_cmp_gt_i32_e32 vcc_lo, 32, v6
	v_cmp_ne_u32_e64 s10, 0, v6
                                        ; implicit-def: $vgpr38
	s_delay_alu instid0(VALU_DEP_3) | instskip(NEXT) | instid1(VALU_DEP_1)
	v_dual_cndmask_b32 v5, 0, v5 :: v_dual_cndmask_b32 v4, 3, v4
	v_cmp_ne_u64_e32 vcc_lo, 0, v[4:5]
	s_or_b32 s10, s10, vcc_lo
	s_delay_alu instid0(SALU_CYCLE_1) | instskip(NEXT) | instid1(SALU_CYCLE_1)
	s_and_saveexec_b32 s40, s10
	s_xor_b32 s10, exec_lo, s40
; %bb.7567:                             ;   in Loop: Header=BB6_5693 Depth=2
	v_min_i32_e32 v0, 31, v6
	s_delay_alu instid0(VALU_DEP_1) | instskip(NEXT) | instid1(VALU_DEP_1)
	v_lshl_or_b32 v0, v0, 2, v3
                                        ; implicit-def: $vgpr3
	v_and_or_b32 v38, v4, 3, v0
; %bb.7568:                             ;   in Loop: Header=BB6_5693 Depth=2
	s_and_not1_saveexec_b32 s10, s10
; %bb.7569:                             ;   in Loop: Header=BB6_5693 Depth=2
	v_mov_b32_e32 v38, v3
; %bb.7570:                             ;   in Loop: Header=BB6_5693 Depth=2
	s_or_b32 exec_lo, exec_lo, s10
.LBB6_7571:                             ;   in Loop: Header=BB6_5693 Depth=2
	s_delay_alu instid0(SALU_CYCLE_1)
	s_or_b32 exec_lo, exec_lo, s29
                                        ; implicit-def: $vgpr3
.LBB6_7572:                             ;   in Loop: Header=BB6_5693 Depth=2
	s_and_not1_saveexec_b32 s10, s28
; %bb.7573:                             ;   in Loop: Header=BB6_5693 Depth=2
	v_or_b32_e32 v38, 0x7b, v3
; %bb.7574:                             ;   in Loop: Header=BB6_5693 Depth=2
	s_or_b32 exec_lo, exec_lo, s10
                                        ; implicit-def: $vgpr4
.LBB6_7575:                             ;   in Loop: Header=BB6_5693 Depth=2
	s_and_not1_saveexec_b32 s10, s11
	s_cbranch_execz .LBB6_7581
; %bb.7576:                             ;   in Loop: Header=BB6_5693 Depth=2
	s_mov_b32 s11, exec_lo
                                        ; implicit-def: $vgpr38
	v_cmpx_ne_u64_e32 0, v[0:1]
	s_xor_b32 s11, exec_lo, s11
; %bb.7577:                             ;   in Loop: Header=BB6_5693 Depth=2
	v_lshrrev_b32_e32 v0, 24, v4
                                        ; implicit-def: $vgpr4
	s_delay_alu instid0(VALU_DEP_1)
	v_or_b32_e32 v38, 0x7f, v0
; %bb.7578:                             ;   in Loop: Header=BB6_5693 Depth=2
	s_and_not1_saveexec_b32 s11, s11
; %bb.7579:                             ;   in Loop: Header=BB6_5693 Depth=2
	v_cmp_lt_i32_e32 vcc_lo, -1, v4
	v_cndmask_b32_e64 v38, -4, 0x7c, vcc_lo
; %bb.7580:                             ;   in Loop: Header=BB6_5693 Depth=2
	s_or_b32 exec_lo, exec_lo, s11
.LBB6_7581:                             ;   in Loop: Header=BB6_5693 Depth=2
	s_delay_alu instid0(SALU_CYCLE_1) | instskip(SKIP_3) | instid1(VALU_DEP_2)
	s_or_b32 exec_lo, exec_lo, s10
	v_and_b32_e32 v5, 0xff, v56
	v_dual_mov_b32 v0, 0 :: v_dual_mov_b32 v3, 0
	s_mov_b32 s10, exec_lo
	v_cmpx_ne_u16_e32 0, v5
	s_cbranch_execz .LBB6_7591
; %bb.7582:                             ;   in Loop: Header=BB6_5693 Depth=2
	v_bfrev_b32_e32 v3, 1
	s_mov_b32 s11, exec_lo
	v_cmpx_ne_u16_e32 0x80, v5
	s_cbranch_execz .LBB6_7590
; %bb.7583:                             ;   in Loop: Header=BB6_5693 Depth=2
	v_and_b32_e32 v3, 0x7c, v56
	v_and_b32_e32 v4, 3, v56
	s_delay_alu instid0(VALU_DEP_2) | instskip(SKIP_1) | instid1(SALU_CYCLE_1)
	v_cmp_ne_u32_e32 vcc_lo, 0x7c, v3
                                        ; implicit-def: $vgpr3
	s_and_saveexec_b32 s28, vcc_lo
	s_xor_b32 s28, exec_lo, s28
	s_cbranch_execz .LBB6_7587
; %bb.7584:                             ;   in Loop: Header=BB6_5693 Depth=2
	v_bfe_u32 v3, v5, 2, 5
	s_mov_b32 s29, exec_lo
	s_delay_alu instid0(VALU_DEP_1)
	v_cmpx_eq_u32_e32 0, v3
	s_cbranch_execz .LBB6_7586
; %bb.7585:                             ;   in Loop: Header=BB6_5693 Depth=2
	v_clz_i32_u32_e32 v3, v4
	s_delay_alu instid0(VALU_DEP_1) | instskip(SKIP_1) | instid1(VALU_DEP_2)
	v_min_u32_e32 v3, 32, v3
	v_mov_b32_e32 v57, v1
	v_subrev_nc_u32_e32 v4, 29, v3
	v_sub_nc_u32_e32 v3, 30, v3
	s_delay_alu instid0(VALU_DEP_2) | instskip(NEXT) | instid1(VALU_DEP_1)
	v_lshlrev_b64_e32 v[4:5], v4, v[56:57]
	v_and_b32_e32 v4, 3, v4
.LBB6_7586:                             ;   in Loop: Header=BB6_5693 Depth=2
	s_or_b32 exec_lo, exec_lo, s29
	v_lshlrev_b32_e32 v5, 24, v56
                                        ; implicit-def: $vgpr56
	s_delay_alu instid0(VALU_DEP_1) | instskip(NEXT) | instid1(VALU_DEP_1)
	v_and_b32_e32 v5, 0x80000000, v5
	v_lshl_add_u32 v3, v3, 23, v5
	s_delay_alu instid0(VALU_DEP_1) | instskip(NEXT) | instid1(VALU_DEP_1)
	v_lshl_or_b32 v3, v4, 21, v3
                                        ; implicit-def: $vgpr4
	v_add_nc_u32_e32 v3, 0x38000000, v3
.LBB6_7587:                             ;   in Loop: Header=BB6_5693 Depth=2
	s_and_not1_saveexec_b32 s28, s28
; %bb.7588:                             ;   in Loop: Header=BB6_5693 Depth=2
	v_bfe_i32 v3, v56, 0, 8
	s_delay_alu instid0(VALU_DEP_1) | instskip(SKIP_1) | instid1(VALU_DEP_1)
	v_cmp_lt_i16_e32 vcc_lo, -1, v3
	v_mov_b32_e32 v3, 0x7f800000
	v_cndmask_b32_e32 v3, 0xff800000, v3, vcc_lo
	v_cmp_eq_u32_e32 vcc_lo, 0, v4
	s_delay_alu instid0(VALU_DEP_2)
	v_cndmask_b32_e32 v3, 0x7f800001, v3, vcc_lo
; %bb.7589:                             ;   in Loop: Header=BB6_5693 Depth=2
	s_or_b32 exec_lo, exec_lo, s28
.LBB6_7590:                             ;   in Loop: Header=BB6_5693 Depth=2
	s_delay_alu instid0(SALU_CYCLE_1)
	s_or_b32 exec_lo, exec_lo, s11
.LBB6_7591:                             ;   in Loop: Header=BB6_5693 Depth=2
	s_delay_alu instid0(SALU_CYCLE_1) | instskip(NEXT) | instid1(SALU_CYCLE_1)
	s_or_b32 exec_lo, exec_lo, s10
	s_mov_b32 s10, exec_lo
	s_wait_loadcnt_dscnt 0xd0d
	v_cmpx_ne_u16_e32 0, v82
	s_cbranch_execz .LBB6_7601
; %bb.7592:                             ;   in Loop: Header=BB6_5693 Depth=2
	v_bfrev_b32_e32 v0, 1
	s_mov_b32 s11, exec_lo
	v_cmpx_ne_u16_e32 0xff80, v82
	s_cbranch_execz .LBB6_7600
; %bb.7593:                             ;   in Loop: Header=BB6_5693 Depth=2
	v_and_b32_e32 v0, 0x7c, v82
	v_and_b32_e32 v4, 3, v82
	s_delay_alu instid0(VALU_DEP_2) | instskip(SKIP_1) | instid1(SALU_CYCLE_1)
	v_cmp_ne_u32_e32 vcc_lo, 0x7c, v0
                                        ; implicit-def: $vgpr0
	s_and_saveexec_b32 s28, vcc_lo
	s_xor_b32 s28, exec_lo, s28
	s_cbranch_execz .LBB6_7597
; %bb.7594:                             ;   in Loop: Header=BB6_5693 Depth=2
	v_and_b32_e32 v0, 0xff, v82
	s_mov_b32 s29, exec_lo
	s_delay_alu instid0(VALU_DEP_1) | instskip(NEXT) | instid1(VALU_DEP_1)
	v_bfe_u32 v0, v0, 2, 5
	v_cmpx_eq_u32_e32 0, v0
	s_cbranch_execz .LBB6_7596
; %bb.7595:                             ;   in Loop: Header=BB6_5693 Depth=2
	v_clz_i32_u32_e32 v0, v4
	s_delay_alu instid0(VALU_DEP_1) | instskip(SKIP_1) | instid1(VALU_DEP_2)
	v_min_u32_e32 v0, 32, v0
	v_mov_b32_e32 v83, v1
	v_subrev_nc_u32_e32 v4, 29, v0
	v_sub_nc_u32_e32 v0, 30, v0
	s_delay_alu instid0(VALU_DEP_2) | instskip(NEXT) | instid1(VALU_DEP_1)
	v_lshlrev_b64_e32 v[4:5], v4, v[82:83]
	v_and_b32_e32 v4, 3, v4
.LBB6_7596:                             ;   in Loop: Header=BB6_5693 Depth=2
	s_or_b32 exec_lo, exec_lo, s29
	v_bfe_i32 v5, v82, 0, 16
                                        ; implicit-def: $vgpr82
	s_delay_alu instid0(VALU_DEP_1) | instskip(NEXT) | instid1(VALU_DEP_1)
	v_and_b32_e32 v5, 0x80000000, v5
	v_lshl_add_u32 v0, v0, 23, v5
	s_delay_alu instid0(VALU_DEP_1) | instskip(NEXT) | instid1(VALU_DEP_1)
	v_lshl_or_b32 v0, v4, 21, v0
                                        ; implicit-def: $vgpr4
	v_add_nc_u32_e32 v0, 0x38000000, v0
.LBB6_7597:                             ;   in Loop: Header=BB6_5693 Depth=2
	s_and_not1_saveexec_b32 s28, s28
; %bb.7598:                             ;   in Loop: Header=BB6_5693 Depth=2
	v_cmp_lt_i16_e32 vcc_lo, -1, v82
	v_mov_b32_e32 v0, 0x7f800000
	s_delay_alu instid0(VALU_DEP_1) | instskip(SKIP_1) | instid1(VALU_DEP_2)
	v_cndmask_b32_e32 v0, 0xff800000, v0, vcc_lo
	v_cmp_eq_u32_e32 vcc_lo, 0, v4
	v_cndmask_b32_e32 v0, 0x7f800001, v0, vcc_lo
; %bb.7599:                             ;   in Loop: Header=BB6_5693 Depth=2
	s_or_b32 exec_lo, exec_lo, s28
.LBB6_7600:                             ;   in Loop: Header=BB6_5693 Depth=2
	s_delay_alu instid0(SALU_CYCLE_1)
	s_or_b32 exec_lo, exec_lo, s11
.LBB6_7601:                             ;   in Loop: Header=BB6_5693 Depth=2
	s_delay_alu instid0(SALU_CYCLE_1) | instskip(NEXT) | instid1(VALU_DEP_1)
	s_or_b32 exec_lo, exec_lo, s10
	v_dual_add_f32 v4, v3, v0 :: v_dual_mov_b32 v7, v1
                                        ; implicit-def: $vgpr39
	s_mov_b32 s10, exec_lo
	s_delay_alu instid0(VALU_DEP_1) | instskip(SKIP_1) | instid1(VALU_DEP_2)
	v_and_b32_e32 v6, 0x7f800000, v4
	v_and_b32_e32 v0, 0x7fffff, v4
	v_cmpx_ne_u64_e32 0x7f800000, v[6:7]
	s_xor_b32 s11, exec_lo, s10
	s_cbranch_execz .LBB6_7619
; %bb.7602:                             ;   in Loop: Header=BB6_5693 Depth=2
	v_dual_mov_b32 v7, v1 :: v_dual_lshrrev_b32 v3, 24, v4
	v_and_b32_e32 v6, 0x7fffffff, v4
                                        ; implicit-def: $vgpr39
	s_mov_b32 s10, exec_lo
	s_delay_alu instid0(VALU_DEP_2) | instskip(NEXT) | instid1(VALU_DEP_2)
	v_and_b32_e32 v3, 0x80, v3
	v_cmpx_gt_u64_e32 0x47600001, v[6:7]
	s_xor_b32 s28, exec_lo, s10
	s_cbranch_execz .LBB6_7616
; %bb.7603:                             ;   in Loop: Header=BB6_5693 Depth=2
	v_mov_b32_e32 v39, 0
	s_mov_b32 s29, exec_lo
	v_cmpx_ne_u32_e32 0, v4
	s_cbranch_execz .LBB6_7615
; %bb.7604:                             ;   in Loop: Header=BB6_5693 Depth=2
	v_bfe_u32 v19, v4, 23, 8
	v_or_b32_e32 v6, 0x800000, v0
	s_mov_b32 s40, exec_lo
	s_delay_alu instid0(VALU_DEP_2) | instskip(SKIP_1) | instid1(VALU_DEP_2)
	v_dual_mov_b32 v7, v1 :: v_dual_sub_nc_u32 v4, 0x71, v19
	v_cmp_gt_u32_e32 vcc_lo, 0x72, v19
	v_cndmask_b32_e32 v4, 0, v4, vcc_lo
	v_cmp_eq_u32_e32 vcc_lo, 0, v19
	s_delay_alu instid0(VALU_DEP_2) | instskip(NEXT) | instid1(VALU_DEP_1)
	v_cndmask_b32_e64 v27, v4, 0x70, vcc_lo
	v_dual_cndmask_b32 v6, v6, v0, vcc_lo :: v_dual_add_nc_u32 v4, 21, v27
	v_add_nc_u32_e32 v35, 20, v27
	s_delay_alu instid0(VALU_DEP_2) | instskip(NEXT) | instid1(VALU_DEP_2)
	v_lshlrev_b64_e64 v[4:5], v4, -1
	v_lshlrev_b64_e64 v[48:49], v35, 1
	s_delay_alu instid0(VALU_DEP_2) | instskip(NEXT) | instid1(VALU_DEP_3)
	v_bfi_b32 v51, v5, 0, 0
	v_bfi_b32 v50, v4, 0, v6
	v_lshrrev_b64 v[4:5], v27, v[6:7]
	s_delay_alu instid0(VALU_DEP_1) | instskip(NEXT) | instid1(VALU_DEP_3)
	v_mov_b64_e32 v[6:7], v[4:5]
	v_cmpx_eq_u64_e64 v[50:51], v[48:49]
; %bb.7605:                             ;   in Loop: Header=BB6_5693 Depth=2
	v_bfe_u32 v6, v4, 21, 1
	v_mov_b32_e32 v7, v1
	s_delay_alu instid0(VALU_DEP_1) | instskip(NEXT) | instid1(VALU_DEP_1)
	v_add_nc_u64_e32 v[6:7], v[4:5], v[6:7]
	v_add_nc_u64_e32 v[6:7], -1, v[6:7]
; %bb.7606:                             ;   in Loop: Header=BB6_5693 Depth=2
	s_or_b32 exec_lo, exec_lo, s40
	v_add_nc_u32_e32 v0, 0xffffff81, v19
	s_delay_alu instid0(VALU_DEP_2) | instskip(SKIP_2) | instid1(VALU_DEP_3)
	v_and_b32_e32 v6, 0x1fffff, v6
	v_lshrrev_b32_e32 v5, 23, v4
	s_mov_b32 s10, exec_lo
	v_cndmask_b32_e64 v0, v0, 0xffffff82, vcc_lo
	s_delay_alu instid0(VALU_DEP_1) | instskip(SKIP_1) | instid1(VALU_DEP_2)
	v_add3_u32 v7, v27, v0, v5
	v_add_nc_u32_e32 v0, v6, v4
                                        ; implicit-def: $vgpr4_vgpr5
                                        ; implicit-def: $vgpr6
	v_add_nc_u32_e32 v19, 14, v7
	s_delay_alu instid0(VALU_DEP_1)
	v_cmpx_ne_u32_e32 0, v19
	s_xor_b32 s10, exec_lo, s10
; %bb.7607:                             ;   in Loop: Header=BB6_5693 Depth=2
	s_delay_alu instid0(VALU_DEP_3) | instskip(SKIP_1) | instid1(VALU_DEP_1)
	v_cmp_lt_u64_e32 vcc_lo, 0xffffff, v[0:1]
	v_add_nc_u32_e32 v4, 15, v7
	v_cndmask_b32_e32 v6, v19, v4, vcc_lo
	v_cndmask_b32_e64 v4, 0, 1, vcc_lo
	s_delay_alu instid0(VALU_DEP_1)
	v_lshrrev_b64 v[4:5], v4, v[0:1]
; %bb.7608:                             ;   in Loop: Header=BB6_5693 Depth=2
	s_and_not1_saveexec_b32 s10, s10
; %bb.7609:                             ;   in Loop: Header=BB6_5693 Depth=2
	v_mov_b64_e32 v[4:5], v[0:1]
	v_bfe_u32 v6, v0, 23, 1
; %bb.7610:                             ;   in Loop: Header=BB6_5693 Depth=2
	s_or_b32 exec_lo, exec_lo, s10
	s_delay_alu instid0(VALU_DEP_2) | instskip(NEXT) | instid1(VALU_DEP_2)
	v_lshrrev_b64 v[4:5], 21, v[4:5]
	v_cmp_gt_i32_e32 vcc_lo, 32, v6
	v_cmp_ne_u32_e64 s10, 0, v6
                                        ; implicit-def: $vgpr39
	s_delay_alu instid0(VALU_DEP_3) | instskip(NEXT) | instid1(VALU_DEP_1)
	v_dual_cndmask_b32 v5, 0, v5 :: v_dual_cndmask_b32 v4, 3, v4
	v_cmp_ne_u64_e32 vcc_lo, 0, v[4:5]
	s_or_b32 s10, s10, vcc_lo
	s_delay_alu instid0(SALU_CYCLE_1) | instskip(NEXT) | instid1(SALU_CYCLE_1)
	s_and_saveexec_b32 s40, s10
	s_xor_b32 s10, exec_lo, s40
; %bb.7611:                             ;   in Loop: Header=BB6_5693 Depth=2
	v_min_i32_e32 v0, 31, v6
	s_delay_alu instid0(VALU_DEP_1) | instskip(NEXT) | instid1(VALU_DEP_1)
	v_lshl_or_b32 v0, v0, 2, v3
                                        ; implicit-def: $vgpr3
	v_and_or_b32 v39, v4, 3, v0
; %bb.7612:                             ;   in Loop: Header=BB6_5693 Depth=2
	s_and_not1_saveexec_b32 s10, s10
; %bb.7613:                             ;   in Loop: Header=BB6_5693 Depth=2
	v_mov_b32_e32 v39, v3
; %bb.7614:                             ;   in Loop: Header=BB6_5693 Depth=2
	s_or_b32 exec_lo, exec_lo, s10
.LBB6_7615:                             ;   in Loop: Header=BB6_5693 Depth=2
	s_delay_alu instid0(SALU_CYCLE_1)
	s_or_b32 exec_lo, exec_lo, s29
                                        ; implicit-def: $vgpr3
.LBB6_7616:                             ;   in Loop: Header=BB6_5693 Depth=2
	s_and_not1_saveexec_b32 s10, s28
; %bb.7617:                             ;   in Loop: Header=BB6_5693 Depth=2
	v_or_b32_e32 v39, 0x7b, v3
; %bb.7618:                             ;   in Loop: Header=BB6_5693 Depth=2
	s_or_b32 exec_lo, exec_lo, s10
                                        ; implicit-def: $vgpr4
.LBB6_7619:                             ;   in Loop: Header=BB6_5693 Depth=2
	s_and_not1_saveexec_b32 s10, s11
	s_cbranch_execz .LBB6_7625
; %bb.7620:                             ;   in Loop: Header=BB6_5693 Depth=2
	s_mov_b32 s11, exec_lo
                                        ; implicit-def: $vgpr39
	v_cmpx_ne_u64_e32 0, v[0:1]
	s_xor_b32 s11, exec_lo, s11
; %bb.7621:                             ;   in Loop: Header=BB6_5693 Depth=2
	v_lshrrev_b32_e32 v0, 24, v4
                                        ; implicit-def: $vgpr4
	s_delay_alu instid0(VALU_DEP_1)
	v_or_b32_e32 v39, 0x7f, v0
; %bb.7622:                             ;   in Loop: Header=BB6_5693 Depth=2
	s_and_not1_saveexec_b32 s11, s11
; %bb.7623:                             ;   in Loop: Header=BB6_5693 Depth=2
	v_cmp_lt_i32_e32 vcc_lo, -1, v4
	v_cndmask_b32_e64 v39, -4, 0x7c, vcc_lo
; %bb.7624:                             ;   in Loop: Header=BB6_5693 Depth=2
	s_or_b32 exec_lo, exec_lo, s11
.LBB6_7625:                             ;   in Loop: Header=BB6_5693 Depth=2
	s_delay_alu instid0(SALU_CYCLE_1) | instskip(SKIP_3) | instid1(VALU_DEP_2)
	s_or_b32 exec_lo, exec_lo, s10
	v_and_b32_e32 v5, 0xff, v46
	v_dual_mov_b32 v0, 0 :: v_dual_mov_b32 v3, 0
	s_mov_b32 s10, exec_lo
	v_cmpx_ne_u16_e32 0, v5
	s_cbranch_execz .LBB6_7635
; %bb.7626:                             ;   in Loop: Header=BB6_5693 Depth=2
	v_bfrev_b32_e32 v3, 1
	s_mov_b32 s11, exec_lo
	v_cmpx_ne_u16_e32 0x80, v5
	s_cbranch_execz .LBB6_7634
; %bb.7627:                             ;   in Loop: Header=BB6_5693 Depth=2
	v_and_b32_e32 v3, 0x7c, v46
	v_and_b32_e32 v4, 3, v46
	s_delay_alu instid0(VALU_DEP_2) | instskip(SKIP_1) | instid1(SALU_CYCLE_1)
	v_cmp_ne_u32_e32 vcc_lo, 0x7c, v3
                                        ; implicit-def: $vgpr3
	s_and_saveexec_b32 s28, vcc_lo
	s_xor_b32 s28, exec_lo, s28
	s_cbranch_execz .LBB6_7631
; %bb.7628:                             ;   in Loop: Header=BB6_5693 Depth=2
	v_bfe_u32 v3, v5, 2, 5
	s_mov_b32 s29, exec_lo
	s_delay_alu instid0(VALU_DEP_1)
	v_cmpx_eq_u32_e32 0, v3
	s_cbranch_execz .LBB6_7630
; %bb.7629:                             ;   in Loop: Header=BB6_5693 Depth=2
	v_clz_i32_u32_e32 v3, v4
	s_delay_alu instid0(VALU_DEP_1) | instskip(SKIP_1) | instid1(VALU_DEP_2)
	v_min_u32_e32 v3, 32, v3
	v_mov_b32_e32 v47, v1
	v_subrev_nc_u32_e32 v4, 29, v3
	v_sub_nc_u32_e32 v3, 30, v3
	s_delay_alu instid0(VALU_DEP_2) | instskip(NEXT) | instid1(VALU_DEP_1)
	v_lshlrev_b64_e32 v[4:5], v4, v[46:47]
	v_and_b32_e32 v4, 3, v4
.LBB6_7630:                             ;   in Loop: Header=BB6_5693 Depth=2
	s_or_b32 exec_lo, exec_lo, s29
	v_lshlrev_b32_e32 v5, 24, v46
                                        ; implicit-def: $vgpr46
	s_delay_alu instid0(VALU_DEP_1) | instskip(NEXT) | instid1(VALU_DEP_1)
	v_and_b32_e32 v5, 0x80000000, v5
	v_lshl_add_u32 v3, v3, 23, v5
	s_delay_alu instid0(VALU_DEP_1) | instskip(NEXT) | instid1(VALU_DEP_1)
	v_lshl_or_b32 v3, v4, 21, v3
                                        ; implicit-def: $vgpr4
	v_add_nc_u32_e32 v3, 0x38000000, v3
.LBB6_7631:                             ;   in Loop: Header=BB6_5693 Depth=2
	s_and_not1_saveexec_b32 s28, s28
; %bb.7632:                             ;   in Loop: Header=BB6_5693 Depth=2
	v_bfe_i32 v3, v46, 0, 8
	s_delay_alu instid0(VALU_DEP_1) | instskip(SKIP_1) | instid1(VALU_DEP_1)
	v_cmp_lt_i16_e32 vcc_lo, -1, v3
	v_mov_b32_e32 v3, 0x7f800000
	v_cndmask_b32_e32 v3, 0xff800000, v3, vcc_lo
	v_cmp_eq_u32_e32 vcc_lo, 0, v4
	s_delay_alu instid0(VALU_DEP_2)
	v_cndmask_b32_e32 v3, 0x7f800001, v3, vcc_lo
; %bb.7633:                             ;   in Loop: Header=BB6_5693 Depth=2
	s_or_b32 exec_lo, exec_lo, s28
.LBB6_7634:                             ;   in Loop: Header=BB6_5693 Depth=2
	s_delay_alu instid0(SALU_CYCLE_1)
	s_or_b32 exec_lo, exec_lo, s11
.LBB6_7635:                             ;   in Loop: Header=BB6_5693 Depth=2
	s_delay_alu instid0(SALU_CYCLE_1) | instskip(NEXT) | instid1(SALU_CYCLE_1)
	s_or_b32 exec_lo, exec_lo, s10
	s_mov_b32 s10, exec_lo
	s_wait_loadcnt_dscnt 0xc0c
	v_cmpx_ne_u16_e32 0, v98
	s_cbranch_execz .LBB6_7645
; %bb.7636:                             ;   in Loop: Header=BB6_5693 Depth=2
	v_bfrev_b32_e32 v0, 1
	s_mov_b32 s11, exec_lo
	v_cmpx_ne_u16_e32 0xff80, v98
	s_cbranch_execz .LBB6_7644
; %bb.7637:                             ;   in Loop: Header=BB6_5693 Depth=2
	v_and_b32_e32 v0, 0x7c, v98
	v_and_b32_e32 v4, 3, v98
	s_delay_alu instid0(VALU_DEP_2) | instskip(SKIP_1) | instid1(SALU_CYCLE_1)
	v_cmp_ne_u32_e32 vcc_lo, 0x7c, v0
                                        ; implicit-def: $vgpr0
	s_and_saveexec_b32 s28, vcc_lo
	s_xor_b32 s28, exec_lo, s28
	s_cbranch_execz .LBB6_7641
; %bb.7638:                             ;   in Loop: Header=BB6_5693 Depth=2
	v_and_b32_e32 v0, 0xff, v98
	s_mov_b32 s29, exec_lo
	s_delay_alu instid0(VALU_DEP_1) | instskip(NEXT) | instid1(VALU_DEP_1)
	v_bfe_u32 v0, v0, 2, 5
	v_cmpx_eq_u32_e32 0, v0
	s_cbranch_execz .LBB6_7640
; %bb.7639:                             ;   in Loop: Header=BB6_5693 Depth=2
	v_clz_i32_u32_e32 v0, v4
	s_delay_alu instid0(VALU_DEP_1) | instskip(SKIP_1) | instid1(VALU_DEP_2)
	v_min_u32_e32 v0, 32, v0
	v_mov_b32_e32 v99, v1
	v_subrev_nc_u32_e32 v4, 29, v0
	v_sub_nc_u32_e32 v0, 30, v0
	s_delay_alu instid0(VALU_DEP_2) | instskip(NEXT) | instid1(VALU_DEP_1)
	v_lshlrev_b64_e32 v[4:5], v4, v[98:99]
	v_and_b32_e32 v4, 3, v4
.LBB6_7640:                             ;   in Loop: Header=BB6_5693 Depth=2
	s_or_b32 exec_lo, exec_lo, s29
	v_bfe_i32 v5, v98, 0, 16
                                        ; implicit-def: $vgpr98
	s_delay_alu instid0(VALU_DEP_1) | instskip(NEXT) | instid1(VALU_DEP_1)
	v_and_b32_e32 v5, 0x80000000, v5
	v_lshl_add_u32 v0, v0, 23, v5
	s_delay_alu instid0(VALU_DEP_1) | instskip(NEXT) | instid1(VALU_DEP_1)
	v_lshl_or_b32 v0, v4, 21, v0
                                        ; implicit-def: $vgpr4
	v_add_nc_u32_e32 v0, 0x38000000, v0
.LBB6_7641:                             ;   in Loop: Header=BB6_5693 Depth=2
	s_and_not1_saveexec_b32 s28, s28
; %bb.7642:                             ;   in Loop: Header=BB6_5693 Depth=2
	v_cmp_lt_i16_e32 vcc_lo, -1, v98
	v_mov_b32_e32 v0, 0x7f800000
	s_delay_alu instid0(VALU_DEP_1) | instskip(SKIP_1) | instid1(VALU_DEP_2)
	v_cndmask_b32_e32 v0, 0xff800000, v0, vcc_lo
	v_cmp_eq_u32_e32 vcc_lo, 0, v4
	v_cndmask_b32_e32 v0, 0x7f800001, v0, vcc_lo
; %bb.7643:                             ;   in Loop: Header=BB6_5693 Depth=2
	s_or_b32 exec_lo, exec_lo, s28
.LBB6_7644:                             ;   in Loop: Header=BB6_5693 Depth=2
	s_delay_alu instid0(SALU_CYCLE_1)
	s_or_b32 exec_lo, exec_lo, s11
.LBB6_7645:                             ;   in Loop: Header=BB6_5693 Depth=2
	s_delay_alu instid0(SALU_CYCLE_1) | instskip(NEXT) | instid1(VALU_DEP_1)
	s_or_b32 exec_lo, exec_lo, s10
	v_dual_add_f32 v4, v3, v0 :: v_dual_mov_b32 v7, v1
                                        ; implicit-def: $vgpr48
	s_mov_b32 s10, exec_lo
	s_delay_alu instid0(VALU_DEP_1) | instskip(SKIP_1) | instid1(VALU_DEP_2)
	v_and_b32_e32 v6, 0x7f800000, v4
	v_and_b32_e32 v0, 0x7fffff, v4
	v_cmpx_ne_u64_e32 0x7f800000, v[6:7]
	s_xor_b32 s11, exec_lo, s10
	s_cbranch_execz .LBB6_7663
; %bb.7646:                             ;   in Loop: Header=BB6_5693 Depth=2
	v_dual_mov_b32 v7, v1 :: v_dual_lshrrev_b32 v3, 24, v4
	v_and_b32_e32 v6, 0x7fffffff, v4
                                        ; implicit-def: $vgpr48
	s_mov_b32 s10, exec_lo
	s_delay_alu instid0(VALU_DEP_2) | instskip(NEXT) | instid1(VALU_DEP_2)
	v_and_b32_e32 v3, 0x80, v3
	v_cmpx_gt_u64_e32 0x47600001, v[6:7]
	s_xor_b32 s28, exec_lo, s10
	s_cbranch_execz .LBB6_7660
; %bb.7647:                             ;   in Loop: Header=BB6_5693 Depth=2
	v_mov_b32_e32 v48, 0
	s_mov_b32 s29, exec_lo
	v_cmpx_ne_u32_e32 0, v4
	s_cbranch_execz .LBB6_7659
; %bb.7648:                             ;   in Loop: Header=BB6_5693 Depth=2
	v_bfe_u32 v19, v4, 23, 8
	v_or_b32_e32 v6, 0x800000, v0
	s_mov_b32 s40, exec_lo
	s_delay_alu instid0(VALU_DEP_2) | instskip(SKIP_1) | instid1(VALU_DEP_2)
	v_dual_mov_b32 v7, v1 :: v_dual_sub_nc_u32 v4, 0x71, v19
	v_cmp_gt_u32_e32 vcc_lo, 0x72, v19
	v_cndmask_b32_e32 v4, 0, v4, vcc_lo
	v_cmp_eq_u32_e32 vcc_lo, 0, v19
	s_delay_alu instid0(VALU_DEP_2) | instskip(NEXT) | instid1(VALU_DEP_1)
	v_cndmask_b32_e64 v27, v4, 0x70, vcc_lo
	v_dual_cndmask_b32 v6, v6, v0, vcc_lo :: v_dual_add_nc_u32 v4, 21, v27
	v_add_nc_u32_e32 v35, 20, v27
	s_delay_alu instid0(VALU_DEP_2) | instskip(NEXT) | instid1(VALU_DEP_2)
	v_lshlrev_b64_e64 v[4:5], v4, -1
	v_lshlrev_b64_e64 v[48:49], v35, 1
	s_delay_alu instid0(VALU_DEP_2) | instskip(NEXT) | instid1(VALU_DEP_3)
	v_bfi_b32 v51, v5, 0, 0
	v_bfi_b32 v50, v4, 0, v6
	v_lshrrev_b64 v[4:5], v27, v[6:7]
	s_delay_alu instid0(VALU_DEP_1) | instskip(NEXT) | instid1(VALU_DEP_3)
	v_mov_b64_e32 v[6:7], v[4:5]
	v_cmpx_eq_u64_e64 v[50:51], v[48:49]
; %bb.7649:                             ;   in Loop: Header=BB6_5693 Depth=2
	v_bfe_u32 v6, v4, 21, 1
	v_mov_b32_e32 v7, v1
	s_delay_alu instid0(VALU_DEP_1) | instskip(NEXT) | instid1(VALU_DEP_1)
	v_add_nc_u64_e32 v[6:7], v[4:5], v[6:7]
	v_add_nc_u64_e32 v[6:7], -1, v[6:7]
; %bb.7650:                             ;   in Loop: Header=BB6_5693 Depth=2
	s_or_b32 exec_lo, exec_lo, s40
	v_add_nc_u32_e32 v0, 0xffffff81, v19
	s_delay_alu instid0(VALU_DEP_2) | instskip(SKIP_2) | instid1(VALU_DEP_3)
	v_and_b32_e32 v6, 0x1fffff, v6
	v_lshrrev_b32_e32 v5, 23, v4
	s_mov_b32 s10, exec_lo
	v_cndmask_b32_e64 v0, v0, 0xffffff82, vcc_lo
	s_delay_alu instid0(VALU_DEP_1) | instskip(SKIP_1) | instid1(VALU_DEP_2)
	v_add3_u32 v7, v27, v0, v5
	v_add_nc_u32_e32 v0, v6, v4
                                        ; implicit-def: $vgpr4_vgpr5
                                        ; implicit-def: $vgpr6
	v_add_nc_u32_e32 v19, 14, v7
	s_delay_alu instid0(VALU_DEP_1)
	v_cmpx_ne_u32_e32 0, v19
	s_xor_b32 s10, exec_lo, s10
; %bb.7651:                             ;   in Loop: Header=BB6_5693 Depth=2
	s_delay_alu instid0(VALU_DEP_3) | instskip(SKIP_1) | instid1(VALU_DEP_1)
	v_cmp_lt_u64_e32 vcc_lo, 0xffffff, v[0:1]
	v_add_nc_u32_e32 v4, 15, v7
	v_cndmask_b32_e32 v6, v19, v4, vcc_lo
	v_cndmask_b32_e64 v4, 0, 1, vcc_lo
	s_delay_alu instid0(VALU_DEP_1)
	v_lshrrev_b64 v[4:5], v4, v[0:1]
; %bb.7652:                             ;   in Loop: Header=BB6_5693 Depth=2
	s_and_not1_saveexec_b32 s10, s10
; %bb.7653:                             ;   in Loop: Header=BB6_5693 Depth=2
	v_mov_b64_e32 v[4:5], v[0:1]
	v_bfe_u32 v6, v0, 23, 1
; %bb.7654:                             ;   in Loop: Header=BB6_5693 Depth=2
	s_or_b32 exec_lo, exec_lo, s10
	s_delay_alu instid0(VALU_DEP_2) | instskip(NEXT) | instid1(VALU_DEP_2)
	v_lshrrev_b64 v[4:5], 21, v[4:5]
	v_cmp_gt_i32_e32 vcc_lo, 32, v6
	v_cmp_ne_u32_e64 s10, 0, v6
                                        ; implicit-def: $vgpr48
	s_delay_alu instid0(VALU_DEP_3) | instskip(NEXT) | instid1(VALU_DEP_1)
	v_dual_cndmask_b32 v5, 0, v5 :: v_dual_cndmask_b32 v4, 3, v4
	v_cmp_ne_u64_e32 vcc_lo, 0, v[4:5]
	s_or_b32 s10, s10, vcc_lo
	s_delay_alu instid0(SALU_CYCLE_1) | instskip(NEXT) | instid1(SALU_CYCLE_1)
	s_and_saveexec_b32 s40, s10
	s_xor_b32 s10, exec_lo, s40
; %bb.7655:                             ;   in Loop: Header=BB6_5693 Depth=2
	v_min_i32_e32 v0, 31, v6
	s_delay_alu instid0(VALU_DEP_1) | instskip(NEXT) | instid1(VALU_DEP_1)
	v_lshl_or_b32 v0, v0, 2, v3
                                        ; implicit-def: $vgpr3
	v_and_or_b32 v48, v4, 3, v0
; %bb.7656:                             ;   in Loop: Header=BB6_5693 Depth=2
	s_and_not1_saveexec_b32 s10, s10
; %bb.7657:                             ;   in Loop: Header=BB6_5693 Depth=2
	v_mov_b32_e32 v48, v3
; %bb.7658:                             ;   in Loop: Header=BB6_5693 Depth=2
	s_or_b32 exec_lo, exec_lo, s10
.LBB6_7659:                             ;   in Loop: Header=BB6_5693 Depth=2
	s_delay_alu instid0(SALU_CYCLE_1)
	s_or_b32 exec_lo, exec_lo, s29
                                        ; implicit-def: $vgpr3
.LBB6_7660:                             ;   in Loop: Header=BB6_5693 Depth=2
	s_and_not1_saveexec_b32 s10, s28
; %bb.7661:                             ;   in Loop: Header=BB6_5693 Depth=2
	v_or_b32_e32 v48, 0x7b, v3
; %bb.7662:                             ;   in Loop: Header=BB6_5693 Depth=2
	s_or_b32 exec_lo, exec_lo, s10
                                        ; implicit-def: $vgpr4
.LBB6_7663:                             ;   in Loop: Header=BB6_5693 Depth=2
	s_and_not1_saveexec_b32 s10, s11
	s_cbranch_execz .LBB6_7669
; %bb.7664:                             ;   in Loop: Header=BB6_5693 Depth=2
	s_mov_b32 s11, exec_lo
                                        ; implicit-def: $vgpr48
	v_cmpx_ne_u64_e32 0, v[0:1]
	s_xor_b32 s11, exec_lo, s11
; %bb.7665:                             ;   in Loop: Header=BB6_5693 Depth=2
	v_lshrrev_b32_e32 v0, 24, v4
                                        ; implicit-def: $vgpr4
	s_delay_alu instid0(VALU_DEP_1)
	v_or_b32_e32 v48, 0x7f, v0
; %bb.7666:                             ;   in Loop: Header=BB6_5693 Depth=2
	s_and_not1_saveexec_b32 s11, s11
; %bb.7667:                             ;   in Loop: Header=BB6_5693 Depth=2
	v_cmp_lt_i32_e32 vcc_lo, -1, v4
	v_cndmask_b32_e64 v48, -4, 0x7c, vcc_lo
; %bb.7668:                             ;   in Loop: Header=BB6_5693 Depth=2
	s_or_b32 exec_lo, exec_lo, s11
.LBB6_7669:                             ;   in Loop: Header=BB6_5693 Depth=2
	s_delay_alu instid0(SALU_CYCLE_1) | instskip(SKIP_3) | instid1(VALU_DEP_2)
	s_or_b32 exec_lo, exec_lo, s10
	v_and_b32_e32 v5, 0xff, v44
	v_dual_mov_b32 v0, 0 :: v_dual_mov_b32 v3, 0
	s_mov_b32 s10, exec_lo
	v_cmpx_ne_u16_e32 0, v5
	s_cbranch_execz .LBB6_7679
; %bb.7670:                             ;   in Loop: Header=BB6_5693 Depth=2
	v_bfrev_b32_e32 v3, 1
	s_mov_b32 s11, exec_lo
	v_cmpx_ne_u16_e32 0x80, v5
	s_cbranch_execz .LBB6_7678
; %bb.7671:                             ;   in Loop: Header=BB6_5693 Depth=2
	v_and_b32_e32 v3, 0x7c, v44
	v_and_b32_e32 v4, 3, v44
	s_delay_alu instid0(VALU_DEP_2) | instskip(SKIP_1) | instid1(SALU_CYCLE_1)
	v_cmp_ne_u32_e32 vcc_lo, 0x7c, v3
                                        ; implicit-def: $vgpr3
	s_and_saveexec_b32 s28, vcc_lo
	s_xor_b32 s28, exec_lo, s28
	s_cbranch_execz .LBB6_7675
; %bb.7672:                             ;   in Loop: Header=BB6_5693 Depth=2
	v_bfe_u32 v3, v5, 2, 5
	s_mov_b32 s29, exec_lo
	s_delay_alu instid0(VALU_DEP_1)
	v_cmpx_eq_u32_e32 0, v3
	s_cbranch_execz .LBB6_7674
; %bb.7673:                             ;   in Loop: Header=BB6_5693 Depth=2
	v_clz_i32_u32_e32 v3, v4
	s_delay_alu instid0(VALU_DEP_1) | instskip(SKIP_1) | instid1(VALU_DEP_2)
	v_min_u32_e32 v3, 32, v3
	v_mov_b32_e32 v45, v1
	v_subrev_nc_u32_e32 v4, 29, v3
	v_sub_nc_u32_e32 v3, 30, v3
	s_delay_alu instid0(VALU_DEP_2) | instskip(NEXT) | instid1(VALU_DEP_1)
	v_lshlrev_b64_e32 v[4:5], v4, v[44:45]
	v_and_b32_e32 v4, 3, v4
.LBB6_7674:                             ;   in Loop: Header=BB6_5693 Depth=2
	s_or_b32 exec_lo, exec_lo, s29
	v_lshlrev_b32_e32 v5, 24, v44
                                        ; implicit-def: $vgpr44
	s_delay_alu instid0(VALU_DEP_1) | instskip(NEXT) | instid1(VALU_DEP_1)
	v_and_b32_e32 v5, 0x80000000, v5
	v_lshl_add_u32 v3, v3, 23, v5
	s_delay_alu instid0(VALU_DEP_1) | instskip(NEXT) | instid1(VALU_DEP_1)
	v_lshl_or_b32 v3, v4, 21, v3
                                        ; implicit-def: $vgpr4
	v_add_nc_u32_e32 v3, 0x38000000, v3
.LBB6_7675:                             ;   in Loop: Header=BB6_5693 Depth=2
	s_and_not1_saveexec_b32 s28, s28
; %bb.7676:                             ;   in Loop: Header=BB6_5693 Depth=2
	v_bfe_i32 v3, v44, 0, 8
	s_delay_alu instid0(VALU_DEP_1) | instskip(SKIP_1) | instid1(VALU_DEP_1)
	v_cmp_lt_i16_e32 vcc_lo, -1, v3
	v_mov_b32_e32 v3, 0x7f800000
	v_cndmask_b32_e32 v3, 0xff800000, v3, vcc_lo
	v_cmp_eq_u32_e32 vcc_lo, 0, v4
	s_delay_alu instid0(VALU_DEP_2)
	v_cndmask_b32_e32 v3, 0x7f800001, v3, vcc_lo
; %bb.7677:                             ;   in Loop: Header=BB6_5693 Depth=2
	s_or_b32 exec_lo, exec_lo, s28
.LBB6_7678:                             ;   in Loop: Header=BB6_5693 Depth=2
	s_delay_alu instid0(SALU_CYCLE_1)
	s_or_b32 exec_lo, exec_lo, s11
.LBB6_7679:                             ;   in Loop: Header=BB6_5693 Depth=2
	s_delay_alu instid0(SALU_CYCLE_1) | instskip(NEXT) | instid1(SALU_CYCLE_1)
	s_or_b32 exec_lo, exec_lo, s10
	s_mov_b32 s10, exec_lo
	s_wait_loadcnt_dscnt 0xb0b
	v_cmpx_ne_u16_e32 0, v70
	s_cbranch_execz .LBB6_7689
; %bb.7680:                             ;   in Loop: Header=BB6_5693 Depth=2
	v_bfrev_b32_e32 v0, 1
	s_mov_b32 s11, exec_lo
	v_cmpx_ne_u16_e32 0xff80, v70
	s_cbranch_execz .LBB6_7688
; %bb.7681:                             ;   in Loop: Header=BB6_5693 Depth=2
	v_and_b32_e32 v0, 0x7c, v70
	v_and_b32_e32 v4, 3, v70
	s_delay_alu instid0(VALU_DEP_2) | instskip(SKIP_1) | instid1(SALU_CYCLE_1)
	v_cmp_ne_u32_e32 vcc_lo, 0x7c, v0
                                        ; implicit-def: $vgpr0
	s_and_saveexec_b32 s28, vcc_lo
	s_xor_b32 s28, exec_lo, s28
	s_cbranch_execz .LBB6_7685
; %bb.7682:                             ;   in Loop: Header=BB6_5693 Depth=2
	v_and_b32_e32 v0, 0xff, v70
	s_mov_b32 s29, exec_lo
	s_delay_alu instid0(VALU_DEP_1) | instskip(NEXT) | instid1(VALU_DEP_1)
	v_bfe_u32 v0, v0, 2, 5
	v_cmpx_eq_u32_e32 0, v0
	s_cbranch_execz .LBB6_7684
; %bb.7683:                             ;   in Loop: Header=BB6_5693 Depth=2
	v_clz_i32_u32_e32 v0, v4
	s_delay_alu instid0(VALU_DEP_1) | instskip(SKIP_1) | instid1(VALU_DEP_2)
	v_min_u32_e32 v0, 32, v0
	v_mov_b32_e32 v71, v1
	v_subrev_nc_u32_e32 v4, 29, v0
	v_sub_nc_u32_e32 v0, 30, v0
	s_delay_alu instid0(VALU_DEP_2) | instskip(NEXT) | instid1(VALU_DEP_1)
	v_lshlrev_b64_e32 v[4:5], v4, v[70:71]
	v_and_b32_e32 v4, 3, v4
.LBB6_7684:                             ;   in Loop: Header=BB6_5693 Depth=2
	s_or_b32 exec_lo, exec_lo, s29
	v_bfe_i32 v5, v70, 0, 16
                                        ; implicit-def: $vgpr70
	s_delay_alu instid0(VALU_DEP_1) | instskip(NEXT) | instid1(VALU_DEP_1)
	v_and_b32_e32 v5, 0x80000000, v5
	v_lshl_add_u32 v0, v0, 23, v5
	s_delay_alu instid0(VALU_DEP_1) | instskip(NEXT) | instid1(VALU_DEP_1)
	v_lshl_or_b32 v0, v4, 21, v0
                                        ; implicit-def: $vgpr4
	v_add_nc_u32_e32 v0, 0x38000000, v0
.LBB6_7685:                             ;   in Loop: Header=BB6_5693 Depth=2
	s_and_not1_saveexec_b32 s28, s28
; %bb.7686:                             ;   in Loop: Header=BB6_5693 Depth=2
	v_cmp_lt_i16_e32 vcc_lo, -1, v70
	v_mov_b32_e32 v0, 0x7f800000
	s_delay_alu instid0(VALU_DEP_1) | instskip(SKIP_1) | instid1(VALU_DEP_2)
	v_cndmask_b32_e32 v0, 0xff800000, v0, vcc_lo
	v_cmp_eq_u32_e32 vcc_lo, 0, v4
	v_cndmask_b32_e32 v0, 0x7f800001, v0, vcc_lo
; %bb.7687:                             ;   in Loop: Header=BB6_5693 Depth=2
	s_or_b32 exec_lo, exec_lo, s28
.LBB6_7688:                             ;   in Loop: Header=BB6_5693 Depth=2
	s_delay_alu instid0(SALU_CYCLE_1)
	s_or_b32 exec_lo, exec_lo, s11
.LBB6_7689:                             ;   in Loop: Header=BB6_5693 Depth=2
	s_delay_alu instid0(SALU_CYCLE_1) | instskip(NEXT) | instid1(VALU_DEP_1)
	s_or_b32 exec_lo, exec_lo, s10
	v_dual_add_f32 v4, v3, v0 :: v_dual_mov_b32 v7, v1
                                        ; implicit-def: $vgpr49
	s_mov_b32 s10, exec_lo
	s_delay_alu instid0(VALU_DEP_1) | instskip(SKIP_1) | instid1(VALU_DEP_2)
	v_and_b32_e32 v6, 0x7f800000, v4
	v_and_b32_e32 v0, 0x7fffff, v4
	v_cmpx_ne_u64_e32 0x7f800000, v[6:7]
	s_xor_b32 s11, exec_lo, s10
	s_cbranch_execz .LBB6_7707
; %bb.7690:                             ;   in Loop: Header=BB6_5693 Depth=2
	v_dual_mov_b32 v7, v1 :: v_dual_lshrrev_b32 v3, 24, v4
	v_and_b32_e32 v6, 0x7fffffff, v4
                                        ; implicit-def: $vgpr49
	s_mov_b32 s10, exec_lo
	s_delay_alu instid0(VALU_DEP_2) | instskip(NEXT) | instid1(VALU_DEP_2)
	v_and_b32_e32 v3, 0x80, v3
	v_cmpx_gt_u64_e32 0x47600001, v[6:7]
	s_xor_b32 s28, exec_lo, s10
	s_cbranch_execz .LBB6_7704
; %bb.7691:                             ;   in Loop: Header=BB6_5693 Depth=2
	v_mov_b32_e32 v49, 0
	s_mov_b32 s29, exec_lo
	v_cmpx_ne_u32_e32 0, v4
	s_cbranch_execz .LBB6_7703
; %bb.7692:                             ;   in Loop: Header=BB6_5693 Depth=2
	v_bfe_u32 v19, v4, 23, 8
	v_or_b32_e32 v6, 0x800000, v0
	s_mov_b32 s40, exec_lo
	s_delay_alu instid0(VALU_DEP_2) | instskip(SKIP_1) | instid1(VALU_DEP_2)
	v_dual_mov_b32 v7, v1 :: v_dual_sub_nc_u32 v4, 0x71, v19
	v_cmp_gt_u32_e32 vcc_lo, 0x72, v19
	v_cndmask_b32_e32 v4, 0, v4, vcc_lo
	v_cmp_eq_u32_e32 vcc_lo, 0, v19
	s_delay_alu instid0(VALU_DEP_2) | instskip(NEXT) | instid1(VALU_DEP_1)
	v_cndmask_b32_e64 v27, v4, 0x70, vcc_lo
	v_dual_cndmask_b32 v6, v6, v0, vcc_lo :: v_dual_add_nc_u32 v4, 21, v27
	v_add_nc_u32_e32 v35, 20, v27
	s_delay_alu instid0(VALU_DEP_2) | instskip(NEXT) | instid1(VALU_DEP_2)
	v_lshlrev_b64_e64 v[4:5], v4, -1
	v_lshlrev_b64_e64 v[50:51], v35, 1
	s_delay_alu instid0(VALU_DEP_2) | instskip(NEXT) | instid1(VALU_DEP_3)
	v_bfi_b32 v55, v5, 0, 0
	v_bfi_b32 v54, v4, 0, v6
	v_lshrrev_b64 v[4:5], v27, v[6:7]
	s_delay_alu instid0(VALU_DEP_1) | instskip(NEXT) | instid1(VALU_DEP_3)
	v_mov_b64_e32 v[6:7], v[4:5]
	v_cmpx_eq_u64_e64 v[54:55], v[50:51]
; %bb.7693:                             ;   in Loop: Header=BB6_5693 Depth=2
	v_bfe_u32 v6, v4, 21, 1
	v_mov_b32_e32 v7, v1
	s_delay_alu instid0(VALU_DEP_1) | instskip(NEXT) | instid1(VALU_DEP_1)
	v_add_nc_u64_e32 v[6:7], v[4:5], v[6:7]
	v_add_nc_u64_e32 v[6:7], -1, v[6:7]
; %bb.7694:                             ;   in Loop: Header=BB6_5693 Depth=2
	s_or_b32 exec_lo, exec_lo, s40
	v_add_nc_u32_e32 v0, 0xffffff81, v19
	s_delay_alu instid0(VALU_DEP_2) | instskip(SKIP_2) | instid1(VALU_DEP_3)
	v_and_b32_e32 v6, 0x1fffff, v6
	v_lshrrev_b32_e32 v5, 23, v4
	s_mov_b32 s10, exec_lo
	v_cndmask_b32_e64 v0, v0, 0xffffff82, vcc_lo
	s_delay_alu instid0(VALU_DEP_1) | instskip(SKIP_1) | instid1(VALU_DEP_2)
	v_add3_u32 v7, v27, v0, v5
	v_add_nc_u32_e32 v0, v6, v4
                                        ; implicit-def: $vgpr4_vgpr5
                                        ; implicit-def: $vgpr6
	v_add_nc_u32_e32 v19, 14, v7
	s_delay_alu instid0(VALU_DEP_1)
	v_cmpx_ne_u32_e32 0, v19
	s_xor_b32 s10, exec_lo, s10
; %bb.7695:                             ;   in Loop: Header=BB6_5693 Depth=2
	s_delay_alu instid0(VALU_DEP_3) | instskip(SKIP_1) | instid1(VALU_DEP_1)
	v_cmp_lt_u64_e32 vcc_lo, 0xffffff, v[0:1]
	v_add_nc_u32_e32 v4, 15, v7
	v_cndmask_b32_e32 v6, v19, v4, vcc_lo
	v_cndmask_b32_e64 v4, 0, 1, vcc_lo
	s_delay_alu instid0(VALU_DEP_1)
	v_lshrrev_b64 v[4:5], v4, v[0:1]
; %bb.7696:                             ;   in Loop: Header=BB6_5693 Depth=2
	s_and_not1_saveexec_b32 s10, s10
; %bb.7697:                             ;   in Loop: Header=BB6_5693 Depth=2
	v_mov_b64_e32 v[4:5], v[0:1]
	v_bfe_u32 v6, v0, 23, 1
; %bb.7698:                             ;   in Loop: Header=BB6_5693 Depth=2
	s_or_b32 exec_lo, exec_lo, s10
	s_delay_alu instid0(VALU_DEP_2) | instskip(NEXT) | instid1(VALU_DEP_2)
	v_lshrrev_b64 v[4:5], 21, v[4:5]
	v_cmp_gt_i32_e32 vcc_lo, 32, v6
	v_cmp_ne_u32_e64 s10, 0, v6
                                        ; implicit-def: $vgpr49
	s_delay_alu instid0(VALU_DEP_3) | instskip(NEXT) | instid1(VALU_DEP_1)
	v_dual_cndmask_b32 v5, 0, v5 :: v_dual_cndmask_b32 v4, 3, v4
	v_cmp_ne_u64_e32 vcc_lo, 0, v[4:5]
	s_or_b32 s10, s10, vcc_lo
	s_delay_alu instid0(SALU_CYCLE_1) | instskip(NEXT) | instid1(SALU_CYCLE_1)
	s_and_saveexec_b32 s40, s10
	s_xor_b32 s10, exec_lo, s40
; %bb.7699:                             ;   in Loop: Header=BB6_5693 Depth=2
	v_min_i32_e32 v0, 31, v6
	s_delay_alu instid0(VALU_DEP_1) | instskip(NEXT) | instid1(VALU_DEP_1)
	v_lshl_or_b32 v0, v0, 2, v3
                                        ; implicit-def: $vgpr3
	v_and_or_b32 v49, v4, 3, v0
; %bb.7700:                             ;   in Loop: Header=BB6_5693 Depth=2
	s_and_not1_saveexec_b32 s10, s10
; %bb.7701:                             ;   in Loop: Header=BB6_5693 Depth=2
	v_mov_b32_e32 v49, v3
; %bb.7702:                             ;   in Loop: Header=BB6_5693 Depth=2
	s_or_b32 exec_lo, exec_lo, s10
.LBB6_7703:                             ;   in Loop: Header=BB6_5693 Depth=2
	s_delay_alu instid0(SALU_CYCLE_1)
	s_or_b32 exec_lo, exec_lo, s29
                                        ; implicit-def: $vgpr3
.LBB6_7704:                             ;   in Loop: Header=BB6_5693 Depth=2
	s_and_not1_saveexec_b32 s10, s28
; %bb.7705:                             ;   in Loop: Header=BB6_5693 Depth=2
	v_or_b32_e32 v49, 0x7b, v3
; %bb.7706:                             ;   in Loop: Header=BB6_5693 Depth=2
	s_or_b32 exec_lo, exec_lo, s10
                                        ; implicit-def: $vgpr4
.LBB6_7707:                             ;   in Loop: Header=BB6_5693 Depth=2
	s_and_not1_saveexec_b32 s10, s11
	s_cbranch_execz .LBB6_7713
; %bb.7708:                             ;   in Loop: Header=BB6_5693 Depth=2
	s_mov_b32 s11, exec_lo
                                        ; implicit-def: $vgpr49
	v_cmpx_ne_u64_e32 0, v[0:1]
	s_xor_b32 s11, exec_lo, s11
; %bb.7709:                             ;   in Loop: Header=BB6_5693 Depth=2
	v_lshrrev_b32_e32 v0, 24, v4
                                        ; implicit-def: $vgpr4
	s_delay_alu instid0(VALU_DEP_1)
	v_or_b32_e32 v49, 0x7f, v0
; %bb.7710:                             ;   in Loop: Header=BB6_5693 Depth=2
	s_and_not1_saveexec_b32 s11, s11
; %bb.7711:                             ;   in Loop: Header=BB6_5693 Depth=2
	v_cmp_lt_i32_e32 vcc_lo, -1, v4
	v_cndmask_b32_e64 v49, -4, 0x7c, vcc_lo
; %bb.7712:                             ;   in Loop: Header=BB6_5693 Depth=2
	s_or_b32 exec_lo, exec_lo, s11
.LBB6_7713:                             ;   in Loop: Header=BB6_5693 Depth=2
	s_delay_alu instid0(SALU_CYCLE_1) | instskip(SKIP_3) | instid1(VALU_DEP_2)
	s_or_b32 exec_lo, exec_lo, s10
	v_and_b32_e32 v5, 0xff, v42
	v_dual_mov_b32 v0, 0 :: v_dual_mov_b32 v3, 0
	s_mov_b32 s10, exec_lo
	v_cmpx_ne_u16_e32 0, v5
	s_cbranch_execz .LBB6_7723
; %bb.7714:                             ;   in Loop: Header=BB6_5693 Depth=2
	v_bfrev_b32_e32 v3, 1
	s_mov_b32 s11, exec_lo
	v_cmpx_ne_u16_e32 0x80, v5
	s_cbranch_execz .LBB6_7722
; %bb.7715:                             ;   in Loop: Header=BB6_5693 Depth=2
	v_and_b32_e32 v3, 0x7c, v42
	v_and_b32_e32 v4, 3, v42
	s_delay_alu instid0(VALU_DEP_2) | instskip(SKIP_1) | instid1(SALU_CYCLE_1)
	v_cmp_ne_u32_e32 vcc_lo, 0x7c, v3
                                        ; implicit-def: $vgpr3
	s_and_saveexec_b32 s28, vcc_lo
	s_xor_b32 s28, exec_lo, s28
	s_cbranch_execz .LBB6_7719
; %bb.7716:                             ;   in Loop: Header=BB6_5693 Depth=2
	v_bfe_u32 v3, v5, 2, 5
	s_mov_b32 s29, exec_lo
	s_delay_alu instid0(VALU_DEP_1)
	v_cmpx_eq_u32_e32 0, v3
	s_cbranch_execz .LBB6_7718
; %bb.7717:                             ;   in Loop: Header=BB6_5693 Depth=2
	v_clz_i32_u32_e32 v3, v4
	s_delay_alu instid0(VALU_DEP_1) | instskip(SKIP_1) | instid1(VALU_DEP_2)
	v_min_u32_e32 v3, 32, v3
	v_mov_b32_e32 v43, v1
	v_subrev_nc_u32_e32 v4, 29, v3
	v_sub_nc_u32_e32 v3, 30, v3
	s_delay_alu instid0(VALU_DEP_2) | instskip(NEXT) | instid1(VALU_DEP_1)
	v_lshlrev_b64_e32 v[4:5], v4, v[42:43]
	v_and_b32_e32 v4, 3, v4
.LBB6_7718:                             ;   in Loop: Header=BB6_5693 Depth=2
	s_or_b32 exec_lo, exec_lo, s29
	v_lshlrev_b32_e32 v5, 24, v42
                                        ; implicit-def: $vgpr42
	s_delay_alu instid0(VALU_DEP_1) | instskip(NEXT) | instid1(VALU_DEP_1)
	v_and_b32_e32 v5, 0x80000000, v5
	v_lshl_add_u32 v3, v3, 23, v5
	s_delay_alu instid0(VALU_DEP_1) | instskip(NEXT) | instid1(VALU_DEP_1)
	v_lshl_or_b32 v3, v4, 21, v3
                                        ; implicit-def: $vgpr4
	v_add_nc_u32_e32 v3, 0x38000000, v3
.LBB6_7719:                             ;   in Loop: Header=BB6_5693 Depth=2
	s_and_not1_saveexec_b32 s28, s28
; %bb.7720:                             ;   in Loop: Header=BB6_5693 Depth=2
	v_bfe_i32 v3, v42, 0, 8
	s_delay_alu instid0(VALU_DEP_1) | instskip(SKIP_1) | instid1(VALU_DEP_1)
	v_cmp_lt_i16_e32 vcc_lo, -1, v3
	v_mov_b32_e32 v3, 0x7f800000
	v_cndmask_b32_e32 v3, 0xff800000, v3, vcc_lo
	v_cmp_eq_u32_e32 vcc_lo, 0, v4
	s_delay_alu instid0(VALU_DEP_2)
	v_cndmask_b32_e32 v3, 0x7f800001, v3, vcc_lo
; %bb.7721:                             ;   in Loop: Header=BB6_5693 Depth=2
	s_or_b32 exec_lo, exec_lo, s28
.LBB6_7722:                             ;   in Loop: Header=BB6_5693 Depth=2
	s_delay_alu instid0(SALU_CYCLE_1)
	s_or_b32 exec_lo, exec_lo, s11
.LBB6_7723:                             ;   in Loop: Header=BB6_5693 Depth=2
	s_delay_alu instid0(SALU_CYCLE_1) | instskip(NEXT) | instid1(SALU_CYCLE_1)
	s_or_b32 exec_lo, exec_lo, s10
	s_mov_b32 s10, exec_lo
	s_wait_loadcnt_dscnt 0xa0a
	v_cmpx_ne_u16_e32 0, v26
	s_cbranch_execz .LBB6_7733
; %bb.7724:                             ;   in Loop: Header=BB6_5693 Depth=2
	v_bfrev_b32_e32 v0, 1
	s_mov_b32 s11, exec_lo
	v_cmpx_ne_u16_e32 0xff80, v26
	s_cbranch_execz .LBB6_7732
; %bb.7725:                             ;   in Loop: Header=BB6_5693 Depth=2
	v_and_b32_e32 v0, 0x7c, v26
	v_and_b32_e32 v4, 3, v26
	s_delay_alu instid0(VALU_DEP_2) | instskip(SKIP_1) | instid1(SALU_CYCLE_1)
	v_cmp_ne_u32_e32 vcc_lo, 0x7c, v0
                                        ; implicit-def: $vgpr0
	s_and_saveexec_b32 s28, vcc_lo
	s_xor_b32 s28, exec_lo, s28
	s_cbranch_execz .LBB6_7729
; %bb.7726:                             ;   in Loop: Header=BB6_5693 Depth=2
	v_and_b32_e32 v0, 0xff, v26
	s_mov_b32 s29, exec_lo
	s_delay_alu instid0(VALU_DEP_1) | instskip(NEXT) | instid1(VALU_DEP_1)
	v_bfe_u32 v0, v0, 2, 5
	v_cmpx_eq_u32_e32 0, v0
	s_cbranch_execz .LBB6_7728
; %bb.7727:                             ;   in Loop: Header=BB6_5693 Depth=2
	v_clz_i32_u32_e32 v0, v4
	s_delay_alu instid0(VALU_DEP_1) | instskip(SKIP_1) | instid1(VALU_DEP_2)
	v_min_u32_e32 v0, 32, v0
	v_mov_b32_e32 v27, v1
	v_subrev_nc_u32_e32 v4, 29, v0
	v_sub_nc_u32_e32 v0, 30, v0
	s_delay_alu instid0(VALU_DEP_2) | instskip(NEXT) | instid1(VALU_DEP_1)
	v_lshlrev_b64_e32 v[4:5], v4, v[26:27]
	v_and_b32_e32 v4, 3, v4
.LBB6_7728:                             ;   in Loop: Header=BB6_5693 Depth=2
	s_or_b32 exec_lo, exec_lo, s29
	v_bfe_i32 v5, v26, 0, 16
                                        ; implicit-def: $vgpr26
	s_delay_alu instid0(VALU_DEP_1) | instskip(NEXT) | instid1(VALU_DEP_1)
	v_and_b32_e32 v5, 0x80000000, v5
	v_lshl_add_u32 v0, v0, 23, v5
	s_delay_alu instid0(VALU_DEP_1) | instskip(NEXT) | instid1(VALU_DEP_1)
	v_lshl_or_b32 v0, v4, 21, v0
                                        ; implicit-def: $vgpr4
	v_add_nc_u32_e32 v0, 0x38000000, v0
.LBB6_7729:                             ;   in Loop: Header=BB6_5693 Depth=2
	s_and_not1_saveexec_b32 s28, s28
; %bb.7730:                             ;   in Loop: Header=BB6_5693 Depth=2
	v_cmp_lt_i16_e32 vcc_lo, -1, v26
	v_mov_b32_e32 v0, 0x7f800000
	s_delay_alu instid0(VALU_DEP_1) | instskip(SKIP_1) | instid1(VALU_DEP_2)
	v_cndmask_b32_e32 v0, 0xff800000, v0, vcc_lo
	v_cmp_eq_u32_e32 vcc_lo, 0, v4
	v_cndmask_b32_e32 v0, 0x7f800001, v0, vcc_lo
; %bb.7731:                             ;   in Loop: Header=BB6_5693 Depth=2
	s_or_b32 exec_lo, exec_lo, s28
.LBB6_7732:                             ;   in Loop: Header=BB6_5693 Depth=2
	s_delay_alu instid0(SALU_CYCLE_1)
	s_or_b32 exec_lo, exec_lo, s11
.LBB6_7733:                             ;   in Loop: Header=BB6_5693 Depth=2
	s_delay_alu instid0(SALU_CYCLE_1) | instskip(NEXT) | instid1(VALU_DEP_1)
	s_or_b32 exec_lo, exec_lo, s10
	v_dual_add_f32 v4, v3, v0 :: v_dual_mov_b32 v7, v1
                                        ; implicit-def: $vgpr26
	s_mov_b32 s10, exec_lo
	s_delay_alu instid0(VALU_DEP_1) | instskip(SKIP_1) | instid1(VALU_DEP_2)
	v_and_b32_e32 v6, 0x7f800000, v4
	v_and_b32_e32 v0, 0x7fffff, v4
	v_cmpx_ne_u64_e32 0x7f800000, v[6:7]
	s_xor_b32 s11, exec_lo, s10
	s_cbranch_execz .LBB6_7751
; %bb.7734:                             ;   in Loop: Header=BB6_5693 Depth=2
	v_dual_mov_b32 v7, v1 :: v_dual_lshrrev_b32 v3, 24, v4
	v_and_b32_e32 v6, 0x7fffffff, v4
                                        ; implicit-def: $vgpr26
	s_mov_b32 s10, exec_lo
	s_delay_alu instid0(VALU_DEP_2) | instskip(NEXT) | instid1(VALU_DEP_2)
	v_and_b32_e32 v3, 0x80, v3
	v_cmpx_gt_u64_e32 0x47600001, v[6:7]
	s_xor_b32 s28, exec_lo, s10
	s_cbranch_execz .LBB6_7748
; %bb.7735:                             ;   in Loop: Header=BB6_5693 Depth=2
	v_mov_b32_e32 v26, 0
	s_mov_b32 s29, exec_lo
	v_cmpx_ne_u32_e32 0, v4
	s_cbranch_execz .LBB6_7747
; %bb.7736:                             ;   in Loop: Header=BB6_5693 Depth=2
	v_bfe_u32 v19, v4, 23, 8
	v_or_b32_e32 v6, 0x800000, v0
	s_mov_b32 s40, exec_lo
	s_delay_alu instid0(VALU_DEP_2) | instskip(SKIP_1) | instid1(VALU_DEP_2)
	v_dual_mov_b32 v7, v1 :: v_dual_sub_nc_u32 v4, 0x71, v19
	v_cmp_gt_u32_e32 vcc_lo, 0x72, v19
	v_cndmask_b32_e32 v4, 0, v4, vcc_lo
	v_cmp_eq_u32_e32 vcc_lo, 0, v19
	s_delay_alu instid0(VALU_DEP_2) | instskip(NEXT) | instid1(VALU_DEP_1)
	v_cndmask_b32_e64 v26, v4, 0x70, vcc_lo
	v_dual_cndmask_b32 v6, v6, v0, vcc_lo :: v_dual_add_nc_u32 v4, 21, v26
	v_add_nc_u32_e32 v27, 20, v26
	s_delay_alu instid0(VALU_DEP_2) | instskip(NEXT) | instid1(VALU_DEP_2)
	v_lshlrev_b64_e64 v[4:5], v4, -1
	v_lshlrev_b64_e64 v[50:51], v27, 1
	s_delay_alu instid0(VALU_DEP_2) | instskip(NEXT) | instid1(VALU_DEP_3)
	v_bfi_b32 v55, v5, 0, 0
	v_bfi_b32 v54, v4, 0, v6
	v_lshrrev_b64 v[4:5], v26, v[6:7]
	s_delay_alu instid0(VALU_DEP_1) | instskip(NEXT) | instid1(VALU_DEP_3)
	v_mov_b64_e32 v[6:7], v[4:5]
	v_cmpx_eq_u64_e64 v[54:55], v[50:51]
; %bb.7737:                             ;   in Loop: Header=BB6_5693 Depth=2
	v_bfe_u32 v6, v4, 21, 1
	v_mov_b32_e32 v7, v1
	s_delay_alu instid0(VALU_DEP_1) | instskip(NEXT) | instid1(VALU_DEP_1)
	v_add_nc_u64_e32 v[6:7], v[4:5], v[6:7]
	v_add_nc_u64_e32 v[6:7], -1, v[6:7]
; %bb.7738:                             ;   in Loop: Header=BB6_5693 Depth=2
	s_or_b32 exec_lo, exec_lo, s40
	v_add_nc_u32_e32 v0, 0xffffff81, v19
	s_delay_alu instid0(VALU_DEP_2) | instskip(SKIP_2) | instid1(VALU_DEP_3)
	v_and_b32_e32 v6, 0x1fffff, v6
	v_lshrrev_b32_e32 v5, 23, v4
	s_mov_b32 s10, exec_lo
	v_cndmask_b32_e64 v0, v0, 0xffffff82, vcc_lo
	s_delay_alu instid0(VALU_DEP_1) | instskip(SKIP_1) | instid1(VALU_DEP_2)
	v_add3_u32 v7, v26, v0, v5
	v_add_nc_u32_e32 v0, v6, v4
                                        ; implicit-def: $vgpr4_vgpr5
                                        ; implicit-def: $vgpr6
	v_add_nc_u32_e32 v19, 14, v7
	s_delay_alu instid0(VALU_DEP_1)
	v_cmpx_ne_u32_e32 0, v19
	s_xor_b32 s10, exec_lo, s10
; %bb.7739:                             ;   in Loop: Header=BB6_5693 Depth=2
	s_delay_alu instid0(VALU_DEP_3) | instskip(SKIP_1) | instid1(VALU_DEP_1)
	v_cmp_lt_u64_e32 vcc_lo, 0xffffff, v[0:1]
	v_add_nc_u32_e32 v4, 15, v7
	v_cndmask_b32_e32 v6, v19, v4, vcc_lo
	v_cndmask_b32_e64 v4, 0, 1, vcc_lo
	s_delay_alu instid0(VALU_DEP_1)
	v_lshrrev_b64 v[4:5], v4, v[0:1]
; %bb.7740:                             ;   in Loop: Header=BB6_5693 Depth=2
	s_and_not1_saveexec_b32 s10, s10
; %bb.7741:                             ;   in Loop: Header=BB6_5693 Depth=2
	v_mov_b64_e32 v[4:5], v[0:1]
	v_bfe_u32 v6, v0, 23, 1
; %bb.7742:                             ;   in Loop: Header=BB6_5693 Depth=2
	s_or_b32 exec_lo, exec_lo, s10
	s_delay_alu instid0(VALU_DEP_2) | instskip(NEXT) | instid1(VALU_DEP_2)
	v_lshrrev_b64 v[4:5], 21, v[4:5]
	v_cmp_gt_i32_e32 vcc_lo, 32, v6
	v_cmp_ne_u32_e64 s10, 0, v6
                                        ; implicit-def: $vgpr26
	s_delay_alu instid0(VALU_DEP_3) | instskip(NEXT) | instid1(VALU_DEP_1)
	v_dual_cndmask_b32 v5, 0, v5 :: v_dual_cndmask_b32 v4, 3, v4
	v_cmp_ne_u64_e32 vcc_lo, 0, v[4:5]
	s_or_b32 s10, s10, vcc_lo
	s_delay_alu instid0(SALU_CYCLE_1) | instskip(NEXT) | instid1(SALU_CYCLE_1)
	s_and_saveexec_b32 s40, s10
	s_xor_b32 s10, exec_lo, s40
; %bb.7743:                             ;   in Loop: Header=BB6_5693 Depth=2
	v_min_i32_e32 v0, 31, v6
	s_delay_alu instid0(VALU_DEP_1) | instskip(NEXT) | instid1(VALU_DEP_1)
	v_lshl_or_b32 v0, v0, 2, v3
                                        ; implicit-def: $vgpr3
	v_and_or_b32 v26, v4, 3, v0
; %bb.7744:                             ;   in Loop: Header=BB6_5693 Depth=2
	s_and_not1_saveexec_b32 s10, s10
; %bb.7745:                             ;   in Loop: Header=BB6_5693 Depth=2
	v_mov_b32_e32 v26, v3
; %bb.7746:                             ;   in Loop: Header=BB6_5693 Depth=2
	s_or_b32 exec_lo, exec_lo, s10
.LBB6_7747:                             ;   in Loop: Header=BB6_5693 Depth=2
	s_delay_alu instid0(SALU_CYCLE_1)
	s_or_b32 exec_lo, exec_lo, s29
                                        ; implicit-def: $vgpr3
.LBB6_7748:                             ;   in Loop: Header=BB6_5693 Depth=2
	s_and_not1_saveexec_b32 s10, s28
; %bb.7749:                             ;   in Loop: Header=BB6_5693 Depth=2
	v_or_b32_e32 v26, 0x7b, v3
; %bb.7750:                             ;   in Loop: Header=BB6_5693 Depth=2
	s_or_b32 exec_lo, exec_lo, s10
                                        ; implicit-def: $vgpr4
.LBB6_7751:                             ;   in Loop: Header=BB6_5693 Depth=2
	s_and_not1_saveexec_b32 s10, s11
	s_cbranch_execz .LBB6_7757
; %bb.7752:                             ;   in Loop: Header=BB6_5693 Depth=2
	s_mov_b32 s11, exec_lo
                                        ; implicit-def: $vgpr26
	v_cmpx_ne_u64_e32 0, v[0:1]
	s_xor_b32 s11, exec_lo, s11
; %bb.7753:                             ;   in Loop: Header=BB6_5693 Depth=2
	v_lshrrev_b32_e32 v0, 24, v4
                                        ; implicit-def: $vgpr4
	s_delay_alu instid0(VALU_DEP_1)
	v_or_b32_e32 v26, 0x7f, v0
; %bb.7754:                             ;   in Loop: Header=BB6_5693 Depth=2
	s_and_not1_saveexec_b32 s11, s11
; %bb.7755:                             ;   in Loop: Header=BB6_5693 Depth=2
	v_cmp_lt_i32_e32 vcc_lo, -1, v4
	v_cndmask_b32_e64 v26, -4, 0x7c, vcc_lo
; %bb.7756:                             ;   in Loop: Header=BB6_5693 Depth=2
	s_or_b32 exec_lo, exec_lo, s11
.LBB6_7757:                             ;   in Loop: Header=BB6_5693 Depth=2
	s_delay_alu instid0(SALU_CYCLE_1) | instskip(SKIP_3) | instid1(VALU_DEP_2)
	s_or_b32 exec_lo, exec_lo, s10
	v_and_b32_e32 v5, 0xff, v118
	v_dual_mov_b32 v0, 0 :: v_dual_mov_b32 v3, 0
	s_mov_b32 s10, exec_lo
	v_cmpx_ne_u16_e32 0, v5
	s_cbranch_execz .LBB6_7767
; %bb.7758:                             ;   in Loop: Header=BB6_5693 Depth=2
	v_bfrev_b32_e32 v3, 1
	s_mov_b32 s11, exec_lo
	v_cmpx_ne_u16_e32 0x80, v5
	s_cbranch_execz .LBB6_7766
; %bb.7759:                             ;   in Loop: Header=BB6_5693 Depth=2
	v_and_b32_e32 v3, 0x7c, v118
	v_and_b32_e32 v4, 3, v118
	s_delay_alu instid0(VALU_DEP_2) | instskip(SKIP_1) | instid1(SALU_CYCLE_1)
	v_cmp_ne_u32_e32 vcc_lo, 0x7c, v3
                                        ; implicit-def: $vgpr3
	s_and_saveexec_b32 s28, vcc_lo
	s_xor_b32 s28, exec_lo, s28
	s_cbranch_execz .LBB6_7763
; %bb.7760:                             ;   in Loop: Header=BB6_5693 Depth=2
	v_bfe_u32 v3, v5, 2, 5
	s_mov_b32 s29, exec_lo
	s_delay_alu instid0(VALU_DEP_1)
	v_cmpx_eq_u32_e32 0, v3
	s_cbranch_execz .LBB6_7762
; %bb.7761:                             ;   in Loop: Header=BB6_5693 Depth=2
	v_clz_i32_u32_e32 v3, v4
	s_delay_alu instid0(VALU_DEP_1) | instskip(SKIP_1) | instid1(VALU_DEP_2)
	v_min_u32_e32 v3, 32, v3
	v_mov_b32_e32 v119, v1
	v_subrev_nc_u32_e32 v4, 29, v3
	v_sub_nc_u32_e32 v3, 30, v3
	s_delay_alu instid0(VALU_DEP_2) | instskip(NEXT) | instid1(VALU_DEP_1)
	v_lshlrev_b64_e32 v[4:5], v4, v[118:119]
	v_and_b32_e32 v4, 3, v4
.LBB6_7762:                             ;   in Loop: Header=BB6_5693 Depth=2
	s_or_b32 exec_lo, exec_lo, s29
	v_lshlrev_b32_e32 v5, 24, v118
                                        ; implicit-def: $vgpr118
	s_delay_alu instid0(VALU_DEP_1) | instskip(NEXT) | instid1(VALU_DEP_1)
	v_and_b32_e32 v5, 0x80000000, v5
	v_lshl_add_u32 v3, v3, 23, v5
	s_delay_alu instid0(VALU_DEP_1) | instskip(NEXT) | instid1(VALU_DEP_1)
	v_lshl_or_b32 v3, v4, 21, v3
                                        ; implicit-def: $vgpr4
	v_add_nc_u32_e32 v3, 0x38000000, v3
.LBB6_7763:                             ;   in Loop: Header=BB6_5693 Depth=2
	s_and_not1_saveexec_b32 s28, s28
; %bb.7764:                             ;   in Loop: Header=BB6_5693 Depth=2
	v_bfe_i32 v3, v118, 0, 8
	s_delay_alu instid0(VALU_DEP_1) | instskip(SKIP_1) | instid1(VALU_DEP_1)
	v_cmp_lt_i16_e32 vcc_lo, -1, v3
	v_mov_b32_e32 v3, 0x7f800000
	v_cndmask_b32_e32 v3, 0xff800000, v3, vcc_lo
	v_cmp_eq_u32_e32 vcc_lo, 0, v4
	s_delay_alu instid0(VALU_DEP_2)
	v_cndmask_b32_e32 v3, 0x7f800001, v3, vcc_lo
; %bb.7765:                             ;   in Loop: Header=BB6_5693 Depth=2
	s_or_b32 exec_lo, exec_lo, s28
.LBB6_7766:                             ;   in Loop: Header=BB6_5693 Depth=2
	s_delay_alu instid0(SALU_CYCLE_1)
	s_or_b32 exec_lo, exec_lo, s11
.LBB6_7767:                             ;   in Loop: Header=BB6_5693 Depth=2
	s_delay_alu instid0(SALU_CYCLE_1) | instskip(NEXT) | instid1(SALU_CYCLE_1)
	s_or_b32 exec_lo, exec_lo, s10
	s_mov_b32 s10, exec_lo
	s_wait_loadcnt_dscnt 0x909
	v_cmpx_ne_u16_e32 0, v36
	s_cbranch_execz .LBB6_7777
; %bb.7768:                             ;   in Loop: Header=BB6_5693 Depth=2
	v_bfrev_b32_e32 v0, 1
	s_mov_b32 s11, exec_lo
	v_cmpx_ne_u16_e32 0xff80, v36
	s_cbranch_execz .LBB6_7776
; %bb.7769:                             ;   in Loop: Header=BB6_5693 Depth=2
	v_and_b32_e32 v0, 0x7c, v36
	v_and_b32_e32 v4, 3, v36
	s_delay_alu instid0(VALU_DEP_2) | instskip(SKIP_1) | instid1(SALU_CYCLE_1)
	v_cmp_ne_u32_e32 vcc_lo, 0x7c, v0
                                        ; implicit-def: $vgpr0
	s_and_saveexec_b32 s28, vcc_lo
	s_xor_b32 s28, exec_lo, s28
	s_cbranch_execz .LBB6_7773
; %bb.7770:                             ;   in Loop: Header=BB6_5693 Depth=2
	v_and_b32_e32 v0, 0xff, v36
	s_mov_b32 s29, exec_lo
	s_delay_alu instid0(VALU_DEP_1) | instskip(NEXT) | instid1(VALU_DEP_1)
	v_bfe_u32 v0, v0, 2, 5
	v_cmpx_eq_u32_e32 0, v0
	s_cbranch_execz .LBB6_7772
; %bb.7771:                             ;   in Loop: Header=BB6_5693 Depth=2
	v_clz_i32_u32_e32 v0, v4
	s_delay_alu instid0(VALU_DEP_1) | instskip(SKIP_1) | instid1(VALU_DEP_2)
	v_min_u32_e32 v0, 32, v0
	v_mov_b32_e32 v37, v1
	v_subrev_nc_u32_e32 v4, 29, v0
	v_sub_nc_u32_e32 v0, 30, v0
	s_delay_alu instid0(VALU_DEP_2) | instskip(NEXT) | instid1(VALU_DEP_1)
	v_lshlrev_b64_e32 v[4:5], v4, v[36:37]
	v_and_b32_e32 v4, 3, v4
.LBB6_7772:                             ;   in Loop: Header=BB6_5693 Depth=2
	s_or_b32 exec_lo, exec_lo, s29
	v_bfe_i32 v5, v36, 0, 16
                                        ; implicit-def: $vgpr36
	s_delay_alu instid0(VALU_DEP_1) | instskip(NEXT) | instid1(VALU_DEP_1)
	v_and_b32_e32 v5, 0x80000000, v5
	v_lshl_add_u32 v0, v0, 23, v5
	s_delay_alu instid0(VALU_DEP_1) | instskip(NEXT) | instid1(VALU_DEP_1)
	v_lshl_or_b32 v0, v4, 21, v0
                                        ; implicit-def: $vgpr4
	v_add_nc_u32_e32 v0, 0x38000000, v0
.LBB6_7773:                             ;   in Loop: Header=BB6_5693 Depth=2
	s_and_not1_saveexec_b32 s28, s28
; %bb.7774:                             ;   in Loop: Header=BB6_5693 Depth=2
	v_cmp_lt_i16_e32 vcc_lo, -1, v36
	v_mov_b32_e32 v0, 0x7f800000
	s_delay_alu instid0(VALU_DEP_1) | instskip(SKIP_1) | instid1(VALU_DEP_2)
	v_cndmask_b32_e32 v0, 0xff800000, v0, vcc_lo
	v_cmp_eq_u32_e32 vcc_lo, 0, v4
	v_cndmask_b32_e32 v0, 0x7f800001, v0, vcc_lo
; %bb.7775:                             ;   in Loop: Header=BB6_5693 Depth=2
	s_or_b32 exec_lo, exec_lo, s28
.LBB6_7776:                             ;   in Loop: Header=BB6_5693 Depth=2
	s_delay_alu instid0(SALU_CYCLE_1)
	s_or_b32 exec_lo, exec_lo, s11
.LBB6_7777:                             ;   in Loop: Header=BB6_5693 Depth=2
	s_delay_alu instid0(SALU_CYCLE_1) | instskip(NEXT) | instid1(VALU_DEP_1)
	s_or_b32 exec_lo, exec_lo, s10
	v_dual_add_f32 v4, v3, v0 :: v_dual_mov_b32 v7, v1
                                        ; implicit-def: $vgpr27
	s_mov_b32 s10, exec_lo
	s_delay_alu instid0(VALU_DEP_1) | instskip(SKIP_1) | instid1(VALU_DEP_2)
	v_and_b32_e32 v6, 0x7f800000, v4
	v_and_b32_e32 v0, 0x7fffff, v4
	v_cmpx_ne_u64_e32 0x7f800000, v[6:7]
	s_xor_b32 s11, exec_lo, s10
	s_cbranch_execz .LBB6_7795
; %bb.7778:                             ;   in Loop: Header=BB6_5693 Depth=2
	v_dual_mov_b32 v7, v1 :: v_dual_lshrrev_b32 v3, 24, v4
	v_and_b32_e32 v6, 0x7fffffff, v4
                                        ; implicit-def: $vgpr27
	s_mov_b32 s10, exec_lo
	s_delay_alu instid0(VALU_DEP_2) | instskip(NEXT) | instid1(VALU_DEP_2)
	v_and_b32_e32 v3, 0x80, v3
	v_cmpx_gt_u64_e32 0x47600001, v[6:7]
	s_xor_b32 s28, exec_lo, s10
	s_cbranch_execz .LBB6_7792
; %bb.7779:                             ;   in Loop: Header=BB6_5693 Depth=2
	v_mov_b32_e32 v27, 0
	s_mov_b32 s29, exec_lo
	v_cmpx_ne_u32_e32 0, v4
	s_cbranch_execz .LBB6_7791
; %bb.7780:                             ;   in Loop: Header=BB6_5693 Depth=2
	v_bfe_u32 v19, v4, 23, 8
	v_or_b32_e32 v6, 0x800000, v0
	s_mov_b32 s40, exec_lo
	s_delay_alu instid0(VALU_DEP_2) | instskip(SKIP_1) | instid1(VALU_DEP_2)
	v_dual_mov_b32 v7, v1 :: v_dual_sub_nc_u32 v4, 0x71, v19
	v_cmp_gt_u32_e32 vcc_lo, 0x72, v19
	v_cndmask_b32_e32 v4, 0, v4, vcc_lo
	v_cmp_eq_u32_e32 vcc_lo, 0, v19
	s_delay_alu instid0(VALU_DEP_2) | instskip(NEXT) | instid1(VALU_DEP_1)
	v_cndmask_b32_e64 v27, v4, 0x70, vcc_lo
	v_dual_cndmask_b32 v6, v6, v0, vcc_lo :: v_dual_add_nc_u32 v4, 21, v27
	v_add_nc_u32_e32 v35, 20, v27
	s_delay_alu instid0(VALU_DEP_2) | instskip(NEXT) | instid1(VALU_DEP_2)
	v_lshlrev_b64_e64 v[4:5], v4, -1
	v_lshlrev_b64_e64 v[36:37], v35, 1
	s_delay_alu instid0(VALU_DEP_2) | instskip(NEXT) | instid1(VALU_DEP_3)
	v_bfi_b32 v51, v5, 0, 0
	v_bfi_b32 v50, v4, 0, v6
	v_lshrrev_b64 v[4:5], v27, v[6:7]
	s_delay_alu instid0(VALU_DEP_1) | instskip(NEXT) | instid1(VALU_DEP_3)
	v_mov_b64_e32 v[6:7], v[4:5]
	v_cmpx_eq_u64_e64 v[50:51], v[36:37]
; %bb.7781:                             ;   in Loop: Header=BB6_5693 Depth=2
	v_bfe_u32 v6, v4, 21, 1
	v_mov_b32_e32 v7, v1
	s_delay_alu instid0(VALU_DEP_1) | instskip(NEXT) | instid1(VALU_DEP_1)
	v_add_nc_u64_e32 v[6:7], v[4:5], v[6:7]
	v_add_nc_u64_e32 v[6:7], -1, v[6:7]
; %bb.7782:                             ;   in Loop: Header=BB6_5693 Depth=2
	s_or_b32 exec_lo, exec_lo, s40
	v_add_nc_u32_e32 v0, 0xffffff81, v19
	s_delay_alu instid0(VALU_DEP_2) | instskip(SKIP_2) | instid1(VALU_DEP_3)
	v_and_b32_e32 v6, 0x1fffff, v6
	v_lshrrev_b32_e32 v5, 23, v4
	s_mov_b32 s10, exec_lo
	v_cndmask_b32_e64 v0, v0, 0xffffff82, vcc_lo
	s_delay_alu instid0(VALU_DEP_1) | instskip(SKIP_1) | instid1(VALU_DEP_2)
	v_add3_u32 v7, v27, v0, v5
	v_add_nc_u32_e32 v0, v6, v4
                                        ; implicit-def: $vgpr4_vgpr5
                                        ; implicit-def: $vgpr6
	v_add_nc_u32_e32 v19, 14, v7
	s_delay_alu instid0(VALU_DEP_1)
	v_cmpx_ne_u32_e32 0, v19
	s_xor_b32 s10, exec_lo, s10
; %bb.7783:                             ;   in Loop: Header=BB6_5693 Depth=2
	s_delay_alu instid0(VALU_DEP_3) | instskip(SKIP_1) | instid1(VALU_DEP_1)
	v_cmp_lt_u64_e32 vcc_lo, 0xffffff, v[0:1]
	v_add_nc_u32_e32 v4, 15, v7
	v_cndmask_b32_e32 v6, v19, v4, vcc_lo
	v_cndmask_b32_e64 v4, 0, 1, vcc_lo
	s_delay_alu instid0(VALU_DEP_1)
	v_lshrrev_b64 v[4:5], v4, v[0:1]
; %bb.7784:                             ;   in Loop: Header=BB6_5693 Depth=2
	s_and_not1_saveexec_b32 s10, s10
; %bb.7785:                             ;   in Loop: Header=BB6_5693 Depth=2
	v_mov_b64_e32 v[4:5], v[0:1]
	v_bfe_u32 v6, v0, 23, 1
; %bb.7786:                             ;   in Loop: Header=BB6_5693 Depth=2
	s_or_b32 exec_lo, exec_lo, s10
	s_delay_alu instid0(VALU_DEP_2) | instskip(NEXT) | instid1(VALU_DEP_2)
	v_lshrrev_b64 v[4:5], 21, v[4:5]
	v_cmp_gt_i32_e32 vcc_lo, 32, v6
	v_cmp_ne_u32_e64 s10, 0, v6
                                        ; implicit-def: $vgpr27
	s_delay_alu instid0(VALU_DEP_3) | instskip(NEXT) | instid1(VALU_DEP_1)
	v_dual_cndmask_b32 v5, 0, v5 :: v_dual_cndmask_b32 v4, 3, v4
	v_cmp_ne_u64_e32 vcc_lo, 0, v[4:5]
	s_or_b32 s10, s10, vcc_lo
	s_delay_alu instid0(SALU_CYCLE_1) | instskip(NEXT) | instid1(SALU_CYCLE_1)
	s_and_saveexec_b32 s40, s10
	s_xor_b32 s10, exec_lo, s40
; %bb.7787:                             ;   in Loop: Header=BB6_5693 Depth=2
	v_min_i32_e32 v0, 31, v6
	s_delay_alu instid0(VALU_DEP_1) | instskip(NEXT) | instid1(VALU_DEP_1)
	v_lshl_or_b32 v0, v0, 2, v3
                                        ; implicit-def: $vgpr3
	v_and_or_b32 v27, v4, 3, v0
; %bb.7788:                             ;   in Loop: Header=BB6_5693 Depth=2
	s_and_not1_saveexec_b32 s10, s10
; %bb.7789:                             ;   in Loop: Header=BB6_5693 Depth=2
	v_mov_b32_e32 v27, v3
; %bb.7790:                             ;   in Loop: Header=BB6_5693 Depth=2
	s_or_b32 exec_lo, exec_lo, s10
.LBB6_7791:                             ;   in Loop: Header=BB6_5693 Depth=2
	s_delay_alu instid0(SALU_CYCLE_1)
	s_or_b32 exec_lo, exec_lo, s29
                                        ; implicit-def: $vgpr3
.LBB6_7792:                             ;   in Loop: Header=BB6_5693 Depth=2
	s_and_not1_saveexec_b32 s10, s28
; %bb.7793:                             ;   in Loop: Header=BB6_5693 Depth=2
	v_or_b32_e32 v27, 0x7b, v3
; %bb.7794:                             ;   in Loop: Header=BB6_5693 Depth=2
	s_or_b32 exec_lo, exec_lo, s10
                                        ; implicit-def: $vgpr4
.LBB6_7795:                             ;   in Loop: Header=BB6_5693 Depth=2
	s_and_not1_saveexec_b32 s10, s11
	s_cbranch_execz .LBB6_7801
; %bb.7796:                             ;   in Loop: Header=BB6_5693 Depth=2
	s_mov_b32 s11, exec_lo
                                        ; implicit-def: $vgpr27
	v_cmpx_ne_u64_e32 0, v[0:1]
	s_xor_b32 s11, exec_lo, s11
; %bb.7797:                             ;   in Loop: Header=BB6_5693 Depth=2
	v_lshrrev_b32_e32 v0, 24, v4
                                        ; implicit-def: $vgpr4
	s_delay_alu instid0(VALU_DEP_1)
	v_or_b32_e32 v27, 0x7f, v0
; %bb.7798:                             ;   in Loop: Header=BB6_5693 Depth=2
	s_and_not1_saveexec_b32 s11, s11
; %bb.7799:                             ;   in Loop: Header=BB6_5693 Depth=2
	v_cmp_lt_i32_e32 vcc_lo, -1, v4
	v_cndmask_b32_e64 v27, -4, 0x7c, vcc_lo
; %bb.7800:                             ;   in Loop: Header=BB6_5693 Depth=2
	s_or_b32 exec_lo, exec_lo, s11
.LBB6_7801:                             ;   in Loop: Header=BB6_5693 Depth=2
	s_delay_alu instid0(SALU_CYCLE_1) | instskip(SKIP_3) | instid1(VALU_DEP_2)
	s_or_b32 exec_lo, exec_lo, s10
	v_and_b32_e32 v5, 0xff, v116
	v_dual_mov_b32 v0, 0 :: v_dual_mov_b32 v3, 0
	s_mov_b32 s10, exec_lo
	v_cmpx_ne_u16_e32 0, v5
	s_cbranch_execz .LBB6_7811
; %bb.7802:                             ;   in Loop: Header=BB6_5693 Depth=2
	v_bfrev_b32_e32 v3, 1
	s_mov_b32 s11, exec_lo
	v_cmpx_ne_u16_e32 0x80, v5
	s_cbranch_execz .LBB6_7810
; %bb.7803:                             ;   in Loop: Header=BB6_5693 Depth=2
	v_and_b32_e32 v3, 0x7c, v116
	v_and_b32_e32 v4, 3, v116
	s_delay_alu instid0(VALU_DEP_2) | instskip(SKIP_1) | instid1(SALU_CYCLE_1)
	v_cmp_ne_u32_e32 vcc_lo, 0x7c, v3
                                        ; implicit-def: $vgpr3
	s_and_saveexec_b32 s28, vcc_lo
	s_xor_b32 s28, exec_lo, s28
	s_cbranch_execz .LBB6_7807
; %bb.7804:                             ;   in Loop: Header=BB6_5693 Depth=2
	v_bfe_u32 v3, v5, 2, 5
	s_mov_b32 s29, exec_lo
	s_delay_alu instid0(VALU_DEP_1)
	v_cmpx_eq_u32_e32 0, v3
	s_cbranch_execz .LBB6_7806
; %bb.7805:                             ;   in Loop: Header=BB6_5693 Depth=2
	v_clz_i32_u32_e32 v3, v4
	s_delay_alu instid0(VALU_DEP_1) | instskip(SKIP_1) | instid1(VALU_DEP_2)
	v_min_u32_e32 v3, 32, v3
	v_mov_b32_e32 v117, v1
	v_subrev_nc_u32_e32 v4, 29, v3
	v_sub_nc_u32_e32 v3, 30, v3
	s_delay_alu instid0(VALU_DEP_2) | instskip(NEXT) | instid1(VALU_DEP_1)
	v_lshlrev_b64_e32 v[4:5], v4, v[116:117]
	v_and_b32_e32 v4, 3, v4
.LBB6_7806:                             ;   in Loop: Header=BB6_5693 Depth=2
	s_or_b32 exec_lo, exec_lo, s29
	v_lshlrev_b32_e32 v5, 24, v116
                                        ; implicit-def: $vgpr116
	s_delay_alu instid0(VALU_DEP_1) | instskip(NEXT) | instid1(VALU_DEP_1)
	v_and_b32_e32 v5, 0x80000000, v5
	v_lshl_add_u32 v3, v3, 23, v5
	s_delay_alu instid0(VALU_DEP_1) | instskip(NEXT) | instid1(VALU_DEP_1)
	v_lshl_or_b32 v3, v4, 21, v3
                                        ; implicit-def: $vgpr4
	v_add_nc_u32_e32 v3, 0x38000000, v3
.LBB6_7807:                             ;   in Loop: Header=BB6_5693 Depth=2
	s_and_not1_saveexec_b32 s28, s28
; %bb.7808:                             ;   in Loop: Header=BB6_5693 Depth=2
	v_bfe_i32 v3, v116, 0, 8
	s_delay_alu instid0(VALU_DEP_1) | instskip(SKIP_1) | instid1(VALU_DEP_1)
	v_cmp_lt_i16_e32 vcc_lo, -1, v3
	v_mov_b32_e32 v3, 0x7f800000
	v_cndmask_b32_e32 v3, 0xff800000, v3, vcc_lo
	v_cmp_eq_u32_e32 vcc_lo, 0, v4
	s_delay_alu instid0(VALU_DEP_2)
	v_cndmask_b32_e32 v3, 0x7f800001, v3, vcc_lo
; %bb.7809:                             ;   in Loop: Header=BB6_5693 Depth=2
	s_or_b32 exec_lo, exec_lo, s28
.LBB6_7810:                             ;   in Loop: Header=BB6_5693 Depth=2
	s_delay_alu instid0(SALU_CYCLE_1)
	s_or_b32 exec_lo, exec_lo, s11
.LBB6_7811:                             ;   in Loop: Header=BB6_5693 Depth=2
	s_delay_alu instid0(SALU_CYCLE_1) | instskip(NEXT) | instid1(SALU_CYCLE_1)
	s_or_b32 exec_lo, exec_lo, s10
	s_mov_b32 s10, exec_lo
	s_wait_loadcnt_dscnt 0x808
	v_cmpx_ne_u16_e32 0, v34
	s_cbranch_execz .LBB6_7821
; %bb.7812:                             ;   in Loop: Header=BB6_5693 Depth=2
	v_bfrev_b32_e32 v0, 1
	s_mov_b32 s11, exec_lo
	v_cmpx_ne_u16_e32 0xff80, v34
	s_cbranch_execz .LBB6_7820
; %bb.7813:                             ;   in Loop: Header=BB6_5693 Depth=2
	v_and_b32_e32 v0, 0x7c, v34
	v_and_b32_e32 v4, 3, v34
	s_delay_alu instid0(VALU_DEP_2) | instskip(SKIP_1) | instid1(SALU_CYCLE_1)
	v_cmp_ne_u32_e32 vcc_lo, 0x7c, v0
                                        ; implicit-def: $vgpr0
	s_and_saveexec_b32 s28, vcc_lo
	s_xor_b32 s28, exec_lo, s28
	s_cbranch_execz .LBB6_7817
; %bb.7814:                             ;   in Loop: Header=BB6_5693 Depth=2
	v_and_b32_e32 v0, 0xff, v34
	s_mov_b32 s29, exec_lo
	s_delay_alu instid0(VALU_DEP_1) | instskip(NEXT) | instid1(VALU_DEP_1)
	v_bfe_u32 v0, v0, 2, 5
	v_cmpx_eq_u32_e32 0, v0
	s_cbranch_execz .LBB6_7816
; %bb.7815:                             ;   in Loop: Header=BB6_5693 Depth=2
	v_clz_i32_u32_e32 v0, v4
	s_delay_alu instid0(VALU_DEP_1) | instskip(SKIP_1) | instid1(VALU_DEP_2)
	v_min_u32_e32 v0, 32, v0
	v_mov_b32_e32 v35, v1
	v_subrev_nc_u32_e32 v4, 29, v0
	v_sub_nc_u32_e32 v0, 30, v0
	s_delay_alu instid0(VALU_DEP_2) | instskip(NEXT) | instid1(VALU_DEP_1)
	v_lshlrev_b64_e32 v[4:5], v4, v[34:35]
	v_and_b32_e32 v4, 3, v4
.LBB6_7816:                             ;   in Loop: Header=BB6_5693 Depth=2
	s_or_b32 exec_lo, exec_lo, s29
	v_bfe_i32 v5, v34, 0, 16
                                        ; implicit-def: $vgpr34
	s_delay_alu instid0(VALU_DEP_1) | instskip(NEXT) | instid1(VALU_DEP_1)
	v_and_b32_e32 v5, 0x80000000, v5
	v_lshl_add_u32 v0, v0, 23, v5
	s_delay_alu instid0(VALU_DEP_1) | instskip(NEXT) | instid1(VALU_DEP_1)
	v_lshl_or_b32 v0, v4, 21, v0
                                        ; implicit-def: $vgpr4
	v_add_nc_u32_e32 v0, 0x38000000, v0
.LBB6_7817:                             ;   in Loop: Header=BB6_5693 Depth=2
	s_and_not1_saveexec_b32 s28, s28
; %bb.7818:                             ;   in Loop: Header=BB6_5693 Depth=2
	v_cmp_lt_i16_e32 vcc_lo, -1, v34
	v_mov_b32_e32 v0, 0x7f800000
	s_delay_alu instid0(VALU_DEP_1) | instskip(SKIP_1) | instid1(VALU_DEP_2)
	v_cndmask_b32_e32 v0, 0xff800000, v0, vcc_lo
	v_cmp_eq_u32_e32 vcc_lo, 0, v4
	v_cndmask_b32_e32 v0, 0x7f800001, v0, vcc_lo
; %bb.7819:                             ;   in Loop: Header=BB6_5693 Depth=2
	s_or_b32 exec_lo, exec_lo, s28
.LBB6_7820:                             ;   in Loop: Header=BB6_5693 Depth=2
	s_delay_alu instid0(SALU_CYCLE_1)
	s_or_b32 exec_lo, exec_lo, s11
.LBB6_7821:                             ;   in Loop: Header=BB6_5693 Depth=2
	s_delay_alu instid0(SALU_CYCLE_1) | instskip(NEXT) | instid1(VALU_DEP_1)
	s_or_b32 exec_lo, exec_lo, s10
	v_dual_add_f32 v4, v3, v0 :: v_dual_mov_b32 v7, v1
	s_delay_alu instid0(VALU_DEP_1) | instskip(SKIP_1) | instid1(VALU_DEP_2)
	v_and_b32_e32 v6, 0x7f800000, v4
	v_and_b32_e32 v0, 0x7fffff, v4
	v_cmp_ne_u64_e32 vcc_lo, 0x7f800000, v[6:7]
                                        ; implicit-def: $vgpr6
	s_and_saveexec_b32 s10, vcc_lo
	s_delay_alu instid0(SALU_CYCLE_1)
	s_xor_b32 s11, exec_lo, s10
	s_cbranch_execz .LBB6_7839
; %bb.7822:                             ;   in Loop: Header=BB6_5693 Depth=2
	v_and_b32_e32 v6, 0x7fffffff, v4
	v_dual_mov_b32 v7, v1 :: v_dual_lshrrev_b32 v3, 24, v4
	s_delay_alu instid0(VALU_DEP_1) | instskip(NEXT) | instid1(VALU_DEP_2)
	v_cmp_gt_u64_e32 vcc_lo, 0x47600001, v[6:7]
	v_and_b32_e32 v3, 0x80, v3
                                        ; implicit-def: $vgpr6
	s_and_saveexec_b32 s10, vcc_lo
	s_delay_alu instid0(SALU_CYCLE_1)
	s_xor_b32 s28, exec_lo, s10
	s_cbranch_execz .LBB6_7836
; %bb.7823:                             ;   in Loop: Header=BB6_5693 Depth=2
	v_mov_b32_e32 v6, 0
	s_mov_b32 s29, exec_lo
	v_cmpx_ne_u32_e32 0, v4
	s_cbranch_execz .LBB6_7835
; %bb.7824:                             ;   in Loop: Header=BB6_5693 Depth=2
	v_bfe_u32 v19, v4, 23, 8
	v_or_b32_e32 v6, 0x800000, v0
	s_mov_b32 s40, exec_lo
	s_delay_alu instid0(VALU_DEP_2) | instskip(SKIP_1) | instid1(VALU_DEP_2)
	v_dual_mov_b32 v7, v1 :: v_dual_sub_nc_u32 v4, 0x71, v19
	v_cmp_gt_u32_e32 vcc_lo, 0x72, v19
	v_cndmask_b32_e32 v4, 0, v4, vcc_lo
	v_cmp_eq_u32_e32 vcc_lo, 0, v19
	s_delay_alu instid0(VALU_DEP_2) | instskip(NEXT) | instid1(VALU_DEP_1)
	v_cndmask_b32_e64 v34, v4, 0x70, vcc_lo
	v_dual_cndmask_b32 v6, v6, v0, vcc_lo :: v_dual_add_nc_u32 v4, 21, v34
	v_add_nc_u32_e32 v35, 20, v34
	s_delay_alu instid0(VALU_DEP_2) | instskip(NEXT) | instid1(VALU_DEP_2)
	v_lshlrev_b64_e64 v[4:5], v4, -1
	v_lshlrev_b64_e64 v[36:37], v35, 1
	s_delay_alu instid0(VALU_DEP_2) | instskip(NEXT) | instid1(VALU_DEP_3)
	v_bfi_b32 v51, v5, 0, 0
	v_bfi_b32 v50, v4, 0, v6
	v_lshrrev_b64 v[4:5], v34, v[6:7]
	s_delay_alu instid0(VALU_DEP_1) | instskip(NEXT) | instid1(VALU_DEP_3)
	v_mov_b64_e32 v[6:7], v[4:5]
	v_cmpx_eq_u64_e64 v[50:51], v[36:37]
; %bb.7825:                             ;   in Loop: Header=BB6_5693 Depth=2
	v_bfe_u32 v6, v4, 21, 1
	v_mov_b32_e32 v7, v1
	s_delay_alu instid0(VALU_DEP_1) | instskip(NEXT) | instid1(VALU_DEP_1)
	v_add_nc_u64_e32 v[6:7], v[4:5], v[6:7]
	v_add_nc_u64_e32 v[6:7], -1, v[6:7]
; %bb.7826:                             ;   in Loop: Header=BB6_5693 Depth=2
	s_or_b32 exec_lo, exec_lo, s40
	v_add_nc_u32_e32 v0, 0xffffff81, v19
	s_delay_alu instid0(VALU_DEP_2) | instskip(SKIP_2) | instid1(VALU_DEP_3)
	v_and_b32_e32 v7, 0x1fffff, v6
	v_lshrrev_b32_e32 v5, 23, v4
	s_mov_b32 s10, exec_lo
	v_cndmask_b32_e64 v0, v0, 0xffffff82, vcc_lo
	s_delay_alu instid0(VALU_DEP_1) | instskip(SKIP_1) | instid1(VALU_DEP_2)
	v_add3_u32 v6, v34, v0, v5
	v_add_nc_u32_e32 v0, v7, v4
                                        ; implicit-def: $vgpr4_vgpr5
                                        ; implicit-def: $vgpr7
	v_add_nc_u32_e32 v19, 14, v6
	s_delay_alu instid0(VALU_DEP_1)
	v_cmpx_ne_u32_e32 0, v19
	s_xor_b32 s10, exec_lo, s10
; %bb.7827:                             ;   in Loop: Header=BB6_5693 Depth=2
	s_delay_alu instid0(VALU_DEP_3) | instskip(SKIP_1) | instid1(VALU_DEP_1)
	v_cmp_lt_u64_e32 vcc_lo, 0xffffff, v[0:1]
	v_add_nc_u32_e32 v4, 15, v6
	v_cndmask_b32_e32 v7, v19, v4, vcc_lo
	v_cndmask_b32_e64 v4, 0, 1, vcc_lo
	s_delay_alu instid0(VALU_DEP_1)
	v_lshrrev_b64 v[4:5], v4, v[0:1]
; %bb.7828:                             ;   in Loop: Header=BB6_5693 Depth=2
	s_and_not1_saveexec_b32 s10, s10
; %bb.7829:                             ;   in Loop: Header=BB6_5693 Depth=2
	v_mov_b64_e32 v[4:5], v[0:1]
	v_bfe_u32 v7, v0, 23, 1
; %bb.7830:                             ;   in Loop: Header=BB6_5693 Depth=2
	s_or_b32 exec_lo, exec_lo, s10
	s_delay_alu instid0(VALU_DEP_2) | instskip(NEXT) | instid1(VALU_DEP_2)
	v_lshrrev_b64 v[4:5], 21, v[4:5]
	v_cmp_gt_i32_e32 vcc_lo, 32, v7
	v_cmp_ne_u32_e64 s10, 0, v7
                                        ; implicit-def: $vgpr6
	s_delay_alu instid0(VALU_DEP_3) | instskip(NEXT) | instid1(VALU_DEP_1)
	v_dual_cndmask_b32 v5, 0, v5 :: v_dual_cndmask_b32 v4, 3, v4
	v_cmp_ne_u64_e32 vcc_lo, 0, v[4:5]
	s_or_b32 s10, s10, vcc_lo
	s_delay_alu instid0(SALU_CYCLE_1) | instskip(NEXT) | instid1(SALU_CYCLE_1)
	s_and_saveexec_b32 s40, s10
	s_xor_b32 s10, exec_lo, s40
; %bb.7831:                             ;   in Loop: Header=BB6_5693 Depth=2
	v_min_i32_e32 v0, 31, v7
	s_delay_alu instid0(VALU_DEP_1) | instskip(NEXT) | instid1(VALU_DEP_1)
	v_lshl_or_b32 v0, v0, 2, v3
                                        ; implicit-def: $vgpr3
	v_and_or_b32 v6, v4, 3, v0
; %bb.7832:                             ;   in Loop: Header=BB6_5693 Depth=2
	s_and_not1_saveexec_b32 s10, s10
; %bb.7833:                             ;   in Loop: Header=BB6_5693 Depth=2
	v_mov_b32_e32 v6, v3
; %bb.7834:                             ;   in Loop: Header=BB6_5693 Depth=2
	s_or_b32 exec_lo, exec_lo, s10
.LBB6_7835:                             ;   in Loop: Header=BB6_5693 Depth=2
	s_delay_alu instid0(SALU_CYCLE_1)
	s_or_b32 exec_lo, exec_lo, s29
                                        ; implicit-def: $vgpr3
.LBB6_7836:                             ;   in Loop: Header=BB6_5693 Depth=2
	s_and_not1_saveexec_b32 s10, s28
; %bb.7837:                             ;   in Loop: Header=BB6_5693 Depth=2
	v_or_b32_e32 v6, 0x7b, v3
; %bb.7838:                             ;   in Loop: Header=BB6_5693 Depth=2
	s_or_b32 exec_lo, exec_lo, s10
                                        ; implicit-def: $vgpr4
.LBB6_7839:                             ;   in Loop: Header=BB6_5693 Depth=2
	s_and_not1_saveexec_b32 s10, s11
	s_cbranch_execz .LBB6_7845
; %bb.7840:                             ;   in Loop: Header=BB6_5693 Depth=2
	s_mov_b32 s11, exec_lo
                                        ; implicit-def: $vgpr6
	v_cmpx_ne_u64_e32 0, v[0:1]
	s_xor_b32 s11, exec_lo, s11
; %bb.7841:                             ;   in Loop: Header=BB6_5693 Depth=2
	v_lshrrev_b32_e32 v0, 24, v4
                                        ; implicit-def: $vgpr4
	s_delay_alu instid0(VALU_DEP_1)
	v_or_b32_e32 v6, 0x7f, v0
; %bb.7842:                             ;   in Loop: Header=BB6_5693 Depth=2
	s_and_not1_saveexec_b32 s11, s11
; %bb.7843:                             ;   in Loop: Header=BB6_5693 Depth=2
	v_cmp_lt_i32_e32 vcc_lo, -1, v4
	v_cndmask_b32_e64 v6, -4, 0x7c, vcc_lo
; %bb.7844:                             ;   in Loop: Header=BB6_5693 Depth=2
	s_or_b32 exec_lo, exec_lo, s11
.LBB6_7845:                             ;   in Loop: Header=BB6_5693 Depth=2
	s_delay_alu instid0(SALU_CYCLE_1) | instskip(SKIP_3) | instid1(VALU_DEP_2)
	s_or_b32 exec_lo, exec_lo, s10
	v_and_b32_e32 v5, 0xff, v114
	v_dual_mov_b32 v0, 0 :: v_dual_mov_b32 v4, 0
	s_mov_b32 s10, exec_lo
	v_cmpx_ne_u16_e32 0, v5
	s_cbranch_execz .LBB6_7855
; %bb.7846:                             ;   in Loop: Header=BB6_5693 Depth=2
	v_bfrev_b32_e32 v4, 1
	s_mov_b32 s11, exec_lo
	v_cmpx_ne_u16_e32 0x80, v5
	s_cbranch_execz .LBB6_7854
; %bb.7847:                             ;   in Loop: Header=BB6_5693 Depth=2
	v_and_b32_e32 v4, 0x7c, v114
	v_and_b32_e32 v3, 3, v114
	s_delay_alu instid0(VALU_DEP_2) | instskip(SKIP_1) | instid1(SALU_CYCLE_1)
	v_cmp_ne_u32_e32 vcc_lo, 0x7c, v4
                                        ; implicit-def: $vgpr4
	s_and_saveexec_b32 s28, vcc_lo
	s_xor_b32 s28, exec_lo, s28
	s_cbranch_execz .LBB6_7851
; %bb.7848:                             ;   in Loop: Header=BB6_5693 Depth=2
	v_bfe_u32 v4, v5, 2, 5
	s_mov_b32 s29, exec_lo
	s_delay_alu instid0(VALU_DEP_1)
	v_cmpx_eq_u32_e32 0, v4
	s_cbranch_execz .LBB6_7850
; %bb.7849:                             ;   in Loop: Header=BB6_5693 Depth=2
	v_clz_i32_u32_e32 v3, v3
	v_dual_mov_b32 v5, v115 :: v_dual_mov_b32 v115, v1
	s_delay_alu instid0(VALU_DEP_2) | instskip(NEXT) | instid1(VALU_DEP_1)
	v_min_u32_e32 v3, 32, v3
	v_subrev_nc_u32_e32 v4, 29, v3
	s_delay_alu instid0(VALU_DEP_1) | instskip(NEXT) | instid1(VALU_DEP_4)
	v_lshlrev_b64_e32 v[34:35], v4, v[114:115]
	v_dual_mov_b32 v115, v5 :: v_dual_sub_nc_u32 v4, 30, v3
	s_delay_alu instid0(VALU_DEP_2)
	v_and_b32_e32 v3, 3, v34
.LBB6_7850:                             ;   in Loop: Header=BB6_5693 Depth=2
	s_or_b32 exec_lo, exec_lo, s29
	v_lshlrev_b32_e32 v5, 24, v114
                                        ; implicit-def: $vgpr114
	s_delay_alu instid0(VALU_DEP_1) | instskip(NEXT) | instid1(VALU_DEP_1)
	v_and_b32_e32 v5, 0x80000000, v5
	v_lshl_add_u32 v4, v4, 23, v5
	s_delay_alu instid0(VALU_DEP_1) | instskip(NEXT) | instid1(VALU_DEP_1)
	v_lshl_or_b32 v3, v3, 21, v4
	v_add_nc_u32_e32 v4, 0x38000000, v3
                                        ; implicit-def: $vgpr3
.LBB6_7851:                             ;   in Loop: Header=BB6_5693 Depth=2
	s_and_not1_saveexec_b32 s28, s28
; %bb.7852:                             ;   in Loop: Header=BB6_5693 Depth=2
	v_bfe_i32 v4, v114, 0, 8
	s_delay_alu instid0(VALU_DEP_1) | instskip(SKIP_1) | instid1(VALU_DEP_1)
	v_cmp_lt_i16_e32 vcc_lo, -1, v4
	v_mov_b32_e32 v4, 0x7f800000
	v_cndmask_b32_e32 v4, 0xff800000, v4, vcc_lo
	v_cmp_eq_u32_e32 vcc_lo, 0, v3
	s_delay_alu instid0(VALU_DEP_2)
	v_cndmask_b32_e32 v4, 0x7f800001, v4, vcc_lo
; %bb.7853:                             ;   in Loop: Header=BB6_5693 Depth=2
	s_or_b32 exec_lo, exec_lo, s28
.LBB6_7854:                             ;   in Loop: Header=BB6_5693 Depth=2
	s_delay_alu instid0(SALU_CYCLE_1)
	s_or_b32 exec_lo, exec_lo, s11
.LBB6_7855:                             ;   in Loop: Header=BB6_5693 Depth=2
	s_delay_alu instid0(SALU_CYCLE_1) | instskip(NEXT) | instid1(SALU_CYCLE_1)
	s_or_b32 exec_lo, exec_lo, s10
	s_mov_b32 s10, exec_lo
	s_wait_loadcnt_dscnt 0x707
	v_cmpx_ne_u16_e32 0, v2
	s_cbranch_execz .LBB6_7865
; %bb.7856:                             ;   in Loop: Header=BB6_5693 Depth=2
	v_bfrev_b32_e32 v0, 1
	s_mov_b32 s11, exec_lo
	v_cmpx_ne_u16_e32 0xff80, v2
	s_cbranch_execz .LBB6_7864
; %bb.7857:                             ;   in Loop: Header=BB6_5693 Depth=2
	v_and_b32_e32 v0, 0x7c, v2
	v_and_b32_e32 v3, 3, v2
	s_delay_alu instid0(VALU_DEP_2) | instskip(SKIP_1) | instid1(SALU_CYCLE_1)
	v_cmp_ne_u32_e32 vcc_lo, 0x7c, v0
                                        ; implicit-def: $vgpr0
	s_and_saveexec_b32 s28, vcc_lo
	s_xor_b32 s28, exec_lo, s28
	s_cbranch_execz .LBB6_7861
; %bb.7858:                             ;   in Loop: Header=BB6_5693 Depth=2
	v_and_b32_e32 v0, 0xff, v2
	s_mov_b32 s29, exec_lo
	s_delay_alu instid0(VALU_DEP_1) | instskip(NEXT) | instid1(VALU_DEP_1)
	v_bfe_u32 v0, v0, 2, 5
	v_cmpx_eq_u32_e32 0, v0
	s_cbranch_execz .LBB6_7860
; %bb.7859:                             ;   in Loop: Header=BB6_5693 Depth=2
	v_clz_i32_u32_e32 v0, v3
	s_delay_alu instid0(VALU_DEP_1) | instskip(SKIP_1) | instid1(VALU_DEP_2)
	v_min_u32_e32 v0, 32, v0
	v_mov_b32_e32 v3, v1
	v_subrev_nc_u32_e32 v5, 29, v0
	v_sub_nc_u32_e32 v0, 30, v0
	s_delay_alu instid0(VALU_DEP_2) | instskip(NEXT) | instid1(VALU_DEP_1)
	v_lshlrev_b64_e32 v[34:35], v5, v[2:3]
	v_and_b32_e32 v3, 3, v34
.LBB6_7860:                             ;   in Loop: Header=BB6_5693 Depth=2
	s_or_b32 exec_lo, exec_lo, s29
	v_bfe_i32 v2, v2, 0, 16
	s_delay_alu instid0(VALU_DEP_1) | instskip(NEXT) | instid1(VALU_DEP_1)
	v_and_b32_e32 v2, 0x80000000, v2
	v_lshl_add_u32 v0, v0, 23, v2
                                        ; implicit-def: $vgpr2
	s_delay_alu instid0(VALU_DEP_1) | instskip(NEXT) | instid1(VALU_DEP_1)
	v_lshl_or_b32 v0, v3, 21, v0
                                        ; implicit-def: $vgpr3
	v_add_nc_u32_e32 v0, 0x38000000, v0
.LBB6_7861:                             ;   in Loop: Header=BB6_5693 Depth=2
	s_and_not1_saveexec_b32 s28, s28
; %bb.7862:                             ;   in Loop: Header=BB6_5693 Depth=2
	v_cmp_lt_i16_e32 vcc_lo, -1, v2
	v_mov_b32_e32 v0, 0x7f800000
	s_delay_alu instid0(VALU_DEP_1) | instskip(SKIP_1) | instid1(VALU_DEP_2)
	v_cndmask_b32_e32 v0, 0xff800000, v0, vcc_lo
	v_cmp_eq_u32_e32 vcc_lo, 0, v3
	v_cndmask_b32_e32 v0, 0x7f800001, v0, vcc_lo
; %bb.7863:                             ;   in Loop: Header=BB6_5693 Depth=2
	s_or_b32 exec_lo, exec_lo, s28
.LBB6_7864:                             ;   in Loop: Header=BB6_5693 Depth=2
	s_delay_alu instid0(SALU_CYCLE_1)
	s_or_b32 exec_lo, exec_lo, s11
.LBB6_7865:                             ;   in Loop: Header=BB6_5693 Depth=2
	s_delay_alu instid0(SALU_CYCLE_1) | instskip(NEXT) | instid1(VALU_DEP_1)
	s_or_b32 exec_lo, exec_lo, s10
	v_dual_add_f32 v2, v4, v0 :: v_dual_mov_b32 v5, v1
                                        ; implicit-def: $vgpr7
	s_mov_b32 s10, exec_lo
	s_delay_alu instid0(VALU_DEP_1) | instskip(SKIP_1) | instid1(VALU_DEP_2)
	v_and_b32_e32 v4, 0x7f800000, v2
	v_and_b32_e32 v0, 0x7fffff, v2
	v_cmpx_ne_u64_e32 0x7f800000, v[4:5]
	s_xor_b32 s11, exec_lo, s10
	s_cbranch_execz .LBB6_7883
; %bb.7866:                             ;   in Loop: Header=BB6_5693 Depth=2
	v_dual_mov_b32 v5, v1 :: v_dual_lshrrev_b32 v3, 24, v2
	v_and_b32_e32 v4, 0x7fffffff, v2
                                        ; implicit-def: $vgpr7
	s_mov_b32 s10, exec_lo
	s_delay_alu instid0(VALU_DEP_2) | instskip(NEXT) | instid1(VALU_DEP_2)
	v_and_b32_e32 v19, 0x80, v3
	v_cmpx_gt_u64_e32 0x47600001, v[4:5]
	s_xor_b32 s28, exec_lo, s10
	s_cbranch_execz .LBB6_7880
; %bb.7867:                             ;   in Loop: Header=BB6_5693 Depth=2
	v_mov_b32_e32 v7, 0
	s_mov_b32 s29, exec_lo
	v_cmpx_ne_u32_e32 0, v2
	s_cbranch_execz .LBB6_7879
; %bb.7868:                             ;   in Loop: Header=BB6_5693 Depth=2
	v_bfe_u32 v7, v2, 23, 8
	v_or_b32_e32 v4, 0x800000, v0
	s_mov_b32 s40, exec_lo
	s_delay_alu instid0(VALU_DEP_2) | instskip(SKIP_1) | instid1(VALU_DEP_2)
	v_dual_mov_b32 v5, v1 :: v_dual_sub_nc_u32 v2, 0x71, v7
	v_cmp_gt_u32_e32 vcc_lo, 0x72, v7
	v_cndmask_b32_e32 v2, 0, v2, vcc_lo
	v_cmp_eq_u32_e32 vcc_lo, 0, v7
	v_cndmask_b32_e32 v4, v4, v0, vcc_lo
	s_delay_alu instid0(VALU_DEP_3) | instskip(NEXT) | instid1(VALU_DEP_1)
	v_cndmask_b32_e64 v34, v2, 0x70, vcc_lo
	v_dual_add_nc_u32 v2, 21, v34 :: v_dual_add_nc_u32 v35, 20, v34
	s_delay_alu instid0(VALU_DEP_1) | instskip(NEXT) | instid1(VALU_DEP_2)
	v_lshlrev_b64_e64 v[2:3], v2, -1
	v_lshlrev_b64_e64 v[36:37], v35, 1
	s_delay_alu instid0(VALU_DEP_2) | instskip(NEXT) | instid1(VALU_DEP_3)
	v_bfi_b32 v51, v3, 0, 0
	v_bfi_b32 v50, v2, 0, v4
	v_lshrrev_b64 v[2:3], v34, v[4:5]
	s_delay_alu instid0(VALU_DEP_1) | instskip(NEXT) | instid1(VALU_DEP_3)
	v_mov_b64_e32 v[4:5], v[2:3]
	v_cmpx_eq_u64_e64 v[50:51], v[36:37]
; %bb.7869:                             ;   in Loop: Header=BB6_5693 Depth=2
	v_bfe_u32 v4, v2, 21, 1
	v_mov_b32_e32 v5, v1
	s_delay_alu instid0(VALU_DEP_1) | instskip(NEXT) | instid1(VALU_DEP_1)
	v_add_nc_u64_e32 v[4:5], v[2:3], v[4:5]
	v_add_nc_u64_e32 v[4:5], -1, v[4:5]
; %bb.7870:                             ;   in Loop: Header=BB6_5693 Depth=2
	s_or_b32 exec_lo, exec_lo, s40
	v_add_nc_u32_e32 v0, 0xffffff81, v7
	s_delay_alu instid0(VALU_DEP_2) | instskip(SKIP_2) | instid1(VALU_DEP_3)
	v_and_b32_e32 v4, 0x1fffff, v4
	v_lshrrev_b32_e32 v3, 23, v2
	s_mov_b32 s10, exec_lo
	v_cndmask_b32_e64 v0, v0, 0xffffff82, vcc_lo
	s_delay_alu instid0(VALU_DEP_1) | instskip(SKIP_1) | instid1(VALU_DEP_2)
	v_add3_u32 v5, v34, v0, v3
	v_add_nc_u32_e32 v0, v4, v2
                                        ; implicit-def: $vgpr2_vgpr3
                                        ; implicit-def: $vgpr4
	v_add_nc_u32_e32 v7, 14, v5
	s_delay_alu instid0(VALU_DEP_1)
	v_cmpx_ne_u32_e32 0, v7
	s_xor_b32 s10, exec_lo, s10
; %bb.7871:                             ;   in Loop: Header=BB6_5693 Depth=2
	s_delay_alu instid0(VALU_DEP_3) | instskip(SKIP_1) | instid1(VALU_DEP_1)
	v_cmp_lt_u64_e32 vcc_lo, 0xffffff, v[0:1]
	v_add_nc_u32_e32 v2, 15, v5
	v_cndmask_b32_e32 v4, v7, v2, vcc_lo
	v_cndmask_b32_e64 v2, 0, 1, vcc_lo
	s_delay_alu instid0(VALU_DEP_1)
	v_lshrrev_b64 v[2:3], v2, v[0:1]
; %bb.7872:                             ;   in Loop: Header=BB6_5693 Depth=2
	s_and_not1_saveexec_b32 s10, s10
; %bb.7873:                             ;   in Loop: Header=BB6_5693 Depth=2
	v_mov_b64_e32 v[2:3], v[0:1]
	v_bfe_u32 v4, v0, 23, 1
; %bb.7874:                             ;   in Loop: Header=BB6_5693 Depth=2
	s_or_b32 exec_lo, exec_lo, s10
	s_delay_alu instid0(VALU_DEP_2) | instskip(NEXT) | instid1(VALU_DEP_2)
	v_lshrrev_b64 v[2:3], 21, v[2:3]
	v_cmp_gt_i32_e32 vcc_lo, 32, v4
	v_cmp_ne_u32_e64 s10, 0, v4
                                        ; implicit-def: $vgpr7
	s_delay_alu instid0(VALU_DEP_3) | instskip(NEXT) | instid1(VALU_DEP_1)
	v_dual_cndmask_b32 v3, 0, v3 :: v_dual_cndmask_b32 v2, 3, v2
	v_cmp_ne_u64_e32 vcc_lo, 0, v[2:3]
	s_or_b32 s10, s10, vcc_lo
	s_delay_alu instid0(SALU_CYCLE_1) | instskip(NEXT) | instid1(SALU_CYCLE_1)
	s_and_saveexec_b32 s40, s10
	s_xor_b32 s10, exec_lo, s40
; %bb.7875:                             ;   in Loop: Header=BB6_5693 Depth=2
	v_min_i32_e32 v0, 31, v4
	s_delay_alu instid0(VALU_DEP_1) | instskip(NEXT) | instid1(VALU_DEP_1)
	v_lshl_or_b32 v0, v0, 2, v19
                                        ; implicit-def: $vgpr19
	v_and_or_b32 v7, v2, 3, v0
; %bb.7876:                             ;   in Loop: Header=BB6_5693 Depth=2
	s_and_not1_saveexec_b32 s10, s10
; %bb.7877:                             ;   in Loop: Header=BB6_5693 Depth=2
	v_mov_b32_e32 v7, v19
; %bb.7878:                             ;   in Loop: Header=BB6_5693 Depth=2
	s_or_b32 exec_lo, exec_lo, s10
.LBB6_7879:                             ;   in Loop: Header=BB6_5693 Depth=2
	s_delay_alu instid0(SALU_CYCLE_1)
	s_or_b32 exec_lo, exec_lo, s29
                                        ; implicit-def: $vgpr19
.LBB6_7880:                             ;   in Loop: Header=BB6_5693 Depth=2
	s_and_not1_saveexec_b32 s10, s28
; %bb.7881:                             ;   in Loop: Header=BB6_5693 Depth=2
	v_or_b32_e32 v7, 0x7b, v19
; %bb.7882:                             ;   in Loop: Header=BB6_5693 Depth=2
	s_or_b32 exec_lo, exec_lo, s10
                                        ; implicit-def: $vgpr2
.LBB6_7883:                             ;   in Loop: Header=BB6_5693 Depth=2
	s_and_not1_saveexec_b32 s10, s11
	s_cbranch_execz .LBB6_7889
; %bb.7884:                             ;   in Loop: Header=BB6_5693 Depth=2
	s_mov_b32 s11, exec_lo
                                        ; implicit-def: $vgpr7
	v_cmpx_ne_u64_e32 0, v[0:1]
	s_xor_b32 s11, exec_lo, s11
; %bb.7885:                             ;   in Loop: Header=BB6_5693 Depth=2
	v_lshrrev_b32_e32 v0, 24, v2
                                        ; implicit-def: $vgpr2
	s_delay_alu instid0(VALU_DEP_1)
	v_or_b32_e32 v7, 0x7f, v0
; %bb.7886:                             ;   in Loop: Header=BB6_5693 Depth=2
	s_and_not1_saveexec_b32 s11, s11
; %bb.7887:                             ;   in Loop: Header=BB6_5693 Depth=2
	v_cmp_lt_i32_e32 vcc_lo, -1, v2
	v_cndmask_b32_e64 v7, -4, 0x7c, vcc_lo
; %bb.7888:                             ;   in Loop: Header=BB6_5693 Depth=2
	s_or_b32 exec_lo, exec_lo, s11
.LBB6_7889:                             ;   in Loop: Header=BB6_5693 Depth=2
	s_delay_alu instid0(SALU_CYCLE_1) | instskip(SKIP_3) | instid1(VALU_DEP_2)
	s_or_b32 exec_lo, exec_lo, s10
	v_and_b32_e32 v4, 0xff, v112
	v_dual_mov_b32 v0, 0 :: v_dual_mov_b32 v2, 0
	s_mov_b32 s10, exec_lo
	v_cmpx_ne_u16_e32 0, v4
	s_cbranch_execz .LBB6_7899
; %bb.7890:                             ;   in Loop: Header=BB6_5693 Depth=2
	v_bfrev_b32_e32 v2, 1
	s_mov_b32 s11, exec_lo
	v_cmpx_ne_u16_e32 0x80, v4
	s_cbranch_execz .LBB6_7898
; %bb.7891:                             ;   in Loop: Header=BB6_5693 Depth=2
	v_and_b32_e32 v2, 0x7c, v112
	v_and_b32_e32 v3, 3, v112
	s_delay_alu instid0(VALU_DEP_2) | instskip(SKIP_1) | instid1(SALU_CYCLE_1)
	v_cmp_ne_u32_e32 vcc_lo, 0x7c, v2
                                        ; implicit-def: $vgpr2
	s_and_saveexec_b32 s28, vcc_lo
	s_xor_b32 s28, exec_lo, s28
	s_cbranch_execz .LBB6_7895
; %bb.7892:                             ;   in Loop: Header=BB6_5693 Depth=2
	v_bfe_u32 v2, v4, 2, 5
	s_mov_b32 s29, exec_lo
	s_delay_alu instid0(VALU_DEP_1)
	v_cmpx_eq_u32_e32 0, v2
	s_cbranch_execz .LBB6_7894
; %bb.7893:                             ;   in Loop: Header=BB6_5693 Depth=2
	v_clz_i32_u32_e32 v2, v3
	s_delay_alu instid0(VALU_DEP_1) | instskip(SKIP_1) | instid1(VALU_DEP_2)
	v_min_u32_e32 v2, 32, v2
	v_mov_b32_e32 v113, v1
	v_subrev_nc_u32_e32 v3, 29, v2
	v_sub_nc_u32_e32 v2, 30, v2
	s_delay_alu instid0(VALU_DEP_2) | instskip(SKIP_1) | instid1(VALU_DEP_2)
	v_lshlrev_b64_e32 v[4:5], v3, v[112:113]
	v_mov_b32_e32 v113, 0x90
	v_and_b32_e32 v3, 3, v4
.LBB6_7894:                             ;   in Loop: Header=BB6_5693 Depth=2
	s_or_b32 exec_lo, exec_lo, s29
	v_lshlrev_b32_e32 v4, 24, v112
                                        ; implicit-def: $vgpr112
	s_delay_alu instid0(VALU_DEP_1) | instskip(NEXT) | instid1(VALU_DEP_1)
	v_and_b32_e32 v4, 0x80000000, v4
	v_lshl_add_u32 v2, v2, 23, v4
	s_delay_alu instid0(VALU_DEP_1) | instskip(NEXT) | instid1(VALU_DEP_1)
	v_lshl_or_b32 v2, v3, 21, v2
                                        ; implicit-def: $vgpr3
	v_add_nc_u32_e32 v2, 0x38000000, v2
.LBB6_7895:                             ;   in Loop: Header=BB6_5693 Depth=2
	s_and_not1_saveexec_b32 s28, s28
; %bb.7896:                             ;   in Loop: Header=BB6_5693 Depth=2
	v_bfe_i32 v2, v112, 0, 8
	s_delay_alu instid0(VALU_DEP_1) | instskip(SKIP_1) | instid1(VALU_DEP_1)
	v_cmp_lt_i16_e32 vcc_lo, -1, v2
	v_mov_b32_e32 v2, 0x7f800000
	v_cndmask_b32_e32 v2, 0xff800000, v2, vcc_lo
	v_cmp_eq_u32_e32 vcc_lo, 0, v3
	s_delay_alu instid0(VALU_DEP_2)
	v_cndmask_b32_e32 v2, 0x7f800001, v2, vcc_lo
; %bb.7897:                             ;   in Loop: Header=BB6_5693 Depth=2
	s_or_b32 exec_lo, exec_lo, s28
.LBB6_7898:                             ;   in Loop: Header=BB6_5693 Depth=2
	s_delay_alu instid0(SALU_CYCLE_1)
	s_or_b32 exec_lo, exec_lo, s11
.LBB6_7899:                             ;   in Loop: Header=BB6_5693 Depth=2
	s_delay_alu instid0(SALU_CYCLE_1) | instskip(NEXT) | instid1(SALU_CYCLE_1)
	s_or_b32 exec_lo, exec_lo, s10
	s_mov_b32 s10, exec_lo
	s_wait_loadcnt_dscnt 0x606
	v_cmpx_ne_u16_e32 0, v110
	s_cbranch_execz .LBB6_7909
; %bb.7900:                             ;   in Loop: Header=BB6_5693 Depth=2
	v_bfrev_b32_e32 v0, 1
	s_mov_b32 s11, exec_lo
	v_cmpx_ne_u16_e32 0xff80, v110
	s_cbranch_execz .LBB6_7908
; %bb.7901:                             ;   in Loop: Header=BB6_5693 Depth=2
	v_and_b32_e32 v0, 0x7c, v110
	v_and_b32_e32 v3, 3, v110
	s_delay_alu instid0(VALU_DEP_2) | instskip(SKIP_1) | instid1(SALU_CYCLE_1)
	v_cmp_ne_u32_e32 vcc_lo, 0x7c, v0
                                        ; implicit-def: $vgpr0
	s_and_saveexec_b32 s28, vcc_lo
	s_xor_b32 s28, exec_lo, s28
	s_cbranch_execz .LBB6_7905
; %bb.7902:                             ;   in Loop: Header=BB6_5693 Depth=2
	v_and_b32_e32 v0, 0xff, v110
	s_mov_b32 s29, exec_lo
	s_delay_alu instid0(VALU_DEP_1) | instskip(NEXT) | instid1(VALU_DEP_1)
	v_bfe_u32 v0, v0, 2, 5
	v_cmpx_eq_u32_e32 0, v0
	s_cbranch_execz .LBB6_7904
; %bb.7903:                             ;   in Loop: Header=BB6_5693 Depth=2
	v_clz_i32_u32_e32 v0, v3
	s_delay_alu instid0(VALU_DEP_1) | instskip(SKIP_1) | instid1(VALU_DEP_2)
	v_min_u32_e32 v0, 32, v0
	v_mov_b32_e32 v111, v1
	v_subrev_nc_u32_e32 v3, 29, v0
	v_sub_nc_u32_e32 v0, 30, v0
	s_delay_alu instid0(VALU_DEP_2) | instskip(NEXT) | instid1(VALU_DEP_1)
	v_lshlrev_b64_e32 v[4:5], v3, v[110:111]
	v_and_b32_e32 v3, 3, v4
.LBB6_7904:                             ;   in Loop: Header=BB6_5693 Depth=2
	s_or_b32 exec_lo, exec_lo, s29
	v_bfe_i32 v4, v110, 0, 16
                                        ; implicit-def: $vgpr110
	s_delay_alu instid0(VALU_DEP_1) | instskip(NEXT) | instid1(VALU_DEP_1)
	v_and_b32_e32 v4, 0x80000000, v4
	v_lshl_add_u32 v0, v0, 23, v4
	s_delay_alu instid0(VALU_DEP_1) | instskip(NEXT) | instid1(VALU_DEP_1)
	v_lshl_or_b32 v0, v3, 21, v0
                                        ; implicit-def: $vgpr3
	v_add_nc_u32_e32 v0, 0x38000000, v0
.LBB6_7905:                             ;   in Loop: Header=BB6_5693 Depth=2
	s_and_not1_saveexec_b32 s28, s28
; %bb.7906:                             ;   in Loop: Header=BB6_5693 Depth=2
	v_cmp_lt_i16_e32 vcc_lo, -1, v110
	v_mov_b32_e32 v0, 0x7f800000
	s_delay_alu instid0(VALU_DEP_1) | instskip(SKIP_1) | instid1(VALU_DEP_2)
	v_cndmask_b32_e32 v0, 0xff800000, v0, vcc_lo
	v_cmp_eq_u32_e32 vcc_lo, 0, v3
	v_cndmask_b32_e32 v0, 0x7f800001, v0, vcc_lo
; %bb.7907:                             ;   in Loop: Header=BB6_5693 Depth=2
	s_or_b32 exec_lo, exec_lo, s28
.LBB6_7908:                             ;   in Loop: Header=BB6_5693 Depth=2
	s_delay_alu instid0(SALU_CYCLE_1)
	s_or_b32 exec_lo, exec_lo, s11
.LBB6_7909:                             ;   in Loop: Header=BB6_5693 Depth=2
	s_delay_alu instid0(SALU_CYCLE_1) | instskip(NEXT) | instid1(VALU_DEP_1)
	s_or_b32 exec_lo, exec_lo, s10
	v_dual_add_f32 v2, v2, v0 :: v_dual_mov_b32 v5, v1
                                        ; implicit-def: $vgpr34
	s_mov_b32 s10, exec_lo
	s_delay_alu instid0(VALU_DEP_1) | instskip(SKIP_1) | instid1(VALU_DEP_2)
	v_and_b32_e32 v4, 0x7f800000, v2
	v_and_b32_e32 v0, 0x7fffff, v2
	v_cmpx_ne_u64_e32 0x7f800000, v[4:5]
	s_xor_b32 s11, exec_lo, s10
	s_cbranch_execz .LBB6_7927
; %bb.7910:                             ;   in Loop: Header=BB6_5693 Depth=2
	v_dual_mov_b32 v5, v1 :: v_dual_lshrrev_b32 v3, 24, v2
	v_and_b32_e32 v4, 0x7fffffff, v2
                                        ; implicit-def: $vgpr34
	s_mov_b32 s10, exec_lo
	s_delay_alu instid0(VALU_DEP_2) | instskip(NEXT) | instid1(VALU_DEP_2)
	v_and_b32_e32 v19, 0x80, v3
	v_cmpx_gt_u64_e32 0x47600001, v[4:5]
	s_xor_b32 s28, exec_lo, s10
	s_cbranch_execz .LBB6_7924
; %bb.7911:                             ;   in Loop: Header=BB6_5693 Depth=2
	v_mov_b32_e32 v34, 0
	s_mov_b32 s29, exec_lo
	v_cmpx_ne_u32_e32 0, v2
	s_cbranch_execz .LBB6_7923
; %bb.7912:                             ;   in Loop: Header=BB6_5693 Depth=2
	v_bfe_u32 v34, v2, 23, 8
	v_or_b32_e32 v4, 0x800000, v0
	s_mov_b32 s40, exec_lo
	s_delay_alu instid0(VALU_DEP_2) | instskip(SKIP_1) | instid1(VALU_DEP_2)
	v_dual_mov_b32 v5, v1 :: v_dual_sub_nc_u32 v2, 0x71, v34
	v_cmp_gt_u32_e32 vcc_lo, 0x72, v34
	v_cndmask_b32_e32 v2, 0, v2, vcc_lo
	v_cmp_eq_u32_e32 vcc_lo, 0, v34
	s_delay_alu instid0(VALU_DEP_2) | instskip(NEXT) | instid1(VALU_DEP_1)
	v_cndmask_b32_e64 v35, v2, 0x70, vcc_lo
	v_dual_cndmask_b32 v4, v4, v0, vcc_lo :: v_dual_add_nc_u32 v2, 21, v35
	v_add_nc_u32_e32 v36, 20, v35
	s_delay_alu instid0(VALU_DEP_2) | instskip(NEXT) | instid1(VALU_DEP_2)
	v_lshlrev_b64_e64 v[2:3], v2, -1
	v_lshlrev_b64_e64 v[36:37], v36, 1
	s_delay_alu instid0(VALU_DEP_2) | instskip(NEXT) | instid1(VALU_DEP_3)
	v_bfi_b32 v51, v3, 0, 0
	v_bfi_b32 v50, v2, 0, v4
	v_lshrrev_b64 v[2:3], v35, v[4:5]
	s_delay_alu instid0(VALU_DEP_1) | instskip(NEXT) | instid1(VALU_DEP_3)
	v_mov_b64_e32 v[4:5], v[2:3]
	v_cmpx_eq_u64_e64 v[50:51], v[36:37]
; %bb.7913:                             ;   in Loop: Header=BB6_5693 Depth=2
	v_bfe_u32 v4, v2, 21, 1
	v_mov_b32_e32 v5, v1
	s_delay_alu instid0(VALU_DEP_1) | instskip(NEXT) | instid1(VALU_DEP_1)
	v_add_nc_u64_e32 v[4:5], v[2:3], v[4:5]
	v_add_nc_u64_e32 v[4:5], -1, v[4:5]
; %bb.7914:                             ;   in Loop: Header=BB6_5693 Depth=2
	s_or_b32 exec_lo, exec_lo, s40
	v_add_nc_u32_e32 v0, 0xffffff81, v34
	s_delay_alu instid0(VALU_DEP_2) | instskip(SKIP_2) | instid1(VALU_DEP_3)
	v_and_b32_e32 v4, 0x1fffff, v4
	v_lshrrev_b32_e32 v3, 23, v2
	s_mov_b32 s10, exec_lo
	v_cndmask_b32_e64 v0, v0, 0xffffff82, vcc_lo
	s_delay_alu instid0(VALU_DEP_1) | instskip(SKIP_1) | instid1(VALU_DEP_2)
	v_add3_u32 v5, v35, v0, v3
	v_add_nc_u32_e32 v0, v4, v2
                                        ; implicit-def: $vgpr2_vgpr3
                                        ; implicit-def: $vgpr4
	v_add_nc_u32_e32 v34, 14, v5
	s_delay_alu instid0(VALU_DEP_1)
	v_cmpx_ne_u32_e32 0, v34
	s_xor_b32 s10, exec_lo, s10
; %bb.7915:                             ;   in Loop: Header=BB6_5693 Depth=2
	s_delay_alu instid0(VALU_DEP_3) | instskip(SKIP_1) | instid1(VALU_DEP_1)
	v_cmp_lt_u64_e32 vcc_lo, 0xffffff, v[0:1]
	v_add_nc_u32_e32 v2, 15, v5
	v_cndmask_b32_e32 v4, v34, v2, vcc_lo
	v_cndmask_b32_e64 v2, 0, 1, vcc_lo
	s_delay_alu instid0(VALU_DEP_1)
	v_lshrrev_b64 v[2:3], v2, v[0:1]
; %bb.7916:                             ;   in Loop: Header=BB6_5693 Depth=2
	s_and_not1_saveexec_b32 s10, s10
; %bb.7917:                             ;   in Loop: Header=BB6_5693 Depth=2
	v_mov_b64_e32 v[2:3], v[0:1]
	v_bfe_u32 v4, v0, 23, 1
; %bb.7918:                             ;   in Loop: Header=BB6_5693 Depth=2
	s_or_b32 exec_lo, exec_lo, s10
	s_delay_alu instid0(VALU_DEP_2) | instskip(NEXT) | instid1(VALU_DEP_2)
	v_lshrrev_b64 v[2:3], 21, v[2:3]
	v_cmp_gt_i32_e32 vcc_lo, 32, v4
	v_cmp_ne_u32_e64 s10, 0, v4
                                        ; implicit-def: $vgpr34
	s_delay_alu instid0(VALU_DEP_3) | instskip(NEXT) | instid1(VALU_DEP_1)
	v_dual_cndmask_b32 v3, 0, v3 :: v_dual_cndmask_b32 v2, 3, v2
	v_cmp_ne_u64_e32 vcc_lo, 0, v[2:3]
	s_or_b32 s10, s10, vcc_lo
	s_delay_alu instid0(SALU_CYCLE_1) | instskip(NEXT) | instid1(SALU_CYCLE_1)
	s_and_saveexec_b32 s40, s10
	s_xor_b32 s10, exec_lo, s40
; %bb.7919:                             ;   in Loop: Header=BB6_5693 Depth=2
	v_min_i32_e32 v0, 31, v4
	s_delay_alu instid0(VALU_DEP_1) | instskip(NEXT) | instid1(VALU_DEP_1)
	v_lshl_or_b32 v0, v0, 2, v19
                                        ; implicit-def: $vgpr19
	v_and_or_b32 v34, v2, 3, v0
; %bb.7920:                             ;   in Loop: Header=BB6_5693 Depth=2
	s_and_not1_saveexec_b32 s10, s10
; %bb.7921:                             ;   in Loop: Header=BB6_5693 Depth=2
	v_mov_b32_e32 v34, v19
; %bb.7922:                             ;   in Loop: Header=BB6_5693 Depth=2
	s_or_b32 exec_lo, exec_lo, s10
.LBB6_7923:                             ;   in Loop: Header=BB6_5693 Depth=2
	s_delay_alu instid0(SALU_CYCLE_1)
	s_or_b32 exec_lo, exec_lo, s29
                                        ; implicit-def: $vgpr19
.LBB6_7924:                             ;   in Loop: Header=BB6_5693 Depth=2
	s_and_not1_saveexec_b32 s10, s28
; %bb.7925:                             ;   in Loop: Header=BB6_5693 Depth=2
	v_or_b32_e32 v34, 0x7b, v19
; %bb.7926:                             ;   in Loop: Header=BB6_5693 Depth=2
	s_or_b32 exec_lo, exec_lo, s10
                                        ; implicit-def: $vgpr2
.LBB6_7927:                             ;   in Loop: Header=BB6_5693 Depth=2
	s_and_not1_saveexec_b32 s10, s11
	s_cbranch_execz .LBB6_7933
; %bb.7928:                             ;   in Loop: Header=BB6_5693 Depth=2
	s_mov_b32 s11, exec_lo
                                        ; implicit-def: $vgpr34
	v_cmpx_ne_u64_e32 0, v[0:1]
	s_xor_b32 s11, exec_lo, s11
; %bb.7929:                             ;   in Loop: Header=BB6_5693 Depth=2
	v_lshrrev_b32_e32 v0, 24, v2
                                        ; implicit-def: $vgpr2
	s_delay_alu instid0(VALU_DEP_1)
	v_or_b32_e32 v34, 0x7f, v0
; %bb.7930:                             ;   in Loop: Header=BB6_5693 Depth=2
	s_and_not1_saveexec_b32 s11, s11
; %bb.7931:                             ;   in Loop: Header=BB6_5693 Depth=2
	v_cmp_lt_i32_e32 vcc_lo, -1, v2
	v_cndmask_b32_e64 v34, -4, 0x7c, vcc_lo
; %bb.7932:                             ;   in Loop: Header=BB6_5693 Depth=2
	s_or_b32 exec_lo, exec_lo, s11
.LBB6_7933:                             ;   in Loop: Header=BB6_5693 Depth=2
	s_delay_alu instid0(SALU_CYCLE_1)
	s_or_b32 exec_lo, exec_lo, s10
	scratch_load_b64 v[2:3], off, s33 offset:268 ; 8-byte Folded Reload
	v_mov_b32_e32 v0, 0
	s_mov_b32 s10, exec_lo
	s_wait_loadcnt 0x0
	v_and_b32_e32 v4, 0xff, v2
	v_mov_b32_e32 v2, 0
	s_wait_xcnt 0x0
	s_delay_alu instid0(VALU_DEP_2)
	v_cmpx_ne_u16_e32 0, v4
	s_cbranch_execz .LBB6_7943
; %bb.7934:                             ;   in Loop: Header=BB6_5693 Depth=2
	v_bfrev_b32_e32 v2, 1
	s_mov_b32 s11, exec_lo
	v_cmpx_ne_u16_e32 0x80, v4
	s_cbranch_execz .LBB6_7942
; %bb.7935:                             ;   in Loop: Header=BB6_5693 Depth=2
	scratch_load_b64 v[2:3], off, s33 offset:268 ; 8-byte Folded Reload
	s_wait_loadcnt 0x0
	v_mov_b32_e32 v36, v2
	s_delay_alu instid0(VALU_DEP_1) | instskip(SKIP_1) | instid1(VALU_DEP_2)
	v_and_b32_e32 v2, 0x7c, v36
	v_and_b32_e32 v3, 3, v36
	v_cmp_ne_u32_e32 vcc_lo, 0x7c, v2
                                        ; implicit-def: $vgpr2
	s_wait_xcnt 0x0
	s_and_saveexec_b32 s28, vcc_lo
	s_delay_alu instid0(SALU_CYCLE_1)
	s_xor_b32 s28, exec_lo, s28
	s_cbranch_execz .LBB6_7939
; %bb.7936:                             ;   in Loop: Header=BB6_5693 Depth=2
	v_bfe_u32 v2, v4, 2, 5
	s_mov_b32 s29, exec_lo
	s_delay_alu instid0(VALU_DEP_1)
	v_cmpx_eq_u32_e32 0, v2
	s_cbranch_execz .LBB6_7938
; %bb.7937:                             ;   in Loop: Header=BB6_5693 Depth=2
	scratch_load_b64 v[4:5], off, s33 offset:268 th:TH_LOAD_LU ; 8-byte Folded Reload
	v_clz_i32_u32_e32 v2, v3
	s_wait_loadcnt 0x0
	v_mov_b32_e32 v5, v1
	s_delay_alu instid0(VALU_DEP_2) | instskip(NEXT) | instid1(VALU_DEP_1)
	v_min_u32_e32 v2, 32, v2
	v_subrev_nc_u32_e32 v3, 29, v2
	v_mov_b32_e32 v36, v4
	s_delay_alu instid0(VALU_DEP_2)
	v_lshlrev_b64_e32 v[4:5], v3, v[4:5]
	v_sub_nc_u32_e32 v2, 30, v2
	scratch_store_b64 off, v[36:37], s33 offset:268 ; 8-byte Folded Spill
	v_and_b32_e32 v3, 3, v4
.LBB6_7938:                             ;   in Loop: Header=BB6_5693 Depth=2
	s_wait_xcnt 0x0
	s_or_b32 exec_lo, exec_lo, s29
	scratch_load_b64 v[4:5], off, s33 offset:268 th:TH_LOAD_LU ; 8-byte Folded Reload
	s_wait_loadcnt 0x0
	v_lshlrev_b32_e32 v4, 24, v4
	s_delay_alu instid0(VALU_DEP_1) | instskip(NEXT) | instid1(VALU_DEP_1)
	v_and_b32_e32 v4, 0x80000000, v4
	v_lshl_add_u32 v2, v2, 23, v4
                                        ; implicit-def: $vgpr4
	scratch_store_b64 off, v[4:5], s33 offset:268 ; 8-byte Folded Spill
	v_lshl_or_b32 v2, v3, 21, v2
                                        ; implicit-def: $vgpr3
	s_delay_alu instid0(VALU_DEP_1)
	v_add_nc_u32_e32 v2, 0x38000000, v2
.LBB6_7939:                             ;   in Loop: Header=BB6_5693 Depth=2
	s_wait_xcnt 0x0
	s_and_not1_saveexec_b32 s28, s28
	s_cbranch_execz .LBB6_7941
; %bb.7940:                             ;   in Loop: Header=BB6_5693 Depth=2
	scratch_load_b64 v[4:5], off, s33 offset:268 th:TH_LOAD_LU ; 8-byte Folded Reload
	s_wait_loadcnt 0x0
	v_bfe_i32 v2, v4, 0, 8
	s_delay_alu instid0(VALU_DEP_1) | instskip(SKIP_1) | instid1(VALU_DEP_1)
	v_cmp_lt_i16_e32 vcc_lo, -1, v2
	v_mov_b32_e32 v2, 0x7f800000
	v_cndmask_b32_e32 v2, 0xff800000, v2, vcc_lo
	v_cmp_eq_u32_e32 vcc_lo, 0, v3
	s_delay_alu instid0(VALU_DEP_2)
	v_cndmask_b32_e32 v2, 0x7f800001, v2, vcc_lo
.LBB6_7941:                             ;   in Loop: Header=BB6_5693 Depth=2
	s_wait_xcnt 0x0
	s_or_b32 exec_lo, exec_lo, s28
.LBB6_7942:                             ;   in Loop: Header=BB6_5693 Depth=2
	s_delay_alu instid0(SALU_CYCLE_1)
	s_or_b32 exec_lo, exec_lo, s11
.LBB6_7943:                             ;   in Loop: Header=BB6_5693 Depth=2
	s_delay_alu instid0(SALU_CYCLE_1) | instskip(NEXT) | instid1(SALU_CYCLE_1)
	s_or_b32 exec_lo, exec_lo, s10
	s_mov_b32 s10, exec_lo
	s_wait_dscnt 0x5
	v_cmpx_ne_u16_e32 0, v94
	s_cbranch_execz .LBB6_7953
; %bb.7944:                             ;   in Loop: Header=BB6_5693 Depth=2
	v_bfrev_b32_e32 v0, 1
	s_mov_b32 s11, exec_lo
	v_cmpx_ne_u16_e32 0xff80, v94
	s_cbranch_execz .LBB6_7952
; %bb.7945:                             ;   in Loop: Header=BB6_5693 Depth=2
	v_and_b32_e32 v0, 0x7c, v94
	v_and_b32_e32 v3, 3, v94
	s_delay_alu instid0(VALU_DEP_2) | instskip(SKIP_1) | instid1(SALU_CYCLE_1)
	v_cmp_ne_u32_e32 vcc_lo, 0x7c, v0
                                        ; implicit-def: $vgpr0
	s_and_saveexec_b32 s28, vcc_lo
	s_xor_b32 s28, exec_lo, s28
	s_cbranch_execz .LBB6_7949
; %bb.7946:                             ;   in Loop: Header=BB6_5693 Depth=2
	v_and_b32_e32 v0, 0xff, v94
	s_mov_b32 s29, exec_lo
	s_delay_alu instid0(VALU_DEP_1) | instskip(NEXT) | instid1(VALU_DEP_1)
	v_bfe_u32 v0, v0, 2, 5
	v_cmpx_eq_u32_e32 0, v0
	s_cbranch_execz .LBB6_7948
; %bb.7947:                             ;   in Loop: Header=BB6_5693 Depth=2
	v_clz_i32_u32_e32 v0, v3
	s_delay_alu instid0(VALU_DEP_1) | instskip(SKIP_1) | instid1(VALU_DEP_2)
	v_min_u32_e32 v0, 32, v0
	v_mov_b32_e32 v95, v1
	v_subrev_nc_u32_e32 v3, 29, v0
	v_sub_nc_u32_e32 v0, 30, v0
	s_delay_alu instid0(VALU_DEP_2) | instskip(NEXT) | instid1(VALU_DEP_1)
	v_lshlrev_b64_e32 v[4:5], v3, v[94:95]
	v_and_b32_e32 v3, 3, v4
.LBB6_7948:                             ;   in Loop: Header=BB6_5693 Depth=2
	s_or_b32 exec_lo, exec_lo, s29
	v_bfe_i32 v4, v94, 0, 16
                                        ; implicit-def: $vgpr94
	s_delay_alu instid0(VALU_DEP_1) | instskip(NEXT) | instid1(VALU_DEP_1)
	v_and_b32_e32 v4, 0x80000000, v4
	v_lshl_add_u32 v0, v0, 23, v4
	s_delay_alu instid0(VALU_DEP_1) | instskip(NEXT) | instid1(VALU_DEP_1)
	v_lshl_or_b32 v0, v3, 21, v0
                                        ; implicit-def: $vgpr3
	v_add_nc_u32_e32 v0, 0x38000000, v0
.LBB6_7949:                             ;   in Loop: Header=BB6_5693 Depth=2
	s_and_not1_saveexec_b32 s28, s28
; %bb.7950:                             ;   in Loop: Header=BB6_5693 Depth=2
	v_cmp_lt_i16_e32 vcc_lo, -1, v94
	v_mov_b32_e32 v0, 0x7f800000
	s_delay_alu instid0(VALU_DEP_1) | instskip(SKIP_1) | instid1(VALU_DEP_2)
	v_cndmask_b32_e32 v0, 0xff800000, v0, vcc_lo
	v_cmp_eq_u32_e32 vcc_lo, 0, v3
	v_cndmask_b32_e32 v0, 0x7f800001, v0, vcc_lo
; %bb.7951:                             ;   in Loop: Header=BB6_5693 Depth=2
	s_or_b32 exec_lo, exec_lo, s28
.LBB6_7952:                             ;   in Loop: Header=BB6_5693 Depth=2
	s_delay_alu instid0(SALU_CYCLE_1)
	s_or_b32 exec_lo, exec_lo, s11
.LBB6_7953:                             ;   in Loop: Header=BB6_5693 Depth=2
	s_delay_alu instid0(SALU_CYCLE_1) | instskip(NEXT) | instid1(VALU_DEP_1)
	s_or_b32 exec_lo, exec_lo, s10
	v_dual_add_f32 v2, v2, v0 :: v_dual_mov_b32 v5, v1
                                        ; implicit-def: $vgpr35
	s_mov_b32 s10, exec_lo
	s_delay_alu instid0(VALU_DEP_1) | instskip(SKIP_1) | instid1(VALU_DEP_2)
	v_and_b32_e32 v4, 0x7f800000, v2
	v_and_b32_e32 v0, 0x7fffff, v2
	v_cmpx_ne_u64_e32 0x7f800000, v[4:5]
	s_xor_b32 s11, exec_lo, s10
	s_cbranch_execz .LBB6_7971
; %bb.7954:                             ;   in Loop: Header=BB6_5693 Depth=2
	v_dual_mov_b32 v5, v1 :: v_dual_lshrrev_b32 v3, 24, v2
	v_and_b32_e32 v4, 0x7fffffff, v2
                                        ; implicit-def: $vgpr35
	s_mov_b32 s10, exec_lo
	s_delay_alu instid0(VALU_DEP_2) | instskip(NEXT) | instid1(VALU_DEP_2)
	v_and_b32_e32 v19, 0x80, v3
	v_cmpx_gt_u64_e32 0x47600001, v[4:5]
	s_xor_b32 s28, exec_lo, s10
	s_cbranch_execz .LBB6_7968
; %bb.7955:                             ;   in Loop: Header=BB6_5693 Depth=2
	v_mov_b32_e32 v35, 0
	s_mov_b32 s29, exec_lo
	v_cmpx_ne_u32_e32 0, v2
	s_cbranch_execz .LBB6_7967
; %bb.7956:                             ;   in Loop: Header=BB6_5693 Depth=2
	v_bfe_u32 v35, v2, 23, 8
	v_or_b32_e32 v4, 0x800000, v0
	s_mov_b32 s40, exec_lo
	s_delay_alu instid0(VALU_DEP_2) | instskip(SKIP_1) | instid1(VALU_DEP_2)
	v_dual_mov_b32 v5, v1 :: v_dual_sub_nc_u32 v2, 0x71, v35
	v_cmp_gt_u32_e32 vcc_lo, 0x72, v35
	v_cndmask_b32_e32 v2, 0, v2, vcc_lo
	v_cmp_eq_u32_e32 vcc_lo, 0, v35
	s_delay_alu instid0(VALU_DEP_2) | instskip(SKIP_1) | instid1(VALU_DEP_2)
	v_cndmask_b32_e64 v36, v2, 0x70, vcc_lo
	v_cndmask_b32_e32 v4, v4, v0, vcc_lo
	v_dual_add_nc_u32 v2, 21, v36 :: v_dual_add_nc_u32 v37, 20, v36
	s_delay_alu instid0(VALU_DEP_1) | instskip(NEXT) | instid1(VALU_DEP_2)
	v_lshlrev_b64_e64 v[2:3], v2, -1
	v_lshlrev_b64_e64 v[50:51], v37, 1
	s_delay_alu instid0(VALU_DEP_2) | instskip(NEXT) | instid1(VALU_DEP_3)
	v_bfi_b32 v55, v3, 0, 0
	v_bfi_b32 v54, v2, 0, v4
	v_lshrrev_b64 v[2:3], v36, v[4:5]
	s_delay_alu instid0(VALU_DEP_1) | instskip(NEXT) | instid1(VALU_DEP_3)
	v_mov_b64_e32 v[4:5], v[2:3]
	v_cmpx_eq_u64_e64 v[54:55], v[50:51]
; %bb.7957:                             ;   in Loop: Header=BB6_5693 Depth=2
	v_bfe_u32 v4, v2, 21, 1
	v_mov_b32_e32 v5, v1
	s_delay_alu instid0(VALU_DEP_1) | instskip(NEXT) | instid1(VALU_DEP_1)
	v_add_nc_u64_e32 v[4:5], v[2:3], v[4:5]
	v_add_nc_u64_e32 v[4:5], -1, v[4:5]
; %bb.7958:                             ;   in Loop: Header=BB6_5693 Depth=2
	s_or_b32 exec_lo, exec_lo, s40
	v_add_nc_u32_e32 v0, 0xffffff81, v35
	s_delay_alu instid0(VALU_DEP_2) | instskip(SKIP_2) | instid1(VALU_DEP_3)
	v_and_b32_e32 v4, 0x1fffff, v4
	v_lshrrev_b32_e32 v3, 23, v2
	s_mov_b32 s10, exec_lo
	v_cndmask_b32_e64 v0, v0, 0xffffff82, vcc_lo
	s_delay_alu instid0(VALU_DEP_1) | instskip(SKIP_1) | instid1(VALU_DEP_2)
	v_add3_u32 v5, v36, v0, v3
	v_add_nc_u32_e32 v0, v4, v2
                                        ; implicit-def: $vgpr2_vgpr3
                                        ; implicit-def: $vgpr4
	v_add_nc_u32_e32 v35, 14, v5
	s_delay_alu instid0(VALU_DEP_1)
	v_cmpx_ne_u32_e32 0, v35
	s_xor_b32 s10, exec_lo, s10
; %bb.7959:                             ;   in Loop: Header=BB6_5693 Depth=2
	s_delay_alu instid0(VALU_DEP_3) | instskip(SKIP_1) | instid1(VALU_DEP_1)
	v_cmp_lt_u64_e32 vcc_lo, 0xffffff, v[0:1]
	v_add_nc_u32_e32 v2, 15, v5
	v_cndmask_b32_e32 v4, v35, v2, vcc_lo
	v_cndmask_b32_e64 v2, 0, 1, vcc_lo
	s_delay_alu instid0(VALU_DEP_1)
	v_lshrrev_b64 v[2:3], v2, v[0:1]
; %bb.7960:                             ;   in Loop: Header=BB6_5693 Depth=2
	s_and_not1_saveexec_b32 s10, s10
; %bb.7961:                             ;   in Loop: Header=BB6_5693 Depth=2
	v_mov_b64_e32 v[2:3], v[0:1]
	v_bfe_u32 v4, v0, 23, 1
; %bb.7962:                             ;   in Loop: Header=BB6_5693 Depth=2
	s_or_b32 exec_lo, exec_lo, s10
	s_delay_alu instid0(VALU_DEP_2) | instskip(NEXT) | instid1(VALU_DEP_2)
	v_lshrrev_b64 v[2:3], 21, v[2:3]
	v_cmp_gt_i32_e32 vcc_lo, 32, v4
	v_cmp_ne_u32_e64 s10, 0, v4
                                        ; implicit-def: $vgpr35
	s_delay_alu instid0(VALU_DEP_3) | instskip(NEXT) | instid1(VALU_DEP_1)
	v_dual_cndmask_b32 v3, 0, v3 :: v_dual_cndmask_b32 v2, 3, v2
	v_cmp_ne_u64_e32 vcc_lo, 0, v[2:3]
	s_or_b32 s10, s10, vcc_lo
	s_delay_alu instid0(SALU_CYCLE_1) | instskip(NEXT) | instid1(SALU_CYCLE_1)
	s_and_saveexec_b32 s40, s10
	s_xor_b32 s10, exec_lo, s40
; %bb.7963:                             ;   in Loop: Header=BB6_5693 Depth=2
	v_min_i32_e32 v0, 31, v4
	s_delay_alu instid0(VALU_DEP_1) | instskip(NEXT) | instid1(VALU_DEP_1)
	v_lshl_or_b32 v0, v0, 2, v19
                                        ; implicit-def: $vgpr19
	v_and_or_b32 v35, v2, 3, v0
; %bb.7964:                             ;   in Loop: Header=BB6_5693 Depth=2
	s_and_not1_saveexec_b32 s10, s10
; %bb.7965:                             ;   in Loop: Header=BB6_5693 Depth=2
	v_mov_b32_e32 v35, v19
; %bb.7966:                             ;   in Loop: Header=BB6_5693 Depth=2
	s_or_b32 exec_lo, exec_lo, s10
.LBB6_7967:                             ;   in Loop: Header=BB6_5693 Depth=2
	s_delay_alu instid0(SALU_CYCLE_1)
	s_or_b32 exec_lo, exec_lo, s29
                                        ; implicit-def: $vgpr19
.LBB6_7968:                             ;   in Loop: Header=BB6_5693 Depth=2
	s_and_not1_saveexec_b32 s10, s28
; %bb.7969:                             ;   in Loop: Header=BB6_5693 Depth=2
	v_or_b32_e32 v35, 0x7b, v19
; %bb.7970:                             ;   in Loop: Header=BB6_5693 Depth=2
	s_or_b32 exec_lo, exec_lo, s10
                                        ; implicit-def: $vgpr2
.LBB6_7971:                             ;   in Loop: Header=BB6_5693 Depth=2
	s_and_not1_saveexec_b32 s10, s11
	s_cbranch_execz .LBB6_7977
; %bb.7972:                             ;   in Loop: Header=BB6_5693 Depth=2
	s_mov_b32 s11, exec_lo
                                        ; implicit-def: $vgpr35
	v_cmpx_ne_u64_e32 0, v[0:1]
	s_xor_b32 s11, exec_lo, s11
; %bb.7973:                             ;   in Loop: Header=BB6_5693 Depth=2
	v_lshrrev_b32_e32 v0, 24, v2
                                        ; implicit-def: $vgpr2
	s_delay_alu instid0(VALU_DEP_1)
	v_or_b32_e32 v35, 0x7f, v0
; %bb.7974:                             ;   in Loop: Header=BB6_5693 Depth=2
	s_and_not1_saveexec_b32 s11, s11
; %bb.7975:                             ;   in Loop: Header=BB6_5693 Depth=2
	v_cmp_lt_i32_e32 vcc_lo, -1, v2
	v_cndmask_b32_e64 v35, -4, 0x7c, vcc_lo
; %bb.7976:                             ;   in Loop: Header=BB6_5693 Depth=2
	s_or_b32 exec_lo, exec_lo, s11
.LBB6_7977:                             ;   in Loop: Header=BB6_5693 Depth=2
	s_delay_alu instid0(SALU_CYCLE_1)
	s_or_b32 exec_lo, exec_lo, s10
	scratch_load_b64 v[2:3], off, s33 offset:260 ; 8-byte Folded Reload
	v_mov_b32_e32 v0, 0
	s_mov_b32 s10, exec_lo
	s_wait_loadcnt 0x0
	v_and_b32_e32 v4, 0xff, v2
	v_mov_b32_e32 v2, 0
	s_wait_xcnt 0x0
	s_delay_alu instid0(VALU_DEP_2)
	v_cmpx_ne_u16_e32 0, v4
	s_cbranch_execz .LBB6_7987
; %bb.7978:                             ;   in Loop: Header=BB6_5693 Depth=2
	v_bfrev_b32_e32 v2, 1
	s_mov_b32 s11, exec_lo
	v_cmpx_ne_u16_e32 0x80, v4
	s_cbranch_execz .LBB6_7986
; %bb.7979:                             ;   in Loop: Header=BB6_5693 Depth=2
	scratch_load_b64 v[2:3], off, s33 offset:260 ; 8-byte Folded Reload
	s_wait_loadcnt 0x0
	v_mov_b32_e32 v36, v2
	s_delay_alu instid0(VALU_DEP_1) | instskip(SKIP_1) | instid1(VALU_DEP_2)
	v_and_b32_e32 v2, 0x7c, v36
	v_and_b32_e32 v3, 3, v36
	v_cmp_ne_u32_e32 vcc_lo, 0x7c, v2
                                        ; implicit-def: $vgpr2
	s_wait_xcnt 0x0
	s_and_saveexec_b32 s28, vcc_lo
	s_delay_alu instid0(SALU_CYCLE_1)
	s_xor_b32 s28, exec_lo, s28
	s_cbranch_execz .LBB6_7983
; %bb.7980:                             ;   in Loop: Header=BB6_5693 Depth=2
	v_bfe_u32 v2, v4, 2, 5
	s_mov_b32 s29, exec_lo
	s_delay_alu instid0(VALU_DEP_1)
	v_cmpx_eq_u32_e32 0, v2
	s_cbranch_execz .LBB6_7982
; %bb.7981:                             ;   in Loop: Header=BB6_5693 Depth=2
	scratch_load_b64 v[4:5], off, s33 offset:260 th:TH_LOAD_LU ; 8-byte Folded Reload
	v_clz_i32_u32_e32 v2, v3
	s_wait_loadcnt 0x0
	v_mov_b32_e32 v5, v1
	s_delay_alu instid0(VALU_DEP_2) | instskip(NEXT) | instid1(VALU_DEP_1)
	v_min_u32_e32 v2, 32, v2
	v_subrev_nc_u32_e32 v3, 29, v2
	v_mov_b32_e32 v36, v4
	s_delay_alu instid0(VALU_DEP_2)
	v_lshlrev_b64_e32 v[4:5], v3, v[4:5]
	v_sub_nc_u32_e32 v2, 30, v2
	scratch_store_b64 off, v[36:37], s33 offset:260 ; 8-byte Folded Spill
	v_and_b32_e32 v3, 3, v4
.LBB6_7982:                             ;   in Loop: Header=BB6_5693 Depth=2
	s_wait_xcnt 0x0
	s_or_b32 exec_lo, exec_lo, s29
	scratch_load_b64 v[4:5], off, s33 offset:260 th:TH_LOAD_LU ; 8-byte Folded Reload
	s_wait_loadcnt 0x0
	v_lshlrev_b32_e32 v4, 24, v4
	s_delay_alu instid0(VALU_DEP_1) | instskip(NEXT) | instid1(VALU_DEP_1)
	v_and_b32_e32 v4, 0x80000000, v4
	v_lshl_add_u32 v2, v2, 23, v4
                                        ; implicit-def: $vgpr4
	scratch_store_b64 off, v[4:5], s33 offset:260 ; 8-byte Folded Spill
	v_lshl_or_b32 v2, v3, 21, v2
                                        ; implicit-def: $vgpr3
	s_delay_alu instid0(VALU_DEP_1)
	v_add_nc_u32_e32 v2, 0x38000000, v2
.LBB6_7983:                             ;   in Loop: Header=BB6_5693 Depth=2
	s_wait_xcnt 0x0
	s_and_not1_saveexec_b32 s28, s28
	s_cbranch_execz .LBB6_7985
; %bb.7984:                             ;   in Loop: Header=BB6_5693 Depth=2
	scratch_load_b64 v[4:5], off, s33 offset:260 th:TH_LOAD_LU ; 8-byte Folded Reload
	s_wait_loadcnt 0x0
	v_bfe_i32 v2, v4, 0, 8
	s_delay_alu instid0(VALU_DEP_1) | instskip(SKIP_1) | instid1(VALU_DEP_1)
	v_cmp_lt_i16_e32 vcc_lo, -1, v2
	v_mov_b32_e32 v2, 0x7f800000
	v_cndmask_b32_e32 v2, 0xff800000, v2, vcc_lo
	v_cmp_eq_u32_e32 vcc_lo, 0, v3
	s_delay_alu instid0(VALU_DEP_2)
	v_cndmask_b32_e32 v2, 0x7f800001, v2, vcc_lo
.LBB6_7985:                             ;   in Loop: Header=BB6_5693 Depth=2
	s_wait_xcnt 0x0
	s_or_b32 exec_lo, exec_lo, s28
.LBB6_7986:                             ;   in Loop: Header=BB6_5693 Depth=2
	s_delay_alu instid0(SALU_CYCLE_1)
	s_or_b32 exec_lo, exec_lo, s11
.LBB6_7987:                             ;   in Loop: Header=BB6_5693 Depth=2
	s_delay_alu instid0(SALU_CYCLE_1) | instskip(NEXT) | instid1(SALU_CYCLE_1)
	s_or_b32 exec_lo, exec_lo, s10
	s_mov_b32 s10, exec_lo
	s_wait_dscnt 0x4
	v_cmpx_ne_u16_e32 0, v78
	s_cbranch_execz .LBB6_7997
; %bb.7988:                             ;   in Loop: Header=BB6_5693 Depth=2
	v_bfrev_b32_e32 v0, 1
	s_mov_b32 s11, exec_lo
	v_cmpx_ne_u16_e32 0xff80, v78
	s_cbranch_execz .LBB6_7996
; %bb.7989:                             ;   in Loop: Header=BB6_5693 Depth=2
	v_and_b32_e32 v0, 0x7c, v78
	v_and_b32_e32 v3, 3, v78
	s_delay_alu instid0(VALU_DEP_2) | instskip(SKIP_1) | instid1(SALU_CYCLE_1)
	v_cmp_ne_u32_e32 vcc_lo, 0x7c, v0
                                        ; implicit-def: $vgpr0
	s_and_saveexec_b32 s28, vcc_lo
	s_xor_b32 s28, exec_lo, s28
	s_cbranch_execz .LBB6_7993
; %bb.7990:                             ;   in Loop: Header=BB6_5693 Depth=2
	v_and_b32_e32 v0, 0xff, v78
	s_mov_b32 s29, exec_lo
	s_delay_alu instid0(VALU_DEP_1) | instskip(NEXT) | instid1(VALU_DEP_1)
	v_bfe_u32 v0, v0, 2, 5
	v_cmpx_eq_u32_e32 0, v0
	s_cbranch_execz .LBB6_7992
; %bb.7991:                             ;   in Loop: Header=BB6_5693 Depth=2
	v_clz_i32_u32_e32 v0, v3
	s_delay_alu instid0(VALU_DEP_1) | instskip(SKIP_1) | instid1(VALU_DEP_2)
	v_min_u32_e32 v0, 32, v0
	v_mov_b32_e32 v79, v1
	v_subrev_nc_u32_e32 v3, 29, v0
	v_sub_nc_u32_e32 v0, 30, v0
	s_delay_alu instid0(VALU_DEP_2) | instskip(NEXT) | instid1(VALU_DEP_1)
	v_lshlrev_b64_e32 v[4:5], v3, v[78:79]
	v_and_b32_e32 v3, 3, v4
.LBB6_7992:                             ;   in Loop: Header=BB6_5693 Depth=2
	s_or_b32 exec_lo, exec_lo, s29
	v_bfe_i32 v4, v78, 0, 16
                                        ; implicit-def: $vgpr78
	s_delay_alu instid0(VALU_DEP_1) | instskip(NEXT) | instid1(VALU_DEP_1)
	v_and_b32_e32 v4, 0x80000000, v4
	v_lshl_add_u32 v0, v0, 23, v4
	s_delay_alu instid0(VALU_DEP_1) | instskip(NEXT) | instid1(VALU_DEP_1)
	v_lshl_or_b32 v0, v3, 21, v0
                                        ; implicit-def: $vgpr3
	v_add_nc_u32_e32 v0, 0x38000000, v0
.LBB6_7993:                             ;   in Loop: Header=BB6_5693 Depth=2
	s_and_not1_saveexec_b32 s28, s28
; %bb.7994:                             ;   in Loop: Header=BB6_5693 Depth=2
	v_cmp_lt_i16_e32 vcc_lo, -1, v78
	v_mov_b32_e32 v0, 0x7f800000
	s_delay_alu instid0(VALU_DEP_1) | instskip(SKIP_1) | instid1(VALU_DEP_2)
	v_cndmask_b32_e32 v0, 0xff800000, v0, vcc_lo
	v_cmp_eq_u32_e32 vcc_lo, 0, v3
	v_cndmask_b32_e32 v0, 0x7f800001, v0, vcc_lo
; %bb.7995:                             ;   in Loop: Header=BB6_5693 Depth=2
	s_or_b32 exec_lo, exec_lo, s28
.LBB6_7996:                             ;   in Loop: Header=BB6_5693 Depth=2
	s_delay_alu instid0(SALU_CYCLE_1)
	s_or_b32 exec_lo, exec_lo, s11
.LBB6_7997:                             ;   in Loop: Header=BB6_5693 Depth=2
	s_delay_alu instid0(SALU_CYCLE_1) | instskip(NEXT) | instid1(VALU_DEP_1)
	s_or_b32 exec_lo, exec_lo, s10
	v_dual_add_f32 v2, v2, v0 :: v_dual_mov_b32 v5, v1
                                        ; implicit-def: $vgpr36
	s_mov_b32 s10, exec_lo
	s_delay_alu instid0(VALU_DEP_1) | instskip(SKIP_1) | instid1(VALU_DEP_2)
	v_and_b32_e32 v4, 0x7f800000, v2
	v_and_b32_e32 v0, 0x7fffff, v2
	v_cmpx_ne_u64_e32 0x7f800000, v[4:5]
	s_xor_b32 s11, exec_lo, s10
	s_cbranch_execz .LBB6_8015
; %bb.7998:                             ;   in Loop: Header=BB6_5693 Depth=2
	v_dual_mov_b32 v5, v1 :: v_dual_lshrrev_b32 v3, 24, v2
	v_and_b32_e32 v4, 0x7fffffff, v2
                                        ; implicit-def: $vgpr36
	s_mov_b32 s10, exec_lo
	s_delay_alu instid0(VALU_DEP_2) | instskip(NEXT) | instid1(VALU_DEP_2)
	v_and_b32_e32 v19, 0x80, v3
	v_cmpx_gt_u64_e32 0x47600001, v[4:5]
	s_xor_b32 s28, exec_lo, s10
	s_cbranch_execz .LBB6_8012
; %bb.7999:                             ;   in Loop: Header=BB6_5693 Depth=2
	v_mov_b32_e32 v36, 0
	s_mov_b32 s29, exec_lo
	v_cmpx_ne_u32_e32 0, v2
	s_cbranch_execz .LBB6_8011
; %bb.8000:                             ;   in Loop: Header=BB6_5693 Depth=2
	v_bfe_u32 v36, v2, 23, 8
	v_or_b32_e32 v4, 0x800000, v0
	s_mov_b32 s40, exec_lo
	s_delay_alu instid0(VALU_DEP_2) | instskip(SKIP_1) | instid1(VALU_DEP_2)
	v_dual_mov_b32 v5, v1 :: v_dual_sub_nc_u32 v2, 0x71, v36
	v_cmp_gt_u32_e32 vcc_lo, 0x72, v36
	v_cndmask_b32_e32 v2, 0, v2, vcc_lo
	v_cmp_eq_u32_e32 vcc_lo, 0, v36
	s_delay_alu instid0(VALU_DEP_2) | instskip(NEXT) | instid1(VALU_DEP_1)
	v_cndmask_b32_e64 v37, v2, 0x70, vcc_lo
	v_dual_cndmask_b32 v4, v4, v0, vcc_lo :: v_dual_add_nc_u32 v2, 21, v37
	v_add_nc_u32_e32 v50, 20, v37
	s_delay_alu instid0(VALU_DEP_2) | instskip(NEXT) | instid1(VALU_DEP_2)
	v_lshlrev_b64_e64 v[2:3], v2, -1
	v_lshlrev_b64_e64 v[50:51], v50, 1
	s_delay_alu instid0(VALU_DEP_2) | instskip(NEXT) | instid1(VALU_DEP_3)
	v_bfi_b32 v55, v3, 0, 0
	v_bfi_b32 v54, v2, 0, v4
	v_lshrrev_b64 v[2:3], v37, v[4:5]
	s_delay_alu instid0(VALU_DEP_1) | instskip(NEXT) | instid1(VALU_DEP_3)
	v_mov_b64_e32 v[4:5], v[2:3]
	v_cmpx_eq_u64_e64 v[54:55], v[50:51]
; %bb.8001:                             ;   in Loop: Header=BB6_5693 Depth=2
	v_bfe_u32 v4, v2, 21, 1
	v_mov_b32_e32 v5, v1
	s_delay_alu instid0(VALU_DEP_1) | instskip(NEXT) | instid1(VALU_DEP_1)
	v_add_nc_u64_e32 v[4:5], v[2:3], v[4:5]
	v_add_nc_u64_e32 v[4:5], -1, v[4:5]
; %bb.8002:                             ;   in Loop: Header=BB6_5693 Depth=2
	s_or_b32 exec_lo, exec_lo, s40
	v_add_nc_u32_e32 v0, 0xffffff81, v36
	s_delay_alu instid0(VALU_DEP_2) | instskip(SKIP_2) | instid1(VALU_DEP_3)
	v_and_b32_e32 v4, 0x1fffff, v4
	v_lshrrev_b32_e32 v3, 23, v2
	s_mov_b32 s10, exec_lo
	v_cndmask_b32_e64 v0, v0, 0xffffff82, vcc_lo
	s_delay_alu instid0(VALU_DEP_1) | instskip(SKIP_1) | instid1(VALU_DEP_2)
	v_add3_u32 v5, v37, v0, v3
	v_add_nc_u32_e32 v0, v4, v2
                                        ; implicit-def: $vgpr2_vgpr3
                                        ; implicit-def: $vgpr4
	v_add_nc_u32_e32 v36, 14, v5
	s_delay_alu instid0(VALU_DEP_1)
	v_cmpx_ne_u32_e32 0, v36
	s_xor_b32 s10, exec_lo, s10
; %bb.8003:                             ;   in Loop: Header=BB6_5693 Depth=2
	s_delay_alu instid0(VALU_DEP_3) | instskip(SKIP_1) | instid1(VALU_DEP_1)
	v_cmp_lt_u64_e32 vcc_lo, 0xffffff, v[0:1]
	v_add_nc_u32_e32 v2, 15, v5
	v_cndmask_b32_e32 v4, v36, v2, vcc_lo
	v_cndmask_b32_e64 v2, 0, 1, vcc_lo
	s_delay_alu instid0(VALU_DEP_1)
	v_lshrrev_b64 v[2:3], v2, v[0:1]
; %bb.8004:                             ;   in Loop: Header=BB6_5693 Depth=2
	s_and_not1_saveexec_b32 s10, s10
; %bb.8005:                             ;   in Loop: Header=BB6_5693 Depth=2
	v_mov_b64_e32 v[2:3], v[0:1]
	v_bfe_u32 v4, v0, 23, 1
; %bb.8006:                             ;   in Loop: Header=BB6_5693 Depth=2
	s_or_b32 exec_lo, exec_lo, s10
	s_delay_alu instid0(VALU_DEP_2) | instskip(NEXT) | instid1(VALU_DEP_2)
	v_lshrrev_b64 v[2:3], 21, v[2:3]
	v_cmp_gt_i32_e32 vcc_lo, 32, v4
	v_cmp_ne_u32_e64 s10, 0, v4
                                        ; implicit-def: $vgpr36
	s_delay_alu instid0(VALU_DEP_3) | instskip(NEXT) | instid1(VALU_DEP_1)
	v_dual_cndmask_b32 v3, 0, v3 :: v_dual_cndmask_b32 v2, 3, v2
	v_cmp_ne_u64_e32 vcc_lo, 0, v[2:3]
	s_or_b32 s10, s10, vcc_lo
	s_delay_alu instid0(SALU_CYCLE_1) | instskip(NEXT) | instid1(SALU_CYCLE_1)
	s_and_saveexec_b32 s40, s10
	s_xor_b32 s10, exec_lo, s40
; %bb.8007:                             ;   in Loop: Header=BB6_5693 Depth=2
	v_min_i32_e32 v0, 31, v4
	s_delay_alu instid0(VALU_DEP_1) | instskip(NEXT) | instid1(VALU_DEP_1)
	v_lshl_or_b32 v0, v0, 2, v19
                                        ; implicit-def: $vgpr19
	v_and_or_b32 v36, v2, 3, v0
; %bb.8008:                             ;   in Loop: Header=BB6_5693 Depth=2
	s_and_not1_saveexec_b32 s10, s10
; %bb.8009:                             ;   in Loop: Header=BB6_5693 Depth=2
	v_mov_b32_e32 v36, v19
; %bb.8010:                             ;   in Loop: Header=BB6_5693 Depth=2
	s_or_b32 exec_lo, exec_lo, s10
.LBB6_8011:                             ;   in Loop: Header=BB6_5693 Depth=2
	s_delay_alu instid0(SALU_CYCLE_1)
	s_or_b32 exec_lo, exec_lo, s29
                                        ; implicit-def: $vgpr19
.LBB6_8012:                             ;   in Loop: Header=BB6_5693 Depth=2
	s_and_not1_saveexec_b32 s10, s28
; %bb.8013:                             ;   in Loop: Header=BB6_5693 Depth=2
	v_or_b32_e32 v36, 0x7b, v19
; %bb.8014:                             ;   in Loop: Header=BB6_5693 Depth=2
	s_or_b32 exec_lo, exec_lo, s10
                                        ; implicit-def: $vgpr2
.LBB6_8015:                             ;   in Loop: Header=BB6_5693 Depth=2
	s_and_not1_saveexec_b32 s10, s11
	s_cbranch_execz .LBB6_8021
; %bb.8016:                             ;   in Loop: Header=BB6_5693 Depth=2
	s_mov_b32 s11, exec_lo
                                        ; implicit-def: $vgpr36
	v_cmpx_ne_u64_e32 0, v[0:1]
	s_xor_b32 s11, exec_lo, s11
; %bb.8017:                             ;   in Loop: Header=BB6_5693 Depth=2
	v_lshrrev_b32_e32 v0, 24, v2
                                        ; implicit-def: $vgpr2
	s_delay_alu instid0(VALU_DEP_1)
	v_or_b32_e32 v36, 0x7f, v0
; %bb.8018:                             ;   in Loop: Header=BB6_5693 Depth=2
	s_and_not1_saveexec_b32 s11, s11
; %bb.8019:                             ;   in Loop: Header=BB6_5693 Depth=2
	v_cmp_lt_i32_e32 vcc_lo, -1, v2
	v_cndmask_b32_e64 v36, -4, 0x7c, vcc_lo
; %bb.8020:                             ;   in Loop: Header=BB6_5693 Depth=2
	s_or_b32 exec_lo, exec_lo, s11
.LBB6_8021:                             ;   in Loop: Header=BB6_5693 Depth=2
	s_delay_alu instid0(SALU_CYCLE_1)
	s_or_b32 exec_lo, exec_lo, s10
	scratch_load_b64 v[2:3], off, s33 offset:252 ; 8-byte Folded Reload
	v_mov_b32_e32 v0, 0
	s_mov_b32 s10, exec_lo
	s_wait_loadcnt 0x0
	v_and_b32_e32 v4, 0xff, v2
	v_mov_b32_e32 v2, 0
	s_wait_xcnt 0x0
	s_delay_alu instid0(VALU_DEP_2)
	v_cmpx_ne_u16_e32 0, v4
	s_cbranch_execz .LBB6_8031
; %bb.8022:                             ;   in Loop: Header=BB6_5693 Depth=2
	v_bfrev_b32_e32 v2, 1
	s_mov_b32 s11, exec_lo
	v_cmpx_ne_u16_e32 0x80, v4
	s_cbranch_execz .LBB6_8030
; %bb.8023:                             ;   in Loop: Header=BB6_5693 Depth=2
	scratch_load_b64 v[2:3], off, s33 offset:252 ; 8-byte Folded Reload
	s_wait_loadcnt 0x0
	v_mov_b32_e32 v50, v2
	s_delay_alu instid0(VALU_DEP_1) | instskip(SKIP_1) | instid1(VALU_DEP_2)
	v_and_b32_e32 v2, 0x7c, v50
	v_and_b32_e32 v3, 3, v50
	v_cmp_ne_u32_e32 vcc_lo, 0x7c, v2
                                        ; implicit-def: $vgpr2
	s_wait_xcnt 0x0
	s_and_saveexec_b32 s28, vcc_lo
	s_delay_alu instid0(SALU_CYCLE_1)
	s_xor_b32 s28, exec_lo, s28
	s_cbranch_execz .LBB6_8027
; %bb.8024:                             ;   in Loop: Header=BB6_5693 Depth=2
	v_bfe_u32 v2, v4, 2, 5
	s_mov_b32 s29, exec_lo
	s_delay_alu instid0(VALU_DEP_1)
	v_cmpx_eq_u32_e32 0, v2
	s_cbranch_execz .LBB6_8026
; %bb.8025:                             ;   in Loop: Header=BB6_5693 Depth=2
	scratch_load_b64 v[4:5], off, s33 offset:252 th:TH_LOAD_LU ; 8-byte Folded Reload
	v_clz_i32_u32_e32 v2, v3
	s_wait_loadcnt 0x0
	v_mov_b32_e32 v5, v1
	s_delay_alu instid0(VALU_DEP_2) | instskip(NEXT) | instid1(VALU_DEP_1)
	v_min_u32_e32 v2, 32, v2
	v_subrev_nc_u32_e32 v3, 29, v2
	v_mov_b32_e32 v50, v4
	s_delay_alu instid0(VALU_DEP_2)
	v_lshlrev_b64_e32 v[4:5], v3, v[4:5]
	v_sub_nc_u32_e32 v2, 30, v2
	scratch_store_b64 off, v[50:51], s33 offset:252 ; 8-byte Folded Spill
	v_and_b32_e32 v3, 3, v4
.LBB6_8026:                             ;   in Loop: Header=BB6_5693 Depth=2
	s_wait_xcnt 0x0
	s_or_b32 exec_lo, exec_lo, s29
	scratch_load_b64 v[4:5], off, s33 offset:252 th:TH_LOAD_LU ; 8-byte Folded Reload
	s_wait_loadcnt 0x0
	v_lshlrev_b32_e32 v4, 24, v4
	s_delay_alu instid0(VALU_DEP_1) | instskip(NEXT) | instid1(VALU_DEP_1)
	v_and_b32_e32 v4, 0x80000000, v4
	v_lshl_add_u32 v2, v2, 23, v4
                                        ; implicit-def: $vgpr4
	scratch_store_b64 off, v[4:5], s33 offset:252 ; 8-byte Folded Spill
	v_lshl_or_b32 v2, v3, 21, v2
                                        ; implicit-def: $vgpr3
	s_delay_alu instid0(VALU_DEP_1)
	v_add_nc_u32_e32 v2, 0x38000000, v2
.LBB6_8027:                             ;   in Loop: Header=BB6_5693 Depth=2
	s_wait_xcnt 0x0
	s_and_not1_saveexec_b32 s28, s28
	s_cbranch_execz .LBB6_8029
; %bb.8028:                             ;   in Loop: Header=BB6_5693 Depth=2
	scratch_load_b64 v[4:5], off, s33 offset:252 th:TH_LOAD_LU ; 8-byte Folded Reload
	s_wait_loadcnt 0x0
	v_bfe_i32 v2, v4, 0, 8
	s_delay_alu instid0(VALU_DEP_1) | instskip(SKIP_1) | instid1(VALU_DEP_1)
	v_cmp_lt_i16_e32 vcc_lo, -1, v2
	v_mov_b32_e32 v2, 0x7f800000
	v_cndmask_b32_e32 v2, 0xff800000, v2, vcc_lo
	v_cmp_eq_u32_e32 vcc_lo, 0, v3
	s_delay_alu instid0(VALU_DEP_2)
	v_cndmask_b32_e32 v2, 0x7f800001, v2, vcc_lo
.LBB6_8029:                             ;   in Loop: Header=BB6_5693 Depth=2
	s_wait_xcnt 0x0
	s_or_b32 exec_lo, exec_lo, s28
.LBB6_8030:                             ;   in Loop: Header=BB6_5693 Depth=2
	s_delay_alu instid0(SALU_CYCLE_1)
	s_or_b32 exec_lo, exec_lo, s11
.LBB6_8031:                             ;   in Loop: Header=BB6_5693 Depth=2
	s_delay_alu instid0(SALU_CYCLE_1) | instskip(NEXT) | instid1(SALU_CYCLE_1)
	s_or_b32 exec_lo, exec_lo, s10
	s_mov_b32 s10, exec_lo
	s_wait_dscnt 0x3
	v_cmpx_ne_u16_e32 0, v60
	s_cbranch_execz .LBB6_8041
; %bb.8032:                             ;   in Loop: Header=BB6_5693 Depth=2
	v_bfrev_b32_e32 v0, 1
	s_mov_b32 s11, exec_lo
	v_cmpx_ne_u16_e32 0xff80, v60
	s_cbranch_execz .LBB6_8040
; %bb.8033:                             ;   in Loop: Header=BB6_5693 Depth=2
	v_and_b32_e32 v0, 0x7c, v60
	v_and_b32_e32 v3, 3, v60
	s_delay_alu instid0(VALU_DEP_2) | instskip(SKIP_1) | instid1(SALU_CYCLE_1)
	v_cmp_ne_u32_e32 vcc_lo, 0x7c, v0
                                        ; implicit-def: $vgpr0
	s_and_saveexec_b32 s28, vcc_lo
	s_xor_b32 s28, exec_lo, s28
	s_cbranch_execz .LBB6_8037
; %bb.8034:                             ;   in Loop: Header=BB6_5693 Depth=2
	v_and_b32_e32 v0, 0xff, v60
	s_mov_b32 s29, exec_lo
	s_delay_alu instid0(VALU_DEP_1) | instskip(NEXT) | instid1(VALU_DEP_1)
	v_bfe_u32 v0, v0, 2, 5
	v_cmpx_eq_u32_e32 0, v0
	s_cbranch_execz .LBB6_8036
; %bb.8035:                             ;   in Loop: Header=BB6_5693 Depth=2
	v_clz_i32_u32_e32 v0, v3
	s_delay_alu instid0(VALU_DEP_1) | instskip(SKIP_1) | instid1(VALU_DEP_2)
	v_min_u32_e32 v0, 32, v0
	v_mov_b32_e32 v61, v1
	v_subrev_nc_u32_e32 v3, 29, v0
	v_sub_nc_u32_e32 v0, 30, v0
	s_delay_alu instid0(VALU_DEP_2) | instskip(NEXT) | instid1(VALU_DEP_1)
	v_lshlrev_b64_e32 v[4:5], v3, v[60:61]
	v_and_b32_e32 v3, 3, v4
.LBB6_8036:                             ;   in Loop: Header=BB6_5693 Depth=2
	s_or_b32 exec_lo, exec_lo, s29
	v_bfe_i32 v4, v60, 0, 16
                                        ; implicit-def: $vgpr60
	s_delay_alu instid0(VALU_DEP_1) | instskip(NEXT) | instid1(VALU_DEP_1)
	v_and_b32_e32 v4, 0x80000000, v4
	v_lshl_add_u32 v0, v0, 23, v4
	s_delay_alu instid0(VALU_DEP_1) | instskip(NEXT) | instid1(VALU_DEP_1)
	v_lshl_or_b32 v0, v3, 21, v0
                                        ; implicit-def: $vgpr3
	v_add_nc_u32_e32 v0, 0x38000000, v0
.LBB6_8037:                             ;   in Loop: Header=BB6_5693 Depth=2
	s_and_not1_saveexec_b32 s28, s28
; %bb.8038:                             ;   in Loop: Header=BB6_5693 Depth=2
	v_cmp_lt_i16_e32 vcc_lo, -1, v60
	v_mov_b32_e32 v0, 0x7f800000
	s_delay_alu instid0(VALU_DEP_1) | instskip(SKIP_1) | instid1(VALU_DEP_2)
	v_cndmask_b32_e32 v0, 0xff800000, v0, vcc_lo
	v_cmp_eq_u32_e32 vcc_lo, 0, v3
	v_cndmask_b32_e32 v0, 0x7f800001, v0, vcc_lo
; %bb.8039:                             ;   in Loop: Header=BB6_5693 Depth=2
	s_or_b32 exec_lo, exec_lo, s28
.LBB6_8040:                             ;   in Loop: Header=BB6_5693 Depth=2
	s_delay_alu instid0(SALU_CYCLE_1)
	s_or_b32 exec_lo, exec_lo, s11
.LBB6_8041:                             ;   in Loop: Header=BB6_5693 Depth=2
	s_delay_alu instid0(SALU_CYCLE_1) | instskip(NEXT) | instid1(VALU_DEP_1)
	s_or_b32 exec_lo, exec_lo, s10
	v_dual_add_f32 v2, v2, v0 :: v_dual_mov_b32 v5, v1
                                        ; implicit-def: $vgpr37
	s_mov_b32 s10, exec_lo
	s_delay_alu instid0(VALU_DEP_1) | instskip(SKIP_1) | instid1(VALU_DEP_2)
	v_and_b32_e32 v4, 0x7f800000, v2
	v_and_b32_e32 v0, 0x7fffff, v2
	v_cmpx_ne_u64_e32 0x7f800000, v[4:5]
	s_xor_b32 s11, exec_lo, s10
	s_cbranch_execz .LBB6_8059
; %bb.8042:                             ;   in Loop: Header=BB6_5693 Depth=2
	v_dual_mov_b32 v5, v1 :: v_dual_lshrrev_b32 v3, 24, v2
	v_and_b32_e32 v4, 0x7fffffff, v2
                                        ; implicit-def: $vgpr37
	s_mov_b32 s10, exec_lo
	s_delay_alu instid0(VALU_DEP_2) | instskip(NEXT) | instid1(VALU_DEP_2)
	v_and_b32_e32 v19, 0x80, v3
	v_cmpx_gt_u64_e32 0x47600001, v[4:5]
	s_xor_b32 s28, exec_lo, s10
	s_cbranch_execz .LBB6_8056
; %bb.8043:                             ;   in Loop: Header=BB6_5693 Depth=2
	v_mov_b32_e32 v37, 0
	s_mov_b32 s29, exec_lo
	v_cmpx_ne_u32_e32 0, v2
	s_cbranch_execz .LBB6_8055
; %bb.8044:                             ;   in Loop: Header=BB6_5693 Depth=2
	v_bfe_u32 v37, v2, 23, 8
	v_or_b32_e32 v4, 0x800000, v0
	s_mov_b32 s40, exec_lo
	s_delay_alu instid0(VALU_DEP_2) | instskip(SKIP_1) | instid1(VALU_DEP_2)
	v_dual_mov_b32 v5, v1 :: v_dual_sub_nc_u32 v2, 0x71, v37
	v_cmp_gt_u32_e32 vcc_lo, 0x72, v37
	v_cndmask_b32_e32 v2, 0, v2, vcc_lo
	v_cmp_eq_u32_e32 vcc_lo, 0, v37
	v_cndmask_b32_e32 v4, v4, v0, vcc_lo
	s_delay_alu instid0(VALU_DEP_3) | instskip(NEXT) | instid1(VALU_DEP_1)
	v_cndmask_b32_e64 v50, v2, 0x70, vcc_lo
	v_dual_add_nc_u32 v2, 21, v50 :: v_dual_add_nc_u32 v51, 20, v50
	s_delay_alu instid0(VALU_DEP_1) | instskip(NEXT) | instid1(VALU_DEP_2)
	v_lshlrev_b64_e64 v[2:3], v2, -1
	v_lshlrev_b64_e64 v[54:55], v51, 1
	s_delay_alu instid0(VALU_DEP_2) | instskip(NEXT) | instid1(VALU_DEP_3)
	v_bfi_b32 v65, v3, 0, 0
	v_bfi_b32 v64, v2, 0, v4
	v_lshrrev_b64 v[2:3], v50, v[4:5]
	s_delay_alu instid0(VALU_DEP_1) | instskip(NEXT) | instid1(VALU_DEP_3)
	v_mov_b64_e32 v[4:5], v[2:3]
	v_cmpx_eq_u64_e64 v[64:65], v[54:55]
; %bb.8045:                             ;   in Loop: Header=BB6_5693 Depth=2
	v_bfe_u32 v4, v2, 21, 1
	v_mov_b32_e32 v5, v1
	s_delay_alu instid0(VALU_DEP_1) | instskip(NEXT) | instid1(VALU_DEP_1)
	v_add_nc_u64_e32 v[4:5], v[2:3], v[4:5]
	v_add_nc_u64_e32 v[4:5], -1, v[4:5]
; %bb.8046:                             ;   in Loop: Header=BB6_5693 Depth=2
	s_or_b32 exec_lo, exec_lo, s40
	v_add_nc_u32_e32 v0, 0xffffff81, v37
	s_delay_alu instid0(VALU_DEP_2) | instskip(SKIP_2) | instid1(VALU_DEP_3)
	v_and_b32_e32 v4, 0x1fffff, v4
	v_lshrrev_b32_e32 v3, 23, v2
	s_mov_b32 s10, exec_lo
	v_cndmask_b32_e64 v0, v0, 0xffffff82, vcc_lo
	s_delay_alu instid0(VALU_DEP_1) | instskip(SKIP_1) | instid1(VALU_DEP_2)
	v_add3_u32 v5, v50, v0, v3
	v_add_nc_u32_e32 v0, v4, v2
                                        ; implicit-def: $vgpr2_vgpr3
                                        ; implicit-def: $vgpr4
	v_add_nc_u32_e32 v37, 14, v5
	s_delay_alu instid0(VALU_DEP_1)
	v_cmpx_ne_u32_e32 0, v37
	s_xor_b32 s10, exec_lo, s10
; %bb.8047:                             ;   in Loop: Header=BB6_5693 Depth=2
	s_delay_alu instid0(VALU_DEP_3) | instskip(SKIP_1) | instid1(VALU_DEP_1)
	v_cmp_lt_u64_e32 vcc_lo, 0xffffff, v[0:1]
	v_add_nc_u32_e32 v2, 15, v5
	v_cndmask_b32_e32 v4, v37, v2, vcc_lo
	v_cndmask_b32_e64 v2, 0, 1, vcc_lo
	s_delay_alu instid0(VALU_DEP_1)
	v_lshrrev_b64 v[2:3], v2, v[0:1]
; %bb.8048:                             ;   in Loop: Header=BB6_5693 Depth=2
	s_and_not1_saveexec_b32 s10, s10
; %bb.8049:                             ;   in Loop: Header=BB6_5693 Depth=2
	v_mov_b64_e32 v[2:3], v[0:1]
	v_bfe_u32 v4, v0, 23, 1
; %bb.8050:                             ;   in Loop: Header=BB6_5693 Depth=2
	s_or_b32 exec_lo, exec_lo, s10
	s_delay_alu instid0(VALU_DEP_2) | instskip(NEXT) | instid1(VALU_DEP_2)
	v_lshrrev_b64 v[2:3], 21, v[2:3]
	v_cmp_gt_i32_e32 vcc_lo, 32, v4
	v_cmp_ne_u32_e64 s10, 0, v4
                                        ; implicit-def: $vgpr37
	s_delay_alu instid0(VALU_DEP_3) | instskip(NEXT) | instid1(VALU_DEP_1)
	v_dual_cndmask_b32 v3, 0, v3 :: v_dual_cndmask_b32 v2, 3, v2
	v_cmp_ne_u64_e32 vcc_lo, 0, v[2:3]
	s_or_b32 s10, s10, vcc_lo
	s_delay_alu instid0(SALU_CYCLE_1) | instskip(NEXT) | instid1(SALU_CYCLE_1)
	s_and_saveexec_b32 s40, s10
	s_xor_b32 s10, exec_lo, s40
; %bb.8051:                             ;   in Loop: Header=BB6_5693 Depth=2
	v_min_i32_e32 v0, 31, v4
	s_delay_alu instid0(VALU_DEP_1) | instskip(NEXT) | instid1(VALU_DEP_1)
	v_lshl_or_b32 v0, v0, 2, v19
                                        ; implicit-def: $vgpr19
	v_and_or_b32 v37, v2, 3, v0
; %bb.8052:                             ;   in Loop: Header=BB6_5693 Depth=2
	s_and_not1_saveexec_b32 s10, s10
; %bb.8053:                             ;   in Loop: Header=BB6_5693 Depth=2
	v_mov_b32_e32 v37, v19
; %bb.8054:                             ;   in Loop: Header=BB6_5693 Depth=2
	s_or_b32 exec_lo, exec_lo, s10
.LBB6_8055:                             ;   in Loop: Header=BB6_5693 Depth=2
	s_delay_alu instid0(SALU_CYCLE_1)
	s_or_b32 exec_lo, exec_lo, s29
                                        ; implicit-def: $vgpr19
.LBB6_8056:                             ;   in Loop: Header=BB6_5693 Depth=2
	s_and_not1_saveexec_b32 s10, s28
; %bb.8057:                             ;   in Loop: Header=BB6_5693 Depth=2
	v_or_b32_e32 v37, 0x7b, v19
; %bb.8058:                             ;   in Loop: Header=BB6_5693 Depth=2
	s_or_b32 exec_lo, exec_lo, s10
                                        ; implicit-def: $vgpr2
.LBB6_8059:                             ;   in Loop: Header=BB6_5693 Depth=2
	s_and_not1_saveexec_b32 s10, s11
	s_cbranch_execz .LBB6_8065
; %bb.8060:                             ;   in Loop: Header=BB6_5693 Depth=2
	s_mov_b32 s11, exec_lo
                                        ; implicit-def: $vgpr37
	v_cmpx_ne_u64_e32 0, v[0:1]
	s_xor_b32 s11, exec_lo, s11
; %bb.8061:                             ;   in Loop: Header=BB6_5693 Depth=2
	v_lshrrev_b32_e32 v0, 24, v2
                                        ; implicit-def: $vgpr2
	s_delay_alu instid0(VALU_DEP_1)
	v_or_b32_e32 v37, 0x7f, v0
; %bb.8062:                             ;   in Loop: Header=BB6_5693 Depth=2
	s_and_not1_saveexec_b32 s11, s11
; %bb.8063:                             ;   in Loop: Header=BB6_5693 Depth=2
	v_cmp_lt_i32_e32 vcc_lo, -1, v2
	v_cndmask_b32_e64 v37, -4, 0x7c, vcc_lo
; %bb.8064:                             ;   in Loop: Header=BB6_5693 Depth=2
	s_or_b32 exec_lo, exec_lo, s11
.LBB6_8065:                             ;   in Loop: Header=BB6_5693 Depth=2
	s_delay_alu instid0(SALU_CYCLE_1)
	s_or_b32 exec_lo, exec_lo, s10
	scratch_load_b64 v[2:3], off, s33 offset:244 ; 8-byte Folded Reload
	v_mov_b32_e32 v0, 0
	s_mov_b32 s10, exec_lo
	s_wait_loadcnt 0x0
	v_and_b32_e32 v4, 0xff, v2
	v_mov_b32_e32 v2, 0
	s_wait_xcnt 0x0
	s_delay_alu instid0(VALU_DEP_2)
	v_cmpx_ne_u16_e32 0, v4
	s_cbranch_execz .LBB6_8075
; %bb.8066:                             ;   in Loop: Header=BB6_5693 Depth=2
	v_bfrev_b32_e32 v2, 1
	s_mov_b32 s11, exec_lo
	v_cmpx_ne_u16_e32 0x80, v4
	s_cbranch_execz .LBB6_8074
; %bb.8067:                             ;   in Loop: Header=BB6_5693 Depth=2
	scratch_load_b64 v[2:3], off, s33 offset:244 ; 8-byte Folded Reload
	s_wait_loadcnt 0x0
	v_mov_b32_e32 v50, v2
	s_delay_alu instid0(VALU_DEP_1) | instskip(SKIP_1) | instid1(VALU_DEP_2)
	v_and_b32_e32 v2, 0x7c, v50
	v_and_b32_e32 v3, 3, v50
	v_cmp_ne_u32_e32 vcc_lo, 0x7c, v2
                                        ; implicit-def: $vgpr2
	s_wait_xcnt 0x0
	s_and_saveexec_b32 s28, vcc_lo
	s_delay_alu instid0(SALU_CYCLE_1)
	s_xor_b32 s28, exec_lo, s28
	s_cbranch_execz .LBB6_8071
; %bb.8068:                             ;   in Loop: Header=BB6_5693 Depth=2
	v_bfe_u32 v2, v4, 2, 5
	s_mov_b32 s29, exec_lo
	s_delay_alu instid0(VALU_DEP_1)
	v_cmpx_eq_u32_e32 0, v2
	s_cbranch_execz .LBB6_8070
; %bb.8069:                             ;   in Loop: Header=BB6_5693 Depth=2
	scratch_load_b64 v[4:5], off, s33 offset:244 th:TH_LOAD_LU ; 8-byte Folded Reload
	v_clz_i32_u32_e32 v2, v3
	s_wait_loadcnt 0x0
	v_mov_b32_e32 v5, v1
	s_delay_alu instid0(VALU_DEP_2) | instskip(NEXT) | instid1(VALU_DEP_1)
	v_min_u32_e32 v2, 32, v2
	v_subrev_nc_u32_e32 v3, 29, v2
	v_mov_b32_e32 v50, v4
	s_delay_alu instid0(VALU_DEP_2)
	v_lshlrev_b64_e32 v[4:5], v3, v[4:5]
	v_sub_nc_u32_e32 v2, 30, v2
	scratch_store_b64 off, v[50:51], s33 offset:244 ; 8-byte Folded Spill
	v_and_b32_e32 v3, 3, v4
.LBB6_8070:                             ;   in Loop: Header=BB6_5693 Depth=2
	s_wait_xcnt 0x0
	s_or_b32 exec_lo, exec_lo, s29
	scratch_load_b64 v[4:5], off, s33 offset:244 th:TH_LOAD_LU ; 8-byte Folded Reload
	s_wait_loadcnt 0x0
	v_lshlrev_b32_e32 v4, 24, v4
	s_delay_alu instid0(VALU_DEP_1) | instskip(NEXT) | instid1(VALU_DEP_1)
	v_and_b32_e32 v4, 0x80000000, v4
	v_lshl_add_u32 v2, v2, 23, v4
                                        ; implicit-def: $vgpr4
	scratch_store_b64 off, v[4:5], s33 offset:244 ; 8-byte Folded Spill
	v_lshl_or_b32 v2, v3, 21, v2
                                        ; implicit-def: $vgpr3
	s_delay_alu instid0(VALU_DEP_1)
	v_add_nc_u32_e32 v2, 0x38000000, v2
.LBB6_8071:                             ;   in Loop: Header=BB6_5693 Depth=2
	s_wait_xcnt 0x0
	s_and_not1_saveexec_b32 s28, s28
	s_cbranch_execz .LBB6_8073
; %bb.8072:                             ;   in Loop: Header=BB6_5693 Depth=2
	scratch_load_b64 v[4:5], off, s33 offset:244 th:TH_LOAD_LU ; 8-byte Folded Reload
	s_wait_loadcnt 0x0
	v_bfe_i32 v2, v4, 0, 8
	s_delay_alu instid0(VALU_DEP_1) | instskip(SKIP_1) | instid1(VALU_DEP_1)
	v_cmp_lt_i16_e32 vcc_lo, -1, v2
	v_mov_b32_e32 v2, 0x7f800000
	v_cndmask_b32_e32 v2, 0xff800000, v2, vcc_lo
	v_cmp_eq_u32_e32 vcc_lo, 0, v3
	s_delay_alu instid0(VALU_DEP_2)
	v_cndmask_b32_e32 v2, 0x7f800001, v2, vcc_lo
.LBB6_8073:                             ;   in Loop: Header=BB6_5693 Depth=2
	s_wait_xcnt 0x0
	s_or_b32 exec_lo, exec_lo, s28
.LBB6_8074:                             ;   in Loop: Header=BB6_5693 Depth=2
	s_delay_alu instid0(SALU_CYCLE_1)
	s_or_b32 exec_lo, exec_lo, s11
.LBB6_8075:                             ;   in Loop: Header=BB6_5693 Depth=2
	s_delay_alu instid0(SALU_CYCLE_1) | instskip(NEXT) | instid1(SALU_CYCLE_1)
	s_or_b32 exec_lo, exec_lo, s10
	s_mov_b32 s10, exec_lo
	s_wait_dscnt 0x2
	v_cmpx_ne_u16_e32 0, v40
	s_cbranch_execz .LBB6_8085
; %bb.8076:                             ;   in Loop: Header=BB6_5693 Depth=2
	v_bfrev_b32_e32 v0, 1
	s_mov_b32 s11, exec_lo
	v_cmpx_ne_u16_e32 0xff80, v40
	s_cbranch_execz .LBB6_8084
; %bb.8077:                             ;   in Loop: Header=BB6_5693 Depth=2
	v_and_b32_e32 v0, 0x7c, v40
	v_and_b32_e32 v3, 3, v40
	s_delay_alu instid0(VALU_DEP_2) | instskip(SKIP_1) | instid1(SALU_CYCLE_1)
	v_cmp_ne_u32_e32 vcc_lo, 0x7c, v0
                                        ; implicit-def: $vgpr0
	s_and_saveexec_b32 s28, vcc_lo
	s_xor_b32 s28, exec_lo, s28
	s_cbranch_execz .LBB6_8081
; %bb.8078:                             ;   in Loop: Header=BB6_5693 Depth=2
	v_and_b32_e32 v0, 0xff, v40
	s_mov_b32 s29, exec_lo
	s_delay_alu instid0(VALU_DEP_1) | instskip(NEXT) | instid1(VALU_DEP_1)
	v_bfe_u32 v0, v0, 2, 5
	v_cmpx_eq_u32_e32 0, v0
	s_cbranch_execz .LBB6_8080
; %bb.8079:                             ;   in Loop: Header=BB6_5693 Depth=2
	v_clz_i32_u32_e32 v0, v3
	s_delay_alu instid0(VALU_DEP_1) | instskip(SKIP_1) | instid1(VALU_DEP_2)
	v_min_u32_e32 v0, 32, v0
	v_mov_b32_e32 v41, v1
	v_subrev_nc_u32_e32 v3, 29, v0
	v_sub_nc_u32_e32 v0, 30, v0
	s_delay_alu instid0(VALU_DEP_2) | instskip(NEXT) | instid1(VALU_DEP_1)
	v_lshlrev_b64_e32 v[4:5], v3, v[40:41]
	v_and_b32_e32 v3, 3, v4
.LBB6_8080:                             ;   in Loop: Header=BB6_5693 Depth=2
	s_or_b32 exec_lo, exec_lo, s29
	v_bfe_i32 v4, v40, 0, 16
                                        ; implicit-def: $vgpr40
	s_delay_alu instid0(VALU_DEP_1) | instskip(NEXT) | instid1(VALU_DEP_1)
	v_and_b32_e32 v4, 0x80000000, v4
	v_lshl_add_u32 v0, v0, 23, v4
	s_delay_alu instid0(VALU_DEP_1) | instskip(NEXT) | instid1(VALU_DEP_1)
	v_lshl_or_b32 v0, v3, 21, v0
                                        ; implicit-def: $vgpr3
	v_add_nc_u32_e32 v0, 0x38000000, v0
.LBB6_8081:                             ;   in Loop: Header=BB6_5693 Depth=2
	s_and_not1_saveexec_b32 s28, s28
; %bb.8082:                             ;   in Loop: Header=BB6_5693 Depth=2
	v_cmp_lt_i16_e32 vcc_lo, -1, v40
	v_mov_b32_e32 v0, 0x7f800000
	s_delay_alu instid0(VALU_DEP_1) | instskip(SKIP_1) | instid1(VALU_DEP_2)
	v_cndmask_b32_e32 v0, 0xff800000, v0, vcc_lo
	v_cmp_eq_u32_e32 vcc_lo, 0, v3
	v_cndmask_b32_e32 v0, 0x7f800001, v0, vcc_lo
; %bb.8083:                             ;   in Loop: Header=BB6_5693 Depth=2
	s_or_b32 exec_lo, exec_lo, s28
.LBB6_8084:                             ;   in Loop: Header=BB6_5693 Depth=2
	s_delay_alu instid0(SALU_CYCLE_1)
	s_or_b32 exec_lo, exec_lo, s11
.LBB6_8085:                             ;   in Loop: Header=BB6_5693 Depth=2
	s_delay_alu instid0(SALU_CYCLE_1) | instskip(NEXT) | instid1(VALU_DEP_1)
	s_or_b32 exec_lo, exec_lo, s10
	v_dual_add_f32 v2, v2, v0 :: v_dual_mov_b32 v5, v1
                                        ; implicit-def: $vgpr50
	s_mov_b32 s10, exec_lo
	s_delay_alu instid0(VALU_DEP_1) | instskip(SKIP_1) | instid1(VALU_DEP_2)
	v_and_b32_e32 v4, 0x7f800000, v2
	v_and_b32_e32 v0, 0x7fffff, v2
	v_cmpx_ne_u64_e32 0x7f800000, v[4:5]
	s_xor_b32 s11, exec_lo, s10
	s_cbranch_execz .LBB6_8103
; %bb.8086:                             ;   in Loop: Header=BB6_5693 Depth=2
	v_dual_mov_b32 v5, v1 :: v_dual_lshrrev_b32 v3, 24, v2
	v_and_b32_e32 v4, 0x7fffffff, v2
                                        ; implicit-def: $vgpr50
	s_mov_b32 s10, exec_lo
	s_delay_alu instid0(VALU_DEP_2) | instskip(NEXT) | instid1(VALU_DEP_2)
	v_and_b32_e32 v19, 0x80, v3
	v_cmpx_gt_u64_e32 0x47600001, v[4:5]
	s_xor_b32 s28, exec_lo, s10
	s_cbranch_execz .LBB6_8100
; %bb.8087:                             ;   in Loop: Header=BB6_5693 Depth=2
	v_mov_b32_e32 v50, 0
	s_mov_b32 s29, exec_lo
	v_cmpx_ne_u32_e32 0, v2
	s_cbranch_execz .LBB6_8099
; %bb.8088:                             ;   in Loop: Header=BB6_5693 Depth=2
	v_bfe_u32 v50, v2, 23, 8
	v_or_b32_e32 v4, 0x800000, v0
	s_mov_b32 s40, exec_lo
	s_delay_alu instid0(VALU_DEP_2) | instskip(SKIP_1) | instid1(VALU_DEP_2)
	v_dual_mov_b32 v5, v1 :: v_dual_sub_nc_u32 v2, 0x71, v50
	v_cmp_gt_u32_e32 vcc_lo, 0x72, v50
	v_cndmask_b32_e32 v2, 0, v2, vcc_lo
	v_cmp_eq_u32_e32 vcc_lo, 0, v50
	s_delay_alu instid0(VALU_DEP_2) | instskip(NEXT) | instid1(VALU_DEP_1)
	v_cndmask_b32_e64 v51, v2, 0x70, vcc_lo
	v_dual_cndmask_b32 v4, v4, v0, vcc_lo :: v_dual_add_nc_u32 v2, 21, v51
	v_add_nc_u32_e32 v52, 20, v51
	s_delay_alu instid0(VALU_DEP_2) | instskip(NEXT) | instid1(VALU_DEP_2)
	v_lshlrev_b64_e64 v[2:3], v2, -1
	v_lshlrev_b64_e64 v[54:55], v52, 1
	s_delay_alu instid0(VALU_DEP_2) | instskip(NEXT) | instid1(VALU_DEP_3)
	v_bfi_b32 v65, v3, 0, 0
	v_bfi_b32 v64, v2, 0, v4
	v_lshrrev_b64 v[2:3], v51, v[4:5]
	s_delay_alu instid0(VALU_DEP_1) | instskip(NEXT) | instid1(VALU_DEP_3)
	v_mov_b64_e32 v[4:5], v[2:3]
	v_cmpx_eq_u64_e64 v[64:65], v[54:55]
; %bb.8089:                             ;   in Loop: Header=BB6_5693 Depth=2
	v_bfe_u32 v4, v2, 21, 1
	v_mov_b32_e32 v5, v1
	s_delay_alu instid0(VALU_DEP_1) | instskip(NEXT) | instid1(VALU_DEP_1)
	v_add_nc_u64_e32 v[4:5], v[2:3], v[4:5]
	v_add_nc_u64_e32 v[4:5], -1, v[4:5]
; %bb.8090:                             ;   in Loop: Header=BB6_5693 Depth=2
	s_or_b32 exec_lo, exec_lo, s40
	v_add_nc_u32_e32 v0, 0xffffff81, v50
	s_delay_alu instid0(VALU_DEP_2) | instskip(SKIP_2) | instid1(VALU_DEP_3)
	v_and_b32_e32 v4, 0x1fffff, v4
	v_lshrrev_b32_e32 v3, 23, v2
	s_mov_b32 s10, exec_lo
	v_cndmask_b32_e64 v0, v0, 0xffffff82, vcc_lo
	s_delay_alu instid0(VALU_DEP_1) | instskip(SKIP_1) | instid1(VALU_DEP_2)
	v_add3_u32 v5, v51, v0, v3
	v_add_nc_u32_e32 v0, v4, v2
                                        ; implicit-def: $vgpr2_vgpr3
                                        ; implicit-def: $vgpr4
	v_add_nc_u32_e32 v50, 14, v5
	s_delay_alu instid0(VALU_DEP_1)
	v_cmpx_ne_u32_e32 0, v50
	s_xor_b32 s10, exec_lo, s10
; %bb.8091:                             ;   in Loop: Header=BB6_5693 Depth=2
	s_delay_alu instid0(VALU_DEP_3) | instskip(SKIP_1) | instid1(VALU_DEP_1)
	v_cmp_lt_u64_e32 vcc_lo, 0xffffff, v[0:1]
	v_add_nc_u32_e32 v2, 15, v5
	v_cndmask_b32_e32 v4, v50, v2, vcc_lo
	v_cndmask_b32_e64 v2, 0, 1, vcc_lo
	s_delay_alu instid0(VALU_DEP_1)
	v_lshrrev_b64 v[2:3], v2, v[0:1]
; %bb.8092:                             ;   in Loop: Header=BB6_5693 Depth=2
	s_and_not1_saveexec_b32 s10, s10
; %bb.8093:                             ;   in Loop: Header=BB6_5693 Depth=2
	v_mov_b64_e32 v[2:3], v[0:1]
	v_bfe_u32 v4, v0, 23, 1
; %bb.8094:                             ;   in Loop: Header=BB6_5693 Depth=2
	s_or_b32 exec_lo, exec_lo, s10
	s_delay_alu instid0(VALU_DEP_2) | instskip(NEXT) | instid1(VALU_DEP_2)
	v_lshrrev_b64 v[2:3], 21, v[2:3]
	v_cmp_gt_i32_e32 vcc_lo, 32, v4
	v_cmp_ne_u32_e64 s10, 0, v4
                                        ; implicit-def: $vgpr50
	s_delay_alu instid0(VALU_DEP_3) | instskip(NEXT) | instid1(VALU_DEP_1)
	v_dual_cndmask_b32 v3, 0, v3 :: v_dual_cndmask_b32 v2, 3, v2
	v_cmp_ne_u64_e32 vcc_lo, 0, v[2:3]
	s_or_b32 s10, s10, vcc_lo
	s_delay_alu instid0(SALU_CYCLE_1) | instskip(NEXT) | instid1(SALU_CYCLE_1)
	s_and_saveexec_b32 s40, s10
	s_xor_b32 s10, exec_lo, s40
; %bb.8095:                             ;   in Loop: Header=BB6_5693 Depth=2
	v_min_i32_e32 v0, 31, v4
	s_delay_alu instid0(VALU_DEP_1) | instskip(NEXT) | instid1(VALU_DEP_1)
	v_lshl_or_b32 v0, v0, 2, v19
                                        ; implicit-def: $vgpr19
	v_and_or_b32 v50, v2, 3, v0
; %bb.8096:                             ;   in Loop: Header=BB6_5693 Depth=2
	s_and_not1_saveexec_b32 s10, s10
; %bb.8097:                             ;   in Loop: Header=BB6_5693 Depth=2
	v_mov_b32_e32 v50, v19
; %bb.8098:                             ;   in Loop: Header=BB6_5693 Depth=2
	s_or_b32 exec_lo, exec_lo, s10
.LBB6_8099:                             ;   in Loop: Header=BB6_5693 Depth=2
	s_delay_alu instid0(SALU_CYCLE_1)
	s_or_b32 exec_lo, exec_lo, s29
                                        ; implicit-def: $vgpr19
.LBB6_8100:                             ;   in Loop: Header=BB6_5693 Depth=2
	s_and_not1_saveexec_b32 s10, s28
; %bb.8101:                             ;   in Loop: Header=BB6_5693 Depth=2
	v_or_b32_e32 v50, 0x7b, v19
; %bb.8102:                             ;   in Loop: Header=BB6_5693 Depth=2
	s_or_b32 exec_lo, exec_lo, s10
                                        ; implicit-def: $vgpr2
.LBB6_8103:                             ;   in Loop: Header=BB6_5693 Depth=2
	s_and_not1_saveexec_b32 s10, s11
	s_cbranch_execz .LBB6_8109
; %bb.8104:                             ;   in Loop: Header=BB6_5693 Depth=2
	s_mov_b32 s11, exec_lo
                                        ; implicit-def: $vgpr50
	v_cmpx_ne_u64_e32 0, v[0:1]
	s_xor_b32 s11, exec_lo, s11
; %bb.8105:                             ;   in Loop: Header=BB6_5693 Depth=2
	v_lshrrev_b32_e32 v0, 24, v2
                                        ; implicit-def: $vgpr2
	s_delay_alu instid0(VALU_DEP_1)
	v_or_b32_e32 v50, 0x7f, v0
; %bb.8106:                             ;   in Loop: Header=BB6_5693 Depth=2
	s_and_not1_saveexec_b32 s11, s11
; %bb.8107:                             ;   in Loop: Header=BB6_5693 Depth=2
	v_cmp_lt_i32_e32 vcc_lo, -1, v2
	v_cndmask_b32_e64 v50, -4, 0x7c, vcc_lo
; %bb.8108:                             ;   in Loop: Header=BB6_5693 Depth=2
	s_or_b32 exec_lo, exec_lo, s11
.LBB6_8109:                             ;   in Loop: Header=BB6_5693 Depth=2
	s_delay_alu instid0(SALU_CYCLE_1)
	s_or_b32 exec_lo, exec_lo, s10
	scratch_load_b64 v[2:3], off, s33 offset:236 ; 8-byte Folded Reload
	v_mov_b32_e32 v0, 0
	s_mov_b32 s10, exec_lo
	s_wait_loadcnt 0x0
	v_and_b32_e32 v4, 0xff, v2
	v_mov_b32_e32 v2, 0
	s_wait_xcnt 0x0
	s_delay_alu instid0(VALU_DEP_2)
	v_cmpx_ne_u16_e32 0, v4
	s_cbranch_execz .LBB6_8119
; %bb.8110:                             ;   in Loop: Header=BB6_5693 Depth=2
	v_bfrev_b32_e32 v2, 1
	s_mov_b32 s11, exec_lo
	v_cmpx_ne_u16_e32 0x80, v4
	s_cbranch_execz .LBB6_8118
; %bb.8111:                             ;   in Loop: Header=BB6_5693 Depth=2
	scratch_load_b64 v[2:3], off, s33 offset:236 ; 8-byte Folded Reload
	s_wait_loadcnt 0x0
	v_mov_b32_e32 v52, v2
	s_delay_alu instid0(VALU_DEP_1) | instskip(SKIP_1) | instid1(VALU_DEP_2)
	v_and_b32_e32 v2, 0x7c, v52
	v_and_b32_e32 v3, 3, v52
	v_cmp_ne_u32_e32 vcc_lo, 0x7c, v2
                                        ; implicit-def: $vgpr2
	s_wait_xcnt 0x0
	s_and_saveexec_b32 s28, vcc_lo
	s_delay_alu instid0(SALU_CYCLE_1)
	s_xor_b32 s28, exec_lo, s28
	s_cbranch_execz .LBB6_8115
; %bb.8112:                             ;   in Loop: Header=BB6_5693 Depth=2
	v_bfe_u32 v2, v4, 2, 5
	s_mov_b32 s29, exec_lo
	s_delay_alu instid0(VALU_DEP_1)
	v_cmpx_eq_u32_e32 0, v2
	s_cbranch_execz .LBB6_8114
; %bb.8113:                             ;   in Loop: Header=BB6_5693 Depth=2
	scratch_load_b64 v[4:5], off, s33 offset:236 th:TH_LOAD_LU ; 8-byte Folded Reload
	v_clz_i32_u32_e32 v2, v3
	s_wait_loadcnt 0x0
	v_mov_b32_e32 v5, v1
	s_delay_alu instid0(VALU_DEP_2) | instskip(NEXT) | instid1(VALU_DEP_1)
	v_min_u32_e32 v2, 32, v2
	v_subrev_nc_u32_e32 v3, 29, v2
	v_mov_b32_e32 v52, v4
	s_delay_alu instid0(VALU_DEP_2)
	v_lshlrev_b64_e32 v[4:5], v3, v[4:5]
	v_sub_nc_u32_e32 v2, 30, v2
	scratch_store_b64 off, v[52:53], s33 offset:236 ; 8-byte Folded Spill
	v_and_b32_e32 v3, 3, v4
.LBB6_8114:                             ;   in Loop: Header=BB6_5693 Depth=2
	s_wait_xcnt 0x0
	s_or_b32 exec_lo, exec_lo, s29
	scratch_load_b64 v[4:5], off, s33 offset:236 th:TH_LOAD_LU ; 8-byte Folded Reload
	s_wait_loadcnt 0x0
	v_lshlrev_b32_e32 v4, 24, v4
	s_delay_alu instid0(VALU_DEP_1) | instskip(NEXT) | instid1(VALU_DEP_1)
	v_and_b32_e32 v4, 0x80000000, v4
	v_lshl_add_u32 v2, v2, 23, v4
                                        ; implicit-def: $vgpr4
	scratch_store_b64 off, v[4:5], s33 offset:236 ; 8-byte Folded Spill
	v_lshl_or_b32 v2, v3, 21, v2
                                        ; implicit-def: $vgpr3
	s_delay_alu instid0(VALU_DEP_1)
	v_add_nc_u32_e32 v2, 0x38000000, v2
.LBB6_8115:                             ;   in Loop: Header=BB6_5693 Depth=2
	s_wait_xcnt 0x0
	s_and_not1_saveexec_b32 s28, s28
	s_cbranch_execz .LBB6_8117
; %bb.8116:                             ;   in Loop: Header=BB6_5693 Depth=2
	scratch_load_b64 v[4:5], off, s33 offset:236 th:TH_LOAD_LU ; 8-byte Folded Reload
	s_wait_loadcnt 0x0
	v_bfe_i32 v2, v4, 0, 8
	s_delay_alu instid0(VALU_DEP_1) | instskip(SKIP_1) | instid1(VALU_DEP_1)
	v_cmp_lt_i16_e32 vcc_lo, -1, v2
	v_mov_b32_e32 v2, 0x7f800000
	v_cndmask_b32_e32 v2, 0xff800000, v2, vcc_lo
	v_cmp_eq_u32_e32 vcc_lo, 0, v3
	s_delay_alu instid0(VALU_DEP_2)
	v_cndmask_b32_e32 v2, 0x7f800001, v2, vcc_lo
.LBB6_8117:                             ;   in Loop: Header=BB6_5693 Depth=2
	s_wait_xcnt 0x0
	s_or_b32 exec_lo, exec_lo, s28
.LBB6_8118:                             ;   in Loop: Header=BB6_5693 Depth=2
	s_delay_alu instid0(SALU_CYCLE_1)
	s_or_b32 exec_lo, exec_lo, s11
.LBB6_8119:                             ;   in Loop: Header=BB6_5693 Depth=2
	s_delay_alu instid0(SALU_CYCLE_1) | instskip(NEXT) | instid1(SALU_CYCLE_1)
	s_or_b32 exec_lo, exec_lo, s10
	s_mov_b32 s10, exec_lo
	s_wait_dscnt 0x1
	v_cmpx_ne_u16_e32 0, v102
	s_cbranch_execz .LBB6_8129
; %bb.8120:                             ;   in Loop: Header=BB6_5693 Depth=2
	v_bfrev_b32_e32 v0, 1
	s_mov_b32 s11, exec_lo
	v_cmpx_ne_u16_e32 0xff80, v102
	s_cbranch_execz .LBB6_8128
; %bb.8121:                             ;   in Loop: Header=BB6_5693 Depth=2
	v_and_b32_e32 v0, 0x7c, v102
	v_and_b32_e32 v3, 3, v102
	s_delay_alu instid0(VALU_DEP_2) | instskip(SKIP_1) | instid1(SALU_CYCLE_1)
	v_cmp_ne_u32_e32 vcc_lo, 0x7c, v0
                                        ; implicit-def: $vgpr0
	s_and_saveexec_b32 s28, vcc_lo
	s_xor_b32 s28, exec_lo, s28
	s_cbranch_execz .LBB6_8125
; %bb.8122:                             ;   in Loop: Header=BB6_5693 Depth=2
	v_and_b32_e32 v0, 0xff, v102
	s_mov_b32 s29, exec_lo
	s_delay_alu instid0(VALU_DEP_1) | instskip(NEXT) | instid1(VALU_DEP_1)
	v_bfe_u32 v0, v0, 2, 5
	v_cmpx_eq_u32_e32 0, v0
	s_cbranch_execz .LBB6_8124
; %bb.8123:                             ;   in Loop: Header=BB6_5693 Depth=2
	v_clz_i32_u32_e32 v0, v3
	s_delay_alu instid0(VALU_DEP_1) | instskip(SKIP_1) | instid1(VALU_DEP_2)
	v_min_u32_e32 v0, 32, v0
	v_mov_b32_e32 v103, v1
	v_subrev_nc_u32_e32 v3, 29, v0
	v_sub_nc_u32_e32 v0, 30, v0
	s_delay_alu instid0(VALU_DEP_2) | instskip(NEXT) | instid1(VALU_DEP_1)
	v_lshlrev_b64_e32 v[4:5], v3, v[102:103]
	v_dual_mov_b32 v103, 1 :: v_dual_bitop2_b32 v3, 3, v4 bitop3:0x40
.LBB6_8124:                             ;   in Loop: Header=BB6_5693 Depth=2
	s_or_b32 exec_lo, exec_lo, s29
	v_bfe_i32 v4, v102, 0, 16
                                        ; implicit-def: $vgpr102
	s_delay_alu instid0(VALU_DEP_1) | instskip(NEXT) | instid1(VALU_DEP_1)
	v_and_b32_e32 v4, 0x80000000, v4
	v_lshl_add_u32 v0, v0, 23, v4
	s_delay_alu instid0(VALU_DEP_1) | instskip(NEXT) | instid1(VALU_DEP_1)
	v_lshl_or_b32 v0, v3, 21, v0
                                        ; implicit-def: $vgpr3
	v_add_nc_u32_e32 v0, 0x38000000, v0
.LBB6_8125:                             ;   in Loop: Header=BB6_5693 Depth=2
	s_and_not1_saveexec_b32 s28, s28
; %bb.8126:                             ;   in Loop: Header=BB6_5693 Depth=2
	v_cmp_lt_i16_e32 vcc_lo, -1, v102
	v_mov_b32_e32 v0, 0x7f800000
	s_delay_alu instid0(VALU_DEP_1) | instskip(SKIP_1) | instid1(VALU_DEP_2)
	v_cndmask_b32_e32 v0, 0xff800000, v0, vcc_lo
	v_cmp_eq_u32_e32 vcc_lo, 0, v3
	v_cndmask_b32_e32 v0, 0x7f800001, v0, vcc_lo
; %bb.8127:                             ;   in Loop: Header=BB6_5693 Depth=2
	s_or_b32 exec_lo, exec_lo, s28
.LBB6_8128:                             ;   in Loop: Header=BB6_5693 Depth=2
	s_delay_alu instid0(SALU_CYCLE_1)
	s_or_b32 exec_lo, exec_lo, s11
.LBB6_8129:                             ;   in Loop: Header=BB6_5693 Depth=2
	s_delay_alu instid0(SALU_CYCLE_1) | instskip(NEXT) | instid1(VALU_DEP_1)
	s_or_b32 exec_lo, exec_lo, s10
	v_dual_add_f32 v2, v2, v0 :: v_dual_mov_b32 v5, v1
                                        ; implicit-def: $vgpr51
	s_mov_b32 s10, exec_lo
	s_delay_alu instid0(VALU_DEP_1) | instskip(SKIP_1) | instid1(VALU_DEP_2)
	v_and_b32_e32 v4, 0x7f800000, v2
	v_and_b32_e32 v0, 0x7fffff, v2
	v_cmpx_ne_u64_e32 0x7f800000, v[4:5]
	s_xor_b32 s11, exec_lo, s10
	s_cbranch_execz .LBB6_8147
; %bb.8130:                             ;   in Loop: Header=BB6_5693 Depth=2
	v_dual_mov_b32 v5, v1 :: v_dual_lshrrev_b32 v3, 24, v2
	v_and_b32_e32 v4, 0x7fffffff, v2
                                        ; implicit-def: $vgpr51
	s_mov_b32 s10, exec_lo
	s_delay_alu instid0(VALU_DEP_2) | instskip(NEXT) | instid1(VALU_DEP_2)
	v_and_b32_e32 v19, 0x80, v3
	v_cmpx_gt_u64_e32 0x47600001, v[4:5]
	s_xor_b32 s28, exec_lo, s10
	s_cbranch_execz .LBB6_8144
; %bb.8131:                             ;   in Loop: Header=BB6_5693 Depth=2
	v_mov_b32_e32 v51, 0
	s_mov_b32 s29, exec_lo
	v_cmpx_ne_u32_e32 0, v2
	s_cbranch_execz .LBB6_8143
; %bb.8132:                             ;   in Loop: Header=BB6_5693 Depth=2
	v_bfe_u32 v51, v2, 23, 8
	v_or_b32_e32 v4, 0x800000, v0
	s_mov_b32 s40, exec_lo
	s_delay_alu instid0(VALU_DEP_2) | instskip(SKIP_1) | instid1(VALU_DEP_2)
	v_dual_mov_b32 v5, v1 :: v_dual_sub_nc_u32 v2, 0x71, v51
	v_cmp_gt_u32_e32 vcc_lo, 0x72, v51
	v_cndmask_b32_e32 v2, 0, v2, vcc_lo
	v_cmp_eq_u32_e32 vcc_lo, 0, v51
	s_delay_alu instid0(VALU_DEP_2) | instskip(SKIP_1) | instid1(VALU_DEP_2)
	v_cndmask_b32_e64 v52, v2, 0x70, vcc_lo
	v_cndmask_b32_e32 v4, v4, v0, vcc_lo
	v_dual_add_nc_u32 v2, 21, v52 :: v_dual_add_nc_u32 v54, 20, v52
	s_delay_alu instid0(VALU_DEP_1) | instskip(NEXT) | instid1(VALU_DEP_2)
	v_lshlrev_b64_e64 v[2:3], v2, -1
	v_lshlrev_b64_e64 v[54:55], v54, 1
	s_delay_alu instid0(VALU_DEP_2) | instskip(NEXT) | instid1(VALU_DEP_3)
	v_bfi_b32 v65, v3, 0, 0
	v_bfi_b32 v64, v2, 0, v4
	v_lshrrev_b64 v[2:3], v52, v[4:5]
	s_delay_alu instid0(VALU_DEP_1) | instskip(NEXT) | instid1(VALU_DEP_3)
	v_mov_b64_e32 v[4:5], v[2:3]
	v_cmpx_eq_u64_e64 v[64:65], v[54:55]
; %bb.8133:                             ;   in Loop: Header=BB6_5693 Depth=2
	v_bfe_u32 v4, v2, 21, 1
	v_mov_b32_e32 v5, v1
	s_delay_alu instid0(VALU_DEP_1) | instskip(NEXT) | instid1(VALU_DEP_1)
	v_add_nc_u64_e32 v[4:5], v[2:3], v[4:5]
	v_add_nc_u64_e32 v[4:5], -1, v[4:5]
; %bb.8134:                             ;   in Loop: Header=BB6_5693 Depth=2
	s_or_b32 exec_lo, exec_lo, s40
	v_add_nc_u32_e32 v0, 0xffffff81, v51
	s_delay_alu instid0(VALU_DEP_2) | instskip(SKIP_2) | instid1(VALU_DEP_3)
	v_and_b32_e32 v4, 0x1fffff, v4
	v_lshrrev_b32_e32 v3, 23, v2
	s_mov_b32 s10, exec_lo
	v_cndmask_b32_e64 v0, v0, 0xffffff82, vcc_lo
	s_delay_alu instid0(VALU_DEP_1) | instskip(SKIP_1) | instid1(VALU_DEP_2)
	v_add3_u32 v5, v52, v0, v3
	v_add_nc_u32_e32 v0, v4, v2
                                        ; implicit-def: $vgpr2_vgpr3
                                        ; implicit-def: $vgpr4
	v_add_nc_u32_e32 v51, 14, v5
	s_delay_alu instid0(VALU_DEP_1)
	v_cmpx_ne_u32_e32 0, v51
	s_xor_b32 s10, exec_lo, s10
; %bb.8135:                             ;   in Loop: Header=BB6_5693 Depth=2
	s_delay_alu instid0(VALU_DEP_3) | instskip(SKIP_1) | instid1(VALU_DEP_1)
	v_cmp_lt_u64_e32 vcc_lo, 0xffffff, v[0:1]
	v_add_nc_u32_e32 v2, 15, v5
	v_cndmask_b32_e32 v4, v51, v2, vcc_lo
	v_cndmask_b32_e64 v2, 0, 1, vcc_lo
	s_delay_alu instid0(VALU_DEP_1)
	v_lshrrev_b64 v[2:3], v2, v[0:1]
; %bb.8136:                             ;   in Loop: Header=BB6_5693 Depth=2
	s_and_not1_saveexec_b32 s10, s10
; %bb.8137:                             ;   in Loop: Header=BB6_5693 Depth=2
	v_mov_b64_e32 v[2:3], v[0:1]
	v_bfe_u32 v4, v0, 23, 1
; %bb.8138:                             ;   in Loop: Header=BB6_5693 Depth=2
	s_or_b32 exec_lo, exec_lo, s10
	s_delay_alu instid0(VALU_DEP_2) | instskip(NEXT) | instid1(VALU_DEP_2)
	v_lshrrev_b64 v[2:3], 21, v[2:3]
	v_cmp_gt_i32_e32 vcc_lo, 32, v4
	v_cmp_ne_u32_e64 s10, 0, v4
                                        ; implicit-def: $vgpr51
	s_delay_alu instid0(VALU_DEP_3) | instskip(NEXT) | instid1(VALU_DEP_1)
	v_dual_cndmask_b32 v3, 0, v3 :: v_dual_cndmask_b32 v2, 3, v2
	v_cmp_ne_u64_e32 vcc_lo, 0, v[2:3]
	s_or_b32 s10, s10, vcc_lo
	s_delay_alu instid0(SALU_CYCLE_1) | instskip(NEXT) | instid1(SALU_CYCLE_1)
	s_and_saveexec_b32 s40, s10
	s_xor_b32 s10, exec_lo, s40
; %bb.8139:                             ;   in Loop: Header=BB6_5693 Depth=2
	v_min_i32_e32 v0, 31, v4
	s_delay_alu instid0(VALU_DEP_1) | instskip(NEXT) | instid1(VALU_DEP_1)
	v_lshl_or_b32 v0, v0, 2, v19
                                        ; implicit-def: $vgpr19
	v_and_or_b32 v51, v2, 3, v0
; %bb.8140:                             ;   in Loop: Header=BB6_5693 Depth=2
	s_and_not1_saveexec_b32 s10, s10
; %bb.8141:                             ;   in Loop: Header=BB6_5693 Depth=2
	v_mov_b32_e32 v51, v19
; %bb.8142:                             ;   in Loop: Header=BB6_5693 Depth=2
	s_or_b32 exec_lo, exec_lo, s10
.LBB6_8143:                             ;   in Loop: Header=BB6_5693 Depth=2
	s_delay_alu instid0(SALU_CYCLE_1)
	s_or_b32 exec_lo, exec_lo, s29
                                        ; implicit-def: $vgpr19
.LBB6_8144:                             ;   in Loop: Header=BB6_5693 Depth=2
	s_and_not1_saveexec_b32 s10, s28
; %bb.8145:                             ;   in Loop: Header=BB6_5693 Depth=2
	v_or_b32_e32 v51, 0x7b, v19
; %bb.8146:                             ;   in Loop: Header=BB6_5693 Depth=2
	s_or_b32 exec_lo, exec_lo, s10
                                        ; implicit-def: $vgpr2
.LBB6_8147:                             ;   in Loop: Header=BB6_5693 Depth=2
	s_and_not1_saveexec_b32 s10, s11
	s_cbranch_execz .LBB6_8153
; %bb.8148:                             ;   in Loop: Header=BB6_5693 Depth=2
	s_mov_b32 s11, exec_lo
                                        ; implicit-def: $vgpr51
	v_cmpx_ne_u64_e32 0, v[0:1]
	s_xor_b32 s11, exec_lo, s11
; %bb.8149:                             ;   in Loop: Header=BB6_5693 Depth=2
	v_lshrrev_b32_e32 v0, 24, v2
                                        ; implicit-def: $vgpr2
	s_delay_alu instid0(VALU_DEP_1)
	v_or_b32_e32 v51, 0x7f, v0
; %bb.8150:                             ;   in Loop: Header=BB6_5693 Depth=2
	s_and_not1_saveexec_b32 s11, s11
; %bb.8151:                             ;   in Loop: Header=BB6_5693 Depth=2
	v_cmp_lt_i32_e32 vcc_lo, -1, v2
	v_cndmask_b32_e64 v51, -4, 0x7c, vcc_lo
; %bb.8152:                             ;   in Loop: Header=BB6_5693 Depth=2
	s_or_b32 exec_lo, exec_lo, s11
.LBB6_8153:                             ;   in Loop: Header=BB6_5693 Depth=2
	s_delay_alu instid0(SALU_CYCLE_1)
	s_or_b32 exec_lo, exec_lo, s10
	scratch_load_b64 v[2:3], off, s33 offset:228 ; 8-byte Folded Reload
	v_mov_b32_e32 v0, 0
	s_mov_b32 s10, exec_lo
	s_wait_loadcnt 0x0
	v_and_b32_e32 v4, 0xff, v2
	v_mov_b32_e32 v2, 0
	s_wait_xcnt 0x0
	s_delay_alu instid0(VALU_DEP_2)
	v_cmpx_ne_u16_e32 0, v4
	s_cbranch_execz .LBB6_8163
; %bb.8154:                             ;   in Loop: Header=BB6_5693 Depth=2
	v_bfrev_b32_e32 v2, 1
	s_mov_b32 s11, exec_lo
	v_cmpx_ne_u16_e32 0x80, v4
	s_cbranch_execz .LBB6_8162
; %bb.8155:                             ;   in Loop: Header=BB6_5693 Depth=2
	scratch_load_b64 v[2:3], off, s33 offset:228 ; 8-byte Folded Reload
	s_wait_loadcnt 0x0
	v_mov_b32_e32 v52, v2
	s_delay_alu instid0(VALU_DEP_1) | instskip(SKIP_1) | instid1(VALU_DEP_2)
	v_and_b32_e32 v2, 0x7c, v52
	v_and_b32_e32 v3, 3, v52
	v_cmp_ne_u32_e32 vcc_lo, 0x7c, v2
                                        ; implicit-def: $vgpr2
	s_wait_xcnt 0x0
	s_and_saveexec_b32 s28, vcc_lo
	s_delay_alu instid0(SALU_CYCLE_1)
	s_xor_b32 s28, exec_lo, s28
	s_cbranch_execz .LBB6_8159
; %bb.8156:                             ;   in Loop: Header=BB6_5693 Depth=2
	v_bfe_u32 v2, v4, 2, 5
	s_mov_b32 s29, exec_lo
	s_delay_alu instid0(VALU_DEP_1)
	v_cmpx_eq_u32_e32 0, v2
	s_cbranch_execz .LBB6_8158
; %bb.8157:                             ;   in Loop: Header=BB6_5693 Depth=2
	scratch_load_b64 v[4:5], off, s33 offset:228 th:TH_LOAD_LU ; 8-byte Folded Reload
	v_clz_i32_u32_e32 v2, v3
	s_wait_loadcnt 0x0
	v_mov_b32_e32 v5, v1
	s_delay_alu instid0(VALU_DEP_2) | instskip(NEXT) | instid1(VALU_DEP_1)
	v_min_u32_e32 v2, 32, v2
	v_subrev_nc_u32_e32 v3, 29, v2
	v_mov_b32_e32 v52, v4
	s_delay_alu instid0(VALU_DEP_2)
	v_lshlrev_b64_e32 v[4:5], v3, v[4:5]
	v_sub_nc_u32_e32 v2, 30, v2
	scratch_store_b64 off, v[52:53], s33 offset:228 ; 8-byte Folded Spill
	v_and_b32_e32 v3, 3, v4
.LBB6_8158:                             ;   in Loop: Header=BB6_5693 Depth=2
	s_wait_xcnt 0x0
	s_or_b32 exec_lo, exec_lo, s29
	scratch_load_b64 v[4:5], off, s33 offset:228 th:TH_LOAD_LU ; 8-byte Folded Reload
	s_wait_loadcnt 0x0
	v_lshlrev_b32_e32 v4, 24, v4
	s_delay_alu instid0(VALU_DEP_1) | instskip(NEXT) | instid1(VALU_DEP_1)
	v_and_b32_e32 v4, 0x80000000, v4
	v_lshl_add_u32 v2, v2, 23, v4
                                        ; implicit-def: $vgpr4
	scratch_store_b64 off, v[4:5], s33 offset:228 ; 8-byte Folded Spill
	v_lshl_or_b32 v2, v3, 21, v2
                                        ; implicit-def: $vgpr3
	s_delay_alu instid0(VALU_DEP_1)
	v_add_nc_u32_e32 v2, 0x38000000, v2
.LBB6_8159:                             ;   in Loop: Header=BB6_5693 Depth=2
	s_wait_xcnt 0x0
	s_and_not1_saveexec_b32 s28, s28
	s_cbranch_execz .LBB6_8161
; %bb.8160:                             ;   in Loop: Header=BB6_5693 Depth=2
	scratch_load_b64 v[4:5], off, s33 offset:228 th:TH_LOAD_LU ; 8-byte Folded Reload
	s_wait_loadcnt 0x0
	v_bfe_i32 v2, v4, 0, 8
	s_delay_alu instid0(VALU_DEP_1) | instskip(SKIP_1) | instid1(VALU_DEP_1)
	v_cmp_lt_i16_e32 vcc_lo, -1, v2
	v_mov_b32_e32 v2, 0x7f800000
	v_cndmask_b32_e32 v2, 0xff800000, v2, vcc_lo
	v_cmp_eq_u32_e32 vcc_lo, 0, v3
	s_delay_alu instid0(VALU_DEP_2)
	v_cndmask_b32_e32 v2, 0x7f800001, v2, vcc_lo
.LBB6_8161:                             ;   in Loop: Header=BB6_5693 Depth=2
	s_wait_xcnt 0x0
	s_or_b32 exec_lo, exec_lo, s28
.LBB6_8162:                             ;   in Loop: Header=BB6_5693 Depth=2
	s_delay_alu instid0(SALU_CYCLE_1)
	s_or_b32 exec_lo, exec_lo, s11
.LBB6_8163:                             ;   in Loop: Header=BB6_5693 Depth=2
	s_delay_alu instid0(SALU_CYCLE_1) | instskip(NEXT) | instid1(SALU_CYCLE_1)
	s_or_b32 exec_lo, exec_lo, s10
	s_mov_b32 s10, exec_lo
	s_wait_dscnt 0x0
	v_cmpx_ne_u16_e32 0, v18
	s_cbranch_execz .LBB6_8173
; %bb.8164:                             ;   in Loop: Header=BB6_5693 Depth=2
	v_bfrev_b32_e32 v0, 1
	s_mov_b32 s11, exec_lo
	v_cmpx_ne_u16_e32 0xff80, v18
	s_cbranch_execz .LBB6_8172
; %bb.8165:                             ;   in Loop: Header=BB6_5693 Depth=2
	v_and_b32_e32 v0, 0x7c, v18
	v_and_b32_e32 v3, 3, v18
	s_delay_alu instid0(VALU_DEP_2) | instskip(SKIP_1) | instid1(SALU_CYCLE_1)
	v_cmp_ne_u32_e32 vcc_lo, 0x7c, v0
                                        ; implicit-def: $vgpr0
	s_and_saveexec_b32 s28, vcc_lo
	s_xor_b32 s28, exec_lo, s28
	s_cbranch_execz .LBB6_8169
; %bb.8166:                             ;   in Loop: Header=BB6_5693 Depth=2
	v_and_b32_e32 v0, 0xff, v18
	s_mov_b32 s29, exec_lo
	s_delay_alu instid0(VALU_DEP_1) | instskip(NEXT) | instid1(VALU_DEP_1)
	v_bfe_u32 v0, v0, 2, 5
	v_cmpx_eq_u32_e32 0, v0
	s_cbranch_execz .LBB6_8168
; %bb.8167:                             ;   in Loop: Header=BB6_5693 Depth=2
	v_clz_i32_u32_e32 v0, v3
	s_delay_alu instid0(VALU_DEP_1) | instskip(SKIP_1) | instid1(VALU_DEP_2)
	v_min_u32_e32 v0, 32, v0
	v_mov_b32_e32 v19, v1
	v_subrev_nc_u32_e32 v3, 29, v0
	v_sub_nc_u32_e32 v0, 30, v0
	s_delay_alu instid0(VALU_DEP_2) | instskip(NEXT) | instid1(VALU_DEP_1)
	v_lshlrev_b64_e32 v[4:5], v3, v[18:19]
	v_and_b32_e32 v3, 3, v4
.LBB6_8168:                             ;   in Loop: Header=BB6_5693 Depth=2
	s_or_b32 exec_lo, exec_lo, s29
	v_bfe_i32 v4, v18, 0, 16
                                        ; implicit-def: $vgpr18
	s_delay_alu instid0(VALU_DEP_1) | instskip(NEXT) | instid1(VALU_DEP_1)
	v_and_b32_e32 v4, 0x80000000, v4
	v_lshl_add_u32 v0, v0, 23, v4
	s_delay_alu instid0(VALU_DEP_1) | instskip(NEXT) | instid1(VALU_DEP_1)
	v_lshl_or_b32 v0, v3, 21, v0
                                        ; implicit-def: $vgpr3
	v_add_nc_u32_e32 v0, 0x38000000, v0
.LBB6_8169:                             ;   in Loop: Header=BB6_5693 Depth=2
	s_and_not1_saveexec_b32 s28, s28
; %bb.8170:                             ;   in Loop: Header=BB6_5693 Depth=2
	v_cmp_lt_i16_e32 vcc_lo, -1, v18
	v_mov_b32_e32 v0, 0x7f800000
	s_delay_alu instid0(VALU_DEP_1) | instskip(SKIP_1) | instid1(VALU_DEP_2)
	v_cndmask_b32_e32 v0, 0xff800000, v0, vcc_lo
	v_cmp_eq_u32_e32 vcc_lo, 0, v3
	v_cndmask_b32_e32 v0, 0x7f800001, v0, vcc_lo
; %bb.8171:                             ;   in Loop: Header=BB6_5693 Depth=2
	s_or_b32 exec_lo, exec_lo, s28
.LBB6_8172:                             ;   in Loop: Header=BB6_5693 Depth=2
	s_delay_alu instid0(SALU_CYCLE_1)
	s_or_b32 exec_lo, exec_lo, s11
.LBB6_8173:                             ;   in Loop: Header=BB6_5693 Depth=2
	s_delay_alu instid0(SALU_CYCLE_1) | instskip(NEXT) | instid1(VALU_DEP_1)
	s_or_b32 exec_lo, exec_lo, s10
	v_dual_add_f32 v2, v2, v0 :: v_dual_mov_b32 v5, v1
                                        ; implicit-def: $vgpr3
	s_mov_b32 s10, exec_lo
	s_delay_alu instid0(VALU_DEP_1) | instskip(SKIP_1) | instid1(VALU_DEP_2)
	v_and_b32_e32 v4, 0x7f800000, v2
	v_and_b32_e32 v0, 0x7fffff, v2
	v_cmpx_ne_u64_e32 0x7f800000, v[4:5]
	s_xor_b32 s11, exec_lo, s10
	s_cbranch_execz .LBB6_8191
; %bb.8174:                             ;   in Loop: Header=BB6_5693 Depth=2
	v_dual_mov_b32 v5, v1 :: v_dual_lshrrev_b32 v3, 24, v2
	v_and_b32_e32 v4, 0x7fffffff, v2
	s_mov_b32 s10, exec_lo
	s_delay_alu instid0(VALU_DEP_2) | instskip(NEXT) | instid1(VALU_DEP_2)
	v_and_b32_e32 v18, 0x80, v3
                                        ; implicit-def: $vgpr3
	v_cmpx_gt_u64_e32 0x47600001, v[4:5]
	s_xor_b32 s28, exec_lo, s10
	s_cbranch_execz .LBB6_8188
; %bb.8175:                             ;   in Loop: Header=BB6_5693 Depth=2
	v_mov_b32_e32 v3, 0
	s_mov_b32 s29, exec_lo
	v_cmpx_ne_u32_e32 0, v2
	s_cbranch_execz .LBB6_8187
; %bb.8176:                             ;   in Loop: Header=BB6_5693 Depth=2
	v_bfe_u32 v19, v2, 23, 8
	v_or_b32_e32 v4, 0x800000, v0
	s_mov_b32 s40, exec_lo
	s_delay_alu instid0(VALU_DEP_2) | instskip(SKIP_1) | instid1(VALU_DEP_2)
	v_dual_mov_b32 v5, v1 :: v_dual_sub_nc_u32 v2, 0x71, v19
	v_cmp_gt_u32_e32 vcc_lo, 0x72, v19
	v_cndmask_b32_e32 v2, 0, v2, vcc_lo
	v_cmp_eq_u32_e32 vcc_lo, 0, v19
	s_delay_alu instid0(VALU_DEP_2) | instskip(SKIP_1) | instid1(VALU_DEP_2)
	v_cndmask_b32_e64 v52, v2, 0x70, vcc_lo
	v_cndmask_b32_e32 v4, v4, v0, vcc_lo
	v_dual_add_nc_u32 v2, 21, v52 :: v_dual_add_nc_u32 v54, 20, v52
	s_delay_alu instid0(VALU_DEP_1) | instskip(NEXT) | instid1(VALU_DEP_2)
	v_lshlrev_b64_e64 v[2:3], v2, -1
	v_lshlrev_b64_e64 v[54:55], v54, 1
	s_delay_alu instid0(VALU_DEP_2) | instskip(NEXT) | instid1(VALU_DEP_3)
	v_bfi_b32 v65, v3, 0, 0
	v_bfi_b32 v64, v2, 0, v4
	v_lshrrev_b64 v[2:3], v52, v[4:5]
	s_delay_alu instid0(VALU_DEP_1) | instskip(NEXT) | instid1(VALU_DEP_3)
	v_mov_b64_e32 v[4:5], v[2:3]
	v_cmpx_eq_u64_e64 v[64:65], v[54:55]
; %bb.8177:                             ;   in Loop: Header=BB6_5693 Depth=2
	v_bfe_u32 v4, v2, 21, 1
	v_mov_b32_e32 v5, v1
	s_delay_alu instid0(VALU_DEP_1) | instskip(NEXT) | instid1(VALU_DEP_1)
	v_add_nc_u64_e32 v[4:5], v[2:3], v[4:5]
	v_add_nc_u64_e32 v[4:5], -1, v[4:5]
; %bb.8178:                             ;   in Loop: Header=BB6_5693 Depth=2
	s_or_b32 exec_lo, exec_lo, s40
	v_add_nc_u32_e32 v0, 0xffffff81, v19
	s_delay_alu instid0(VALU_DEP_2) | instskip(SKIP_2) | instid1(VALU_DEP_3)
	v_and_b32_e32 v4, 0x1fffff, v4
	v_lshrrev_b32_e32 v3, 23, v2
	s_mov_b32 s10, exec_lo
	v_cndmask_b32_e64 v0, v0, 0xffffff82, vcc_lo
	s_delay_alu instid0(VALU_DEP_1) | instskip(SKIP_1) | instid1(VALU_DEP_2)
	v_add3_u32 v5, v52, v0, v3
	v_add_nc_u32_e32 v0, v4, v2
                                        ; implicit-def: $vgpr2_vgpr3
                                        ; implicit-def: $vgpr4
	v_add_nc_u32_e32 v19, 14, v5
	s_delay_alu instid0(VALU_DEP_1)
	v_cmpx_ne_u32_e32 0, v19
	s_xor_b32 s10, exec_lo, s10
; %bb.8179:                             ;   in Loop: Header=BB6_5693 Depth=2
	s_delay_alu instid0(VALU_DEP_3) | instskip(SKIP_1) | instid1(VALU_DEP_1)
	v_cmp_lt_u64_e32 vcc_lo, 0xffffff, v[0:1]
	v_add_nc_u32_e32 v2, 15, v5
	v_cndmask_b32_e32 v4, v19, v2, vcc_lo
	v_cndmask_b32_e64 v2, 0, 1, vcc_lo
	s_delay_alu instid0(VALU_DEP_1)
	v_lshrrev_b64 v[2:3], v2, v[0:1]
; %bb.8180:                             ;   in Loop: Header=BB6_5693 Depth=2
	s_and_not1_saveexec_b32 s10, s10
; %bb.8181:                             ;   in Loop: Header=BB6_5693 Depth=2
	v_mov_b64_e32 v[2:3], v[0:1]
	v_bfe_u32 v4, v0, 23, 1
; %bb.8182:                             ;   in Loop: Header=BB6_5693 Depth=2
	s_or_b32 exec_lo, exec_lo, s10
	s_delay_alu instid0(VALU_DEP_2) | instskip(NEXT) | instid1(VALU_DEP_2)
	v_lshrrev_b64 v[2:3], 21, v[2:3]
	v_cmp_gt_i32_e32 vcc_lo, 32, v4
	v_cmp_ne_u32_e64 s10, 0, v4
	s_delay_alu instid0(VALU_DEP_3) | instskip(NEXT) | instid1(VALU_DEP_1)
	v_dual_cndmask_b32 v3, 0, v3 :: v_dual_cndmask_b32 v2, 3, v2
	v_cmp_ne_u64_e32 vcc_lo, 0, v[2:3]
                                        ; implicit-def: $vgpr3
	s_or_b32 s10, s10, vcc_lo
	s_delay_alu instid0(SALU_CYCLE_1) | instskip(NEXT) | instid1(SALU_CYCLE_1)
	s_and_saveexec_b32 s40, s10
	s_xor_b32 s10, exec_lo, s40
; %bb.8183:                             ;   in Loop: Header=BB6_5693 Depth=2
	v_min_i32_e32 v0, 31, v4
	s_delay_alu instid0(VALU_DEP_1) | instskip(NEXT) | instid1(VALU_DEP_1)
	v_lshl_or_b32 v0, v0, 2, v18
                                        ; implicit-def: $vgpr18
	v_and_or_b32 v3, v2, 3, v0
; %bb.8184:                             ;   in Loop: Header=BB6_5693 Depth=2
	s_and_not1_saveexec_b32 s10, s10
; %bb.8185:                             ;   in Loop: Header=BB6_5693 Depth=2
	v_mov_b32_e32 v3, v18
; %bb.8186:                             ;   in Loop: Header=BB6_5693 Depth=2
	s_or_b32 exec_lo, exec_lo, s10
.LBB6_8187:                             ;   in Loop: Header=BB6_5693 Depth=2
	s_delay_alu instid0(SALU_CYCLE_1)
	s_or_b32 exec_lo, exec_lo, s29
                                        ; implicit-def: $vgpr18
.LBB6_8188:                             ;   in Loop: Header=BB6_5693 Depth=2
	s_and_not1_saveexec_b32 s10, s28
; %bb.8189:                             ;   in Loop: Header=BB6_5693 Depth=2
	v_or_b32_e32 v3, 0x7b, v18
; %bb.8190:                             ;   in Loop: Header=BB6_5693 Depth=2
	s_or_b32 exec_lo, exec_lo, s10
                                        ; implicit-def: $vgpr2
.LBB6_8191:                             ;   in Loop: Header=BB6_5693 Depth=2
	s_and_not1_saveexec_b32 s10, s11
	s_cbranch_execz .LBB6_5692
; %bb.8192:                             ;   in Loop: Header=BB6_5693 Depth=2
	s_mov_b32 s11, exec_lo
                                        ; implicit-def: $vgpr3
	v_cmpx_ne_u64_e32 0, v[0:1]
	s_xor_b32 s11, exec_lo, s11
; %bb.8193:                             ;   in Loop: Header=BB6_5693 Depth=2
	v_lshrrev_b32_e32 v0, 24, v2
                                        ; implicit-def: $vgpr2
	s_delay_alu instid0(VALU_DEP_1)
	v_or_b32_e32 v3, 0x7f, v0
; %bb.8194:                             ;   in Loop: Header=BB6_5693 Depth=2
	s_and_not1_saveexec_b32 s11, s11
	s_cbranch_execz .LBB6_5691
; %bb.8195:                             ;   in Loop: Header=BB6_5693 Depth=2
	v_cmp_lt_i32_e32 vcc_lo, -1, v2
	v_cndmask_b32_e64 v3, -4, 0x7c, vcc_lo
	s_branch .LBB6_5691
.LBB6_8196:                             ;   in Loop: Header=BB6_49 Depth=1
	s_or_b32 exec_lo, exec_lo, s27
	s_clause 0x3
	scratch_load_b32 v10, off, s33 offset:344
	scratch_load_b32 v4, off, s33 offset:348
	;; [unrolled: 1-line block ×4, first 2 shown]
.LBB6_8197:                             ;   in Loop: Header=BB6_49 Depth=1
	s_wait_xcnt 0x0
	s_or_b32 exec_lo, exec_lo, s26
	s_wait_loadcnt 0x2
	v_and_b32_e32 v0, 0xfffffc00, v4
	s_delay_alu instid0(VALU_DEP_1)
	v_cmp_ne_u32_e32 vcc_lo, v4, v0
	s_and_b32 exec_lo, exec_lo, vcc_lo
	s_cbranch_execz .LBB6_8287
; %bb.8198:                             ;   in Loop: Header=BB6_49 Depth=1
	s_wait_loadcnt 0x0
	v_lshlrev_b32_e32 v2, 5, v6
	v_lshlrev_b32_e32 v3, 5, v126
	s_delay_alu instid0(VALU_DEP_2) | instskip(NEXT) | instid1(VALU_DEP_1)
	v_sub_nc_u32_e32 v2, v5, v2
	v_sub_nc_u32_e32 v2, v2, v3
	v_and_b32_e32 v3, 0x3ff, v4
	s_delay_alu instid0(VALU_DEP_1) | instskip(NEXT) | instid1(VALU_DEP_1)
	v_sub_nc_u32_e32 v12, v3, v2
	v_cmp_lt_i32_e32 vcc_lo, 0, v12
	s_and_b32 exec_lo, exec_lo, vcc_lo
	s_cbranch_execz .LBB6_8287
; %bb.8199:                             ;   in Loop: Header=BB6_49 Depth=1
	s_trap 2
	ds_load_b128 v[6:9], v0
	ds_load_b64 v[4:5], v0
	v_add3_u32 v10, v0, v10, v2
	s_mov_b32 s26, 0
	s_delay_alu instid0(VALU_DEP_1) | instskip(SKIP_1) | instid1(VALU_DEP_1)
	v_ashrrev_i32_e32 v11, 31, v10
	s_wait_dscnt 0x1
	v_add_nc_u64_e32 v[6:7], v[6:7], v[10:11]
	v_add_nc_u64_e32 v[2:3], v[8:9], v[10:11]
	s_wait_dscnt 0x0
	v_add_nc_u64_e32 v[4:5], v[4:5], v[10:11]
	s_branch .LBB6_8202
.LBB6_8200:                             ;   in Loop: Header=BB6_8202 Depth=2
	s_or_b32 exec_lo, exec_lo, s11
.LBB6_8201:                             ;   in Loop: Header=BB6_8202 Depth=2
	s_delay_alu instid0(SALU_CYCLE_1)
	s_or_b32 exec_lo, exec_lo, s10
	scratch_load_b64 v[10:11], off, s33 offset:316 ; 8-byte Folded Reload
	flat_store_b8 v[4:5], v9 th:TH_STORE_NT
	s_wait_loadcnt 0x0
	v_sub_nc_u32_e32 v12, v12, v10
	v_add_nc_u64_e32 v[6:7], v[6:7], v[10:11]
	v_add_nc_u64_e32 v[2:3], v[2:3], v[10:11]
	s_wait_xcnt 0x0
	v_add_nc_u64_e32 v[4:5], v[4:5], v[10:11]
	v_cmp_gt_i32_e32 vcc_lo, 1, v12
	s_or_b32 s26, vcc_lo, s26
	s_delay_alu instid0(SALU_CYCLE_1)
	s_and_not1_b32 exec_lo, exec_lo, s26
	s_cbranch_execz .LBB6_8287
.LBB6_8202:                             ;   Parent Loop BB6_49 Depth=1
                                        ; =>  This Inner Loop Header: Depth=2
	s_trap 2
	ds_load_b64 v[8:9], v0
	s_mov_b32 s27, 0
	s_wait_dscnt 0x0
	v_and_b32_e32 v0, 0xff, v8
	v_readfirstlane_b32 s10, v8
	v_readfirstlane_b32 s11, v9
	s_delay_alu instid0(VALU_DEP_3)
	v_cmp_eq_u32_e32 vcc_lo, 0, v0
	s_cbranch_vccnz .LBB6_8210
; %bb.8203:                             ;   in Loop: Header=BB6_8202 Depth=2
	s_bfe_i32 s29, s10, 0x80000
	s_delay_alu instid0(SALU_CYCLE_1) | instskip(NEXT) | instid1(SALU_CYCLE_1)
	s_and_b32 s27, 0xffff, s29
	s_cmp_eq_u32 s27, 0xff80
	s_brev_b32 s27, 1
	s_cbranch_scc1 .LBB6_8210
; %bb.8204:                             ;   in Loop: Header=BB6_8202 Depth=2
	s_and_b32 s27, s10, 0x7c
	s_and_b32 s28, s10, 3
	s_mov_b32 s40, -1
	s_cmp_lg_u32 s27, 0x7c
	s_sext_i32_i16 s29, s29
                                        ; implicit-def: $sgpr27
	s_cbranch_scc0 .LBB6_8208
; %bb.8205:                             ;   in Loop: Header=BB6_8202 Depth=2
	s_bfe_u32 s27, s10, 0x50002
	s_mov_b32 s40, s28
	s_cmp_lg_u32 s27, 0
	s_cbranch_scc1 .LBB6_8207
; %bb.8206:                             ;   in Loop: Header=BB6_8202 Depth=2
	s_clz_i32_u32 s27, s28
	s_delay_alu instid0(SALU_CYCLE_1) | instskip(NEXT) | instid1(SALU_CYCLE_1)
	s_min_u32 s27, s27, 32
	s_sub_co_i32 s40, s27, 29
	s_sub_co_i32 s27, 30, s27
	s_lshl_b64 s[10:11], s[10:11], s40
	s_delay_alu instid0(SALU_CYCLE_1)
	s_and_b32 s40, s10, 3
.LBB6_8207:                             ;   in Loop: Header=BB6_8202 Depth=2
	s_and_b32 s10, s29, 0x80000000
	s_lshl_b32 s11, s27, 23
	s_lshl_b32 s27, s40, 21
	s_add_co_i32 s11, s11, s10
	s_mov_b32 s40, 0
	s_or_b32 s10, s11, s27
	s_delay_alu instid0(SALU_CYCLE_1)
	s_add_co_i32 s27, s10, 0x38000000
.LBB6_8208:                             ;   in Loop: Header=BB6_8202 Depth=2
	s_and_b32 vcc_lo, exec_lo, s40
	s_cbranch_vccz .LBB6_8210
; %bb.8209:                             ;   in Loop: Header=BB6_8202 Depth=2
	s_cmp_gt_i32 s29, -1
	s_cselect_b32 s10, s22, 0xff800000
	s_cmp_eq_u32 s28, 0
	s_cselect_b32 s27, s10, 0x7f800001
.LBB6_8210:                             ;   in Loop: Header=BB6_8202 Depth=2
	flat_load_i8 v8, v[6:7] th:TH_LOAD_NT
	v_mov_b32_e32 v9, 0
	s_mov_b32 s10, exec_lo
	s_wait_loadcnt_dscnt 0x0
	s_wait_xcnt 0x0
	v_cmpx_ne_u16_e32 0, v8
	s_cbranch_execz .LBB6_8220
; %bb.8211:                             ;   in Loop: Header=BB6_8202 Depth=2
	v_bfrev_b32_e32 v9, 1
	s_mov_b32 s11, exec_lo
	v_cmpx_ne_u16_e32 0xff80, v8
	s_cbranch_execz .LBB6_8219
; %bb.8212:                             ;   in Loop: Header=BB6_8202 Depth=2
	v_and_b32_e32 v9, 0x7c, v8
	v_and_b32_e32 v0, 3, v8
	s_delay_alu instid0(VALU_DEP_2) | instskip(SKIP_1) | instid1(SALU_CYCLE_1)
	v_cmp_ne_u32_e32 vcc_lo, 0x7c, v9
                                        ; implicit-def: $vgpr9
	s_and_saveexec_b32 s28, vcc_lo
	s_xor_b32 s28, exec_lo, s28
	s_cbranch_execz .LBB6_8216
; %bb.8213:                             ;   in Loop: Header=BB6_8202 Depth=2
	v_and_b32_e32 v9, 0xff, v8
	s_mov_b32 s29, exec_lo
	s_delay_alu instid0(VALU_DEP_1) | instskip(NEXT) | instid1(VALU_DEP_1)
	v_bfe_u32 v9, v9, 2, 5
	v_cmpx_eq_u32_e32 0, v9
; %bb.8214:                             ;   in Loop: Header=BB6_8202 Depth=2
	v_clz_i32_u32_e32 v0, v0
	v_mov_b32_e32 v9, v1
	s_delay_alu instid0(VALU_DEP_2) | instskip(NEXT) | instid1(VALU_DEP_1)
	v_min_u32_e32 v0, 32, v0
	v_subrev_nc_u32_e32 v10, 29, v0
	s_delay_alu instid0(VALU_DEP_1) | instskip(NEXT) | instid1(VALU_DEP_1)
	v_lshlrev_b64_e32 v[10:11], v10, v[8:9]
	v_dual_sub_nc_u32 v9, 30, v0 :: v_dual_bitop2_b32 v0, 3, v10 bitop3:0x40
; %bb.8215:                             ;   in Loop: Header=BB6_8202 Depth=2
	s_or_b32 exec_lo, exec_lo, s29
	v_bfe_i32 v8, v8, 0, 16
	s_delay_alu instid0(VALU_DEP_1) | instskip(NEXT) | instid1(VALU_DEP_1)
	v_and_b32_e32 v8, 0x80000000, v8
	v_lshl_add_u32 v8, v9, 23, v8
	s_delay_alu instid0(VALU_DEP_1) | instskip(NEXT) | instid1(VALU_DEP_1)
	v_lshl_or_b32 v0, v0, 21, v8
                                        ; implicit-def: $vgpr8
	v_add_nc_u32_e32 v9, 0x38000000, v0
                                        ; implicit-def: $vgpr0
.LBB6_8216:                             ;   in Loop: Header=BB6_8202 Depth=2
	s_and_not1_saveexec_b32 s28, s28
; %bb.8217:                             ;   in Loop: Header=BB6_8202 Depth=2
	v_cmp_lt_i16_e32 vcc_lo, -1, v8
	v_mov_b32_e32 v8, 0x7f800000
	s_delay_alu instid0(VALU_DEP_1) | instskip(SKIP_1) | instid1(VALU_DEP_2)
	v_cndmask_b32_e32 v8, 0xff800000, v8, vcc_lo
	v_cmp_eq_u32_e32 vcc_lo, 0, v0
	v_cndmask_b32_e32 v9, 0x7f800001, v8, vcc_lo
; %bb.8218:                             ;   in Loop: Header=BB6_8202 Depth=2
	s_or_b32 exec_lo, exec_lo, s28
.LBB6_8219:                             ;   in Loop: Header=BB6_8202 Depth=2
	s_delay_alu instid0(SALU_CYCLE_1)
	s_or_b32 exec_lo, exec_lo, s11
.LBB6_8220:                             ;   in Loop: Header=BB6_8202 Depth=2
	s_delay_alu instid0(SALU_CYCLE_1) | instskip(NEXT) | instid1(VALU_DEP_1)
	s_or_b32 exec_lo, exec_lo, s10
	v_dual_mul_f32 v9, s27, v9 :: v_dual_mov_b32 v11, v1
                                        ; implicit-def: $vgpr8
	s_mov_b32 s10, exec_lo
	s_delay_alu instid0(VALU_DEP_1) | instskip(SKIP_1) | instid1(VALU_DEP_2)
	v_and_b32_e32 v10, 0x7f800000, v9
	v_and_b32_e32 v0, 0x7fffff, v9
	v_cmpx_ne_u64_e32 0x7f800000, v[10:11]
	s_xor_b32 s11, exec_lo, s10
	s_cbranch_execz .LBB6_8238
; %bb.8221:                             ;   in Loop: Header=BB6_8202 Depth=2
	v_dual_mov_b32 v11, v1 :: v_dual_lshrrev_b32 v8, 24, v9
	v_and_b32_e32 v10, 0x7fffffff, v9
	s_mov_b32 s10, exec_lo
	s_delay_alu instid0(VALU_DEP_2) | instskip(NEXT) | instid1(VALU_DEP_2)
	v_and_b32_e32 v13, 0x80, v8
                                        ; implicit-def: $vgpr8
	v_cmpx_gt_u64_e32 0x47600001, v[10:11]
	s_xor_b32 s27, exec_lo, s10
	s_cbranch_execz .LBB6_8235
; %bb.8222:                             ;   in Loop: Header=BB6_8202 Depth=2
	v_mov_b32_e32 v8, 0
	s_mov_b32 s28, exec_lo
	v_cmpx_ne_u32_e32 0, v9
	s_cbranch_execz .LBB6_8234
; %bb.8223:                             ;   in Loop: Header=BB6_8202 Depth=2
	v_bfe_u32 v14, v9, 23, 8
	v_or_b32_e32 v10, 0x800000, v0
	s_mov_b32 s29, exec_lo
	s_delay_alu instid0(VALU_DEP_2) | instskip(SKIP_1) | instid1(VALU_DEP_2)
	v_dual_mov_b32 v11, v1 :: v_dual_sub_nc_u32 v8, 0x71, v14
	v_cmp_gt_u32_e32 vcc_lo, 0x72, v14
	v_cndmask_b32_e32 v8, 0, v8, vcc_lo
	v_cmp_eq_u32_e32 vcc_lo, 0, v14
	s_delay_alu instid0(VALU_DEP_2) | instskip(NEXT) | instid1(VALU_DEP_1)
	v_cndmask_b32_e64 v15, v8, 0x70, vcc_lo
	v_dual_cndmask_b32 v10, v10, v0, vcc_lo :: v_dual_add_nc_u32 v8, 21, v15
	v_add_nc_u32_e32 v16, 20, v15
	s_delay_alu instid0(VALU_DEP_2) | instskip(NEXT) | instid1(VALU_DEP_2)
	v_lshlrev_b64_e64 v[8:9], v8, -1
	v_lshlrev_b64_e64 v[16:17], v16, 1
	s_delay_alu instid0(VALU_DEP_2) | instskip(NEXT) | instid1(VALU_DEP_3)
	v_bfi_b32 v19, v9, 0, 0
	v_bfi_b32 v18, v8, 0, v10
	v_lshrrev_b64 v[8:9], v15, v[10:11]
	s_delay_alu instid0(VALU_DEP_1) | instskip(NEXT) | instid1(VALU_DEP_3)
	v_mov_b64_e32 v[10:11], v[8:9]
	v_cmpx_eq_u64_e64 v[18:19], v[16:17]
; %bb.8224:                             ;   in Loop: Header=BB6_8202 Depth=2
	v_bfe_u32 v10, v8, 21, 1
	v_mov_b32_e32 v11, v1
	s_delay_alu instid0(VALU_DEP_1) | instskip(NEXT) | instid1(VALU_DEP_1)
	v_add_nc_u64_e32 v[10:11], v[8:9], v[10:11]
	v_add_nc_u64_e32 v[10:11], -1, v[10:11]
; %bb.8225:                             ;   in Loop: Header=BB6_8202 Depth=2
	s_or_b32 exec_lo, exec_lo, s29
	v_add_nc_u32_e32 v0, 0xffffff81, v14
	s_delay_alu instid0(VALU_DEP_2) | instskip(SKIP_2) | instid1(VALU_DEP_3)
	v_and_b32_e32 v11, 0x1fffff, v10
	v_lshrrev_b32_e32 v9, 23, v8
	s_mov_b32 s10, exec_lo
                                        ; implicit-def: $vgpr14
	v_cndmask_b32_e64 v0, v0, 0xffffff82, vcc_lo
	s_delay_alu instid0(VALU_DEP_1) | instskip(SKIP_1) | instid1(VALU_DEP_2)
	v_add3_u32 v10, v15, v0, v9
	v_add_nc_u32_e32 v0, v11, v8
                                        ; implicit-def: $vgpr8_vgpr9
	v_add_nc_u32_e32 v11, 14, v10
	s_delay_alu instid0(VALU_DEP_1)
	v_cmpx_ne_u32_e32 0, v11
	s_xor_b32 s10, exec_lo, s10
; %bb.8226:                             ;   in Loop: Header=BB6_8202 Depth=2
	s_delay_alu instid0(VALU_DEP_3) | instskip(SKIP_1) | instid1(VALU_DEP_1)
	v_cmp_lt_u64_e32 vcc_lo, 0xffffff, v[0:1]
	v_add_nc_u32_e32 v8, 15, v10
	v_cndmask_b32_e32 v14, v11, v8, vcc_lo
	v_cndmask_b32_e64 v8, 0, 1, vcc_lo
	s_delay_alu instid0(VALU_DEP_1)
	v_lshrrev_b64 v[8:9], v8, v[0:1]
; %bb.8227:                             ;   in Loop: Header=BB6_8202 Depth=2
	s_and_not1_saveexec_b32 s10, s10
; %bb.8228:                             ;   in Loop: Header=BB6_8202 Depth=2
	v_mov_b64_e32 v[8:9], v[0:1]
	v_bfe_u32 v14, v0, 23, 1
; %bb.8229:                             ;   in Loop: Header=BB6_8202 Depth=2
	s_or_b32 exec_lo, exec_lo, s10
	s_delay_alu instid0(VALU_DEP_2) | instskip(NEXT) | instid1(VALU_DEP_2)
	v_lshrrev_b64 v[8:9], 21, v[8:9]
	v_cmp_gt_i32_e32 vcc_lo, 32, v14
	v_cmp_ne_u32_e64 s10, 0, v14
	s_delay_alu instid0(VALU_DEP_3) | instskip(NEXT) | instid1(VALU_DEP_1)
	v_dual_cndmask_b32 v11, 0, v9 :: v_dual_cndmask_b32 v10, 3, v8
                                        ; implicit-def: $vgpr8
	v_cmp_ne_u64_e32 vcc_lo, 0, v[10:11]
	s_or_b32 s10, s10, vcc_lo
	s_delay_alu instid0(SALU_CYCLE_1) | instskip(NEXT) | instid1(SALU_CYCLE_1)
	s_and_saveexec_b32 s29, s10
	s_xor_b32 s10, exec_lo, s29
; %bb.8230:                             ;   in Loop: Header=BB6_8202 Depth=2
	v_min_i32_e32 v0, 31, v14
	s_delay_alu instid0(VALU_DEP_1) | instskip(NEXT) | instid1(VALU_DEP_1)
	v_lshl_or_b32 v0, v0, 2, v13
                                        ; implicit-def: $vgpr13
	v_and_or_b32 v8, v10, 3, v0
; %bb.8231:                             ;   in Loop: Header=BB6_8202 Depth=2
	s_and_not1_saveexec_b32 s10, s10
; %bb.8232:                             ;   in Loop: Header=BB6_8202 Depth=2
	v_mov_b32_e32 v8, v13
; %bb.8233:                             ;   in Loop: Header=BB6_8202 Depth=2
	s_or_b32 exec_lo, exec_lo, s10
.LBB6_8234:                             ;   in Loop: Header=BB6_8202 Depth=2
	s_delay_alu instid0(SALU_CYCLE_1)
	s_or_b32 exec_lo, exec_lo, s28
                                        ; implicit-def: $vgpr13
.LBB6_8235:                             ;   in Loop: Header=BB6_8202 Depth=2
	s_and_not1_saveexec_b32 s10, s27
; %bb.8236:                             ;   in Loop: Header=BB6_8202 Depth=2
	v_or_b32_e32 v8, 0x7b, v13
; %bb.8237:                             ;   in Loop: Header=BB6_8202 Depth=2
	s_or_b32 exec_lo, exec_lo, s10
                                        ; implicit-def: $vgpr9
.LBB6_8238:                             ;   in Loop: Header=BB6_8202 Depth=2
	s_and_not1_saveexec_b32 s10, s11
	s_cbranch_execz .LBB6_8244
; %bb.8239:                             ;   in Loop: Header=BB6_8202 Depth=2
	s_mov_b32 s11, exec_lo
                                        ; implicit-def: $vgpr8
	v_cmpx_ne_u64_e32 0, v[0:1]
	s_xor_b32 s11, exec_lo, s11
; %bb.8240:                             ;   in Loop: Header=BB6_8202 Depth=2
	v_lshrrev_b32_e32 v0, 24, v9
                                        ; implicit-def: $vgpr9
	s_delay_alu instid0(VALU_DEP_1)
	v_or_b32_e32 v8, 0x7f, v0
; %bb.8241:                             ;   in Loop: Header=BB6_8202 Depth=2
	s_and_not1_saveexec_b32 s11, s11
; %bb.8242:                             ;   in Loop: Header=BB6_8202 Depth=2
	v_cmp_lt_i32_e32 vcc_lo, -1, v9
	v_cndmask_b32_e64 v8, -4, 0x7c, vcc_lo
; %bb.8243:                             ;   in Loop: Header=BB6_8202 Depth=2
	s_or_b32 exec_lo, exec_lo, s11
.LBB6_8244:                             ;   in Loop: Header=BB6_8202 Depth=2
	s_delay_alu instid0(SALU_CYCLE_1)
	s_or_b32 exec_lo, exec_lo, s10
	flat_load_i8 v10, v[2:3] th:TH_LOAD_NT
	v_and_b32_e32 v13, 0xff, v8
	v_dual_mov_b32 v0, 0 :: v_dual_mov_b32 v9, 0
	s_mov_b32 s10, exec_lo
	s_wait_xcnt 0x0
	s_delay_alu instid0(VALU_DEP_2)
	v_cmpx_ne_u16_e32 0, v13
	s_cbranch_execz .LBB6_8254
; %bb.8245:                             ;   in Loop: Header=BB6_8202 Depth=2
	v_bfrev_b32_e32 v9, 1
	s_mov_b32 s11, exec_lo
	v_cmpx_ne_u16_e32 0x80, v13
	s_cbranch_execz .LBB6_8253
; %bb.8246:                             ;   in Loop: Header=BB6_8202 Depth=2
	v_and_b32_e32 v9, 0x7c, v8
	v_and_b32_e32 v11, 3, v8
	s_delay_alu instid0(VALU_DEP_2) | instskip(SKIP_1) | instid1(SALU_CYCLE_1)
	v_cmp_ne_u32_e32 vcc_lo, 0x7c, v9
                                        ; implicit-def: $vgpr9
	s_and_saveexec_b32 s27, vcc_lo
	s_xor_b32 s27, exec_lo, s27
	s_cbranch_execz .LBB6_8250
; %bb.8247:                             ;   in Loop: Header=BB6_8202 Depth=2
	v_bfe_u32 v9, v13, 2, 5
	s_mov_b32 s28, exec_lo
	s_delay_alu instid0(VALU_DEP_1)
	v_cmpx_eq_u32_e32 0, v9
; %bb.8248:                             ;   in Loop: Header=BB6_8202 Depth=2
	v_clz_i32_u32_e32 v9, v11
	s_delay_alu instid0(VALU_DEP_1) | instskip(SKIP_1) | instid1(VALU_DEP_2)
	v_min_u32_e32 v11, 32, v9
	v_mov_b32_e32 v9, v1
	v_subrev_nc_u32_e32 v13, 29, v11
	s_delay_alu instid0(VALU_DEP_1) | instskip(NEXT) | instid1(VALU_DEP_1)
	v_lshlrev_b64_e32 v[14:15], v13, v[8:9]
	v_dual_sub_nc_u32 v9, 30, v11 :: v_dual_bitop2_b32 v11, 3, v14 bitop3:0x40
; %bb.8249:                             ;   in Loop: Header=BB6_8202 Depth=2
	s_or_b32 exec_lo, exec_lo, s28
	v_lshlrev_b32_e32 v8, 24, v8
	s_delay_alu instid0(VALU_DEP_1) | instskip(NEXT) | instid1(VALU_DEP_1)
	v_and_b32_e32 v8, 0x80000000, v8
	v_lshl_add_u32 v8, v9, 23, v8
	s_delay_alu instid0(VALU_DEP_1) | instskip(NEXT) | instid1(VALU_DEP_1)
	v_lshl_or_b32 v8, v11, 21, v8
                                        ; implicit-def: $vgpr11
	v_add_nc_u32_e32 v9, 0x38000000, v8
                                        ; implicit-def: $vgpr8
.LBB6_8250:                             ;   in Loop: Header=BB6_8202 Depth=2
	s_and_not1_saveexec_b32 s27, s27
; %bb.8251:                             ;   in Loop: Header=BB6_8202 Depth=2
	v_bfe_i32 v8, v8, 0, 8
	s_delay_alu instid0(VALU_DEP_1) | instskip(SKIP_1) | instid1(VALU_DEP_1)
	v_cmp_lt_i16_e32 vcc_lo, -1, v8
	v_mov_b32_e32 v8, 0x7f800000
	v_cndmask_b32_e32 v8, 0xff800000, v8, vcc_lo
	v_cmp_eq_u32_e32 vcc_lo, 0, v11
	s_delay_alu instid0(VALU_DEP_2)
	v_cndmask_b32_e32 v9, 0x7f800001, v8, vcc_lo
; %bb.8252:                             ;   in Loop: Header=BB6_8202 Depth=2
	s_or_b32 exec_lo, exec_lo, s27
.LBB6_8253:                             ;   in Loop: Header=BB6_8202 Depth=2
	s_delay_alu instid0(SALU_CYCLE_1)
	s_or_b32 exec_lo, exec_lo, s11
.LBB6_8254:                             ;   in Loop: Header=BB6_8202 Depth=2
	s_delay_alu instid0(SALU_CYCLE_1) | instskip(NEXT) | instid1(SALU_CYCLE_1)
	s_or_b32 exec_lo, exec_lo, s10
	s_mov_b32 s10, exec_lo
	s_wait_loadcnt_dscnt 0x0
	v_cmpx_ne_u16_e32 0, v10
	s_cbranch_execz .LBB6_8264
; %bb.8255:                             ;   in Loop: Header=BB6_8202 Depth=2
	v_bfrev_b32_e32 v0, 1
	s_mov_b32 s11, exec_lo
	v_cmpx_ne_u16_e32 0xff80, v10
	s_cbranch_execz .LBB6_8263
; %bb.8256:                             ;   in Loop: Header=BB6_8202 Depth=2
	v_and_b32_e32 v0, 0x7c, v10
	v_and_b32_e32 v8, 3, v10
	s_delay_alu instid0(VALU_DEP_2) | instskip(SKIP_1) | instid1(SALU_CYCLE_1)
	v_cmp_ne_u32_e32 vcc_lo, 0x7c, v0
                                        ; implicit-def: $vgpr0
	s_and_saveexec_b32 s27, vcc_lo
	s_xor_b32 s27, exec_lo, s27
	s_cbranch_execz .LBB6_8260
; %bb.8257:                             ;   in Loop: Header=BB6_8202 Depth=2
	v_and_b32_e32 v0, 0xff, v10
	s_mov_b32 s28, exec_lo
	s_delay_alu instid0(VALU_DEP_1) | instskip(NEXT) | instid1(VALU_DEP_1)
	v_bfe_u32 v0, v0, 2, 5
	v_cmpx_eq_u32_e32 0, v0
	s_cbranch_execz .LBB6_8259
; %bb.8258:                             ;   in Loop: Header=BB6_8202 Depth=2
	v_clz_i32_u32_e32 v0, v8
	s_delay_alu instid0(VALU_DEP_1) | instskip(SKIP_1) | instid1(VALU_DEP_2)
	v_min_u32_e32 v0, 32, v0
	v_mov_b32_e32 v11, v1
	v_subrev_nc_u32_e32 v8, 29, v0
	v_sub_nc_u32_e32 v0, 30, v0
	s_delay_alu instid0(VALU_DEP_2) | instskip(NEXT) | instid1(VALU_DEP_1)
	v_lshlrev_b64_e32 v[14:15], v8, v[10:11]
	v_and_b32_e32 v8, 3, v14
.LBB6_8259:                             ;   in Loop: Header=BB6_8202 Depth=2
	s_or_b32 exec_lo, exec_lo, s28
	v_bfe_i32 v10, v10, 0, 16
	s_delay_alu instid0(VALU_DEP_1) | instskip(NEXT) | instid1(VALU_DEP_1)
	v_and_b32_e32 v10, 0x80000000, v10
	v_lshl_add_u32 v0, v0, 23, v10
                                        ; implicit-def: $vgpr10
	s_delay_alu instid0(VALU_DEP_1) | instskip(NEXT) | instid1(VALU_DEP_1)
	v_lshl_or_b32 v0, v8, 21, v0
                                        ; implicit-def: $vgpr8
	v_add_nc_u32_e32 v0, 0x38000000, v0
.LBB6_8260:                             ;   in Loop: Header=BB6_8202 Depth=2
	s_and_not1_saveexec_b32 s27, s27
; %bb.8261:                             ;   in Loop: Header=BB6_8202 Depth=2
	v_cmp_lt_i16_e32 vcc_lo, -1, v10
	v_mov_b32_e32 v0, 0x7f800000
	s_delay_alu instid0(VALU_DEP_1) | instskip(SKIP_1) | instid1(VALU_DEP_2)
	v_cndmask_b32_e32 v0, 0xff800000, v0, vcc_lo
	v_cmp_eq_u32_e32 vcc_lo, 0, v8
	v_cndmask_b32_e32 v0, 0x7f800001, v0, vcc_lo
; %bb.8262:                             ;   in Loop: Header=BB6_8202 Depth=2
	s_or_b32 exec_lo, exec_lo, s27
.LBB6_8263:                             ;   in Loop: Header=BB6_8202 Depth=2
	s_delay_alu instid0(SALU_CYCLE_1)
	s_or_b32 exec_lo, exec_lo, s11
.LBB6_8264:                             ;   in Loop: Header=BB6_8202 Depth=2
	s_delay_alu instid0(SALU_CYCLE_1) | instskip(NEXT) | instid1(VALU_DEP_1)
	s_or_b32 exec_lo, exec_lo, s10
	v_add_f32_e32 v8, v9, v0
	v_mov_b32_e32 v11, v1
                                        ; implicit-def: $vgpr9
	s_mov_b32 s10, exec_lo
	s_delay_alu instid0(VALU_DEP_2) | instskip(SKIP_1) | instid1(VALU_DEP_2)
	v_and_b32_e32 v10, 0x7f800000, v8
	v_and_b32_e32 v0, 0x7fffff, v8
	v_cmpx_ne_u64_e32 0x7f800000, v[10:11]
	s_xor_b32 s11, exec_lo, s10
	s_cbranch_execz .LBB6_8282
; %bb.8265:                             ;   in Loop: Header=BB6_8202 Depth=2
	v_dual_mov_b32 v11, v1 :: v_dual_lshrrev_b32 v9, 24, v8
	v_and_b32_e32 v10, 0x7fffffff, v8
	s_mov_b32 s10, exec_lo
	s_delay_alu instid0(VALU_DEP_2) | instskip(NEXT) | instid1(VALU_DEP_2)
	v_and_b32_e32 v13, 0x80, v9
                                        ; implicit-def: $vgpr9
	v_cmpx_gt_u64_e32 0x47600001, v[10:11]
	s_xor_b32 s27, exec_lo, s10
	s_cbranch_execz .LBB6_8279
; %bb.8266:                             ;   in Loop: Header=BB6_8202 Depth=2
	v_mov_b32_e32 v9, 0
	s_mov_b32 s28, exec_lo
	v_cmpx_ne_u32_e32 0, v8
	s_cbranch_execz .LBB6_8278
; %bb.8267:                             ;   in Loop: Header=BB6_8202 Depth=2
	v_bfe_u32 v14, v8, 23, 8
	v_or_b32_e32 v10, 0x800000, v0
	s_mov_b32 s29, exec_lo
	s_delay_alu instid0(VALU_DEP_2) | instskip(SKIP_1) | instid1(VALU_DEP_2)
	v_dual_mov_b32 v11, v1 :: v_dual_sub_nc_u32 v8, 0x71, v14
	v_cmp_gt_u32_e32 vcc_lo, 0x72, v14
	v_cndmask_b32_e32 v8, 0, v8, vcc_lo
	v_cmp_eq_u32_e32 vcc_lo, 0, v14
	s_delay_alu instid0(VALU_DEP_2) | instskip(NEXT) | instid1(VALU_DEP_1)
	v_cndmask_b32_e64 v15, v8, 0x70, vcc_lo
	v_dual_cndmask_b32 v10, v10, v0, vcc_lo :: v_dual_add_nc_u32 v8, 21, v15
	v_add_nc_u32_e32 v16, 20, v15
	s_delay_alu instid0(VALU_DEP_2) | instskip(NEXT) | instid1(VALU_DEP_2)
	v_lshlrev_b64_e64 v[8:9], v8, -1
	v_lshlrev_b64_e64 v[16:17], v16, 1
	s_delay_alu instid0(VALU_DEP_2) | instskip(NEXT) | instid1(VALU_DEP_3)
	v_bfi_b32 v19, v9, 0, 0
	v_bfi_b32 v18, v8, 0, v10
	v_lshrrev_b64 v[8:9], v15, v[10:11]
	s_delay_alu instid0(VALU_DEP_1) | instskip(NEXT) | instid1(VALU_DEP_3)
	v_mov_b64_e32 v[10:11], v[8:9]
	v_cmpx_eq_u64_e64 v[18:19], v[16:17]
; %bb.8268:                             ;   in Loop: Header=BB6_8202 Depth=2
	v_bfe_u32 v10, v8, 21, 1
	v_mov_b32_e32 v11, v1
	s_delay_alu instid0(VALU_DEP_1) | instskip(NEXT) | instid1(VALU_DEP_1)
	v_add_nc_u64_e32 v[10:11], v[8:9], v[10:11]
	v_add_nc_u64_e32 v[10:11], -1, v[10:11]
; %bb.8269:                             ;   in Loop: Header=BB6_8202 Depth=2
	s_or_b32 exec_lo, exec_lo, s29
	v_add_nc_u32_e32 v0, 0xffffff81, v14
	s_delay_alu instid0(VALU_DEP_2) | instskip(SKIP_2) | instid1(VALU_DEP_3)
	v_and_b32_e32 v10, 0x1fffff, v10
	v_lshrrev_b32_e32 v9, 23, v8
	s_mov_b32 s10, exec_lo
	v_cndmask_b32_e64 v0, v0, 0xffffff82, vcc_lo
	s_delay_alu instid0(VALU_DEP_1) | instskip(SKIP_1) | instid1(VALU_DEP_2)
	v_add3_u32 v11, v15, v0, v9
	v_add_nc_u32_e32 v0, v10, v8
                                        ; implicit-def: $vgpr8_vgpr9
                                        ; implicit-def: $vgpr10
	v_add_nc_u32_e32 v14, 14, v11
	s_delay_alu instid0(VALU_DEP_1)
	v_cmpx_ne_u32_e32 0, v14
	s_xor_b32 s10, exec_lo, s10
; %bb.8270:                             ;   in Loop: Header=BB6_8202 Depth=2
	s_delay_alu instid0(VALU_DEP_3) | instskip(SKIP_1) | instid1(VALU_DEP_1)
	v_cmp_lt_u64_e32 vcc_lo, 0xffffff, v[0:1]
	v_add_nc_u32_e32 v8, 15, v11
	v_cndmask_b32_e32 v10, v14, v8, vcc_lo
	v_cndmask_b32_e64 v8, 0, 1, vcc_lo
	s_delay_alu instid0(VALU_DEP_1)
	v_lshrrev_b64 v[8:9], v8, v[0:1]
; %bb.8271:                             ;   in Loop: Header=BB6_8202 Depth=2
	s_and_not1_saveexec_b32 s10, s10
; %bb.8272:                             ;   in Loop: Header=BB6_8202 Depth=2
	v_mov_b64_e32 v[8:9], v[0:1]
	v_bfe_u32 v10, v0, 23, 1
; %bb.8273:                             ;   in Loop: Header=BB6_8202 Depth=2
	s_or_b32 exec_lo, exec_lo, s10
	s_delay_alu instid0(VALU_DEP_2) | instskip(NEXT) | instid1(VALU_DEP_2)
	v_lshrrev_b64 v[8:9], 21, v[8:9]
	v_cmp_gt_i32_e32 vcc_lo, 32, v10
	v_cmp_ne_u32_e64 s10, 0, v10
	s_delay_alu instid0(VALU_DEP_3) | instskip(NEXT) | instid1(VALU_DEP_1)
	v_dual_cndmask_b32 v9, 0, v9 :: v_dual_cndmask_b32 v8, 3, v8
	v_cmp_ne_u64_e32 vcc_lo, 0, v[8:9]
                                        ; implicit-def: $vgpr9
	s_or_b32 s10, s10, vcc_lo
	s_delay_alu instid0(SALU_CYCLE_1) | instskip(NEXT) | instid1(SALU_CYCLE_1)
	s_and_saveexec_b32 s29, s10
	s_xor_b32 s10, exec_lo, s29
; %bb.8274:                             ;   in Loop: Header=BB6_8202 Depth=2
	v_min_i32_e32 v0, 31, v10
	s_delay_alu instid0(VALU_DEP_1) | instskip(NEXT) | instid1(VALU_DEP_1)
	v_lshl_or_b32 v0, v0, 2, v13
                                        ; implicit-def: $vgpr13
	v_and_or_b32 v9, v8, 3, v0
; %bb.8275:                             ;   in Loop: Header=BB6_8202 Depth=2
	s_and_not1_saveexec_b32 s10, s10
; %bb.8276:                             ;   in Loop: Header=BB6_8202 Depth=2
	v_mov_b32_e32 v9, v13
; %bb.8277:                             ;   in Loop: Header=BB6_8202 Depth=2
	s_or_b32 exec_lo, exec_lo, s10
.LBB6_8278:                             ;   in Loop: Header=BB6_8202 Depth=2
	s_delay_alu instid0(SALU_CYCLE_1)
	s_or_b32 exec_lo, exec_lo, s28
                                        ; implicit-def: $vgpr13
.LBB6_8279:                             ;   in Loop: Header=BB6_8202 Depth=2
	s_and_not1_saveexec_b32 s10, s27
; %bb.8280:                             ;   in Loop: Header=BB6_8202 Depth=2
	v_or_b32_e32 v9, 0x7b, v13
; %bb.8281:                             ;   in Loop: Header=BB6_8202 Depth=2
	s_or_b32 exec_lo, exec_lo, s10
                                        ; implicit-def: $vgpr8
.LBB6_8282:                             ;   in Loop: Header=BB6_8202 Depth=2
	s_and_not1_saveexec_b32 s10, s11
	s_cbranch_execz .LBB6_8201
; %bb.8283:                             ;   in Loop: Header=BB6_8202 Depth=2
	s_mov_b32 s11, exec_lo
                                        ; implicit-def: $vgpr9
	v_cmpx_ne_u64_e32 0, v[0:1]
	s_xor_b32 s11, exec_lo, s11
; %bb.8284:                             ;   in Loop: Header=BB6_8202 Depth=2
	v_lshrrev_b32_e32 v0, 24, v8
                                        ; implicit-def: $vgpr8
	s_delay_alu instid0(VALU_DEP_1)
	v_or_b32_e32 v9, 0x7f, v0
; %bb.8285:                             ;   in Loop: Header=BB6_8202 Depth=2
	s_and_not1_saveexec_b32 s11, s11
	s_cbranch_execz .LBB6_8200
; %bb.8286:                             ;   in Loop: Header=BB6_8202 Depth=2
	v_cmp_lt_i32_e32 vcc_lo, -1, v8
	v_cndmask_b32_e64 v9, -4, 0x7c, vcc_lo
	s_branch .LBB6_8200
.LBB6_8287:                             ;   in Loop: Header=BB6_49 Depth=1
	s_or_b32 exec_lo, exec_lo, s25
	scratch_load_b32 v101, off, s33 offset:468 ; 4-byte Folded Reload
	v_cmp_ne_u32_e64 s10, 0, v115
	s_wait_xcnt 0x0
	s_and_saveexec_b32 s11, s2
	s_cbranch_execz .LBB6_8306
.LBB6_8288:                             ;   in Loop: Header=BB6_49 Depth=1
	s_and_saveexec_b32 s25, s3
	s_delay_alu instid0(SALU_CYCLE_1)
	s_xor_b32 s25, exec_lo, s25
	s_cbranch_execz .LBB6_8303
; %bb.8289:                             ;   in Loop: Header=BB6_49 Depth=1
	s_and_saveexec_b32 s26, s4
	s_cbranch_execz .LBB6_8302
; %bb.8290:                             ;   in Loop: Header=BB6_49 Depth=1
	s_mov_b32 s28, exec_lo
	s_mov_b32 s27, exec_lo
	v_mbcnt_lo_u32_b32 v0, s28, 0
	global_wb scope:SCOPE_DEV
	s_wait_storecnt 0x0
	s_wait_loadcnt_dscnt 0x0
	global_inv scope:SCOPE_DEV
	v_cmpx_eq_u32_e32 0, v0
	s_cbranch_execz .LBB6_8292
; %bb.8291:                             ;   in Loop: Header=BB6_49 Depth=1
	s_bcnt1_i32_b32 s28, s28
	s_delay_alu instid0(SALU_CYCLE_1)
	v_dual_mov_b32 v3, v1 :: v_dual_mov_b32 v2, s28
	s_wait_loadcnt 0x0
	ds_add_u64 v0, v[2:3]
	s_trap 2
.LBB6_8292:                             ;   in Loop: Header=BB6_49 Depth=1
	s_or_b32 exec_lo, exec_lo, s27
	s_trap 2
	ds_load_b64 v[2:3], v0
	s_wait_dscnt 0x0
	s_clause 0x1
	scratch_load_b64 v[4:5], off, s33 offset:220 th:TH_LOAD_LU
	scratch_load_b64 v[6:7], off, s33 offset:276
	s_mov_b32 s27, exec_lo
	s_wait_loadcnt 0x0
	v_add_nc_u64_e32 v[4:5], v[4:5], v[6:7]
	scratch_store_b64 off, v[4:5], s33 offset:220 ; 8-byte Folded Spill
	s_wait_xcnt 0x0
	v_cmpx_lt_u64_e64 v[2:3], v[4:5]
	s_cbranch_execz .LBB6_8301
; %bb.8293:                             ;   in Loop: Header=BB6_49 Depth=1
	s_mov_b32 s28, 0
	s_mov_b32 s41, 0
                                        ; implicit-def: $sgpr29
                                        ; implicit-def: $sgpr40
	s_branch .LBB6_8295
.LBB6_8294:                             ;   in Loop: Header=BB6_8295 Depth=2
	s_wait_xcnt 0x0
	s_or_b32 exec_lo, exec_lo, s43
	s_delay_alu instid0(SALU_CYCLE_1) | instskip(NEXT) | instid1(SALU_CYCLE_1)
	s_and_b32 s42, exec_lo, s44
	s_or_b32 s28, s42, s28
	s_and_not1_b32 s29, s29, exec_lo
	s_and_b32 s42, s40, exec_lo
	s_delay_alu instid0(SALU_CYCLE_1)
	s_or_b32 s29, s29, s42
	s_and_not1_b32 exec_lo, exec_lo, s28
	s_cbranch_execz .LBB6_8299
.LBB6_8295:                             ;   Parent Loop BB6_49 Depth=1
                                        ; =>  This Inner Loop Header: Depth=2
	s_add_co_i32 s41, s41, 1
	s_delay_alu instid0(SALU_CYCLE_1) | instskip(SKIP_1) | instid1(SALU_CYCLE_1)
	s_cmp_lg_u32 s41, 0x2710
	s_cselect_b32 s42, -1, 0
	s_and_b32 vcc_lo, exec_lo, s42
	s_cbranch_vccz .LBB6_8297
; %bb.8296:                             ;   in Loop: Header=BB6_8295 Depth=2
	s_mov_b32 s44, -1
	s_or_b32 s40, s40, exec_lo
	s_and_saveexec_b32 s43, s42
	s_cbranch_execz .LBB6_8294
	s_branch .LBB6_8298
.LBB6_8297:                             ;   in Loop: Header=BB6_8295 Depth=2
	s_trap 2
	ds_load_b64 v[2:3], v0
	s_and_not1_b32 s42, s42, exec_lo
	s_mov_b32 s41, 0
	s_wait_storecnt_dscnt 0x0
	flat_load_b32 v0, v[2:3] scope:SCOPE_SYS
	s_wait_loadcnt_dscnt 0x0
	global_inv scope:SCOPE_SYS
	v_cmp_eq_u32_e32 vcc_lo, 0, v0
	s_and_b32 s43, vcc_lo, exec_lo
	s_delay_alu instid0(SALU_CYCLE_1)
	s_or_b32 s42, s42, s43
	s_mov_b32 s44, -1
	s_or_b32 s40, s40, exec_lo
	s_wait_xcnt 0x0
	s_and_saveexec_b32 s43, s42
	s_cbranch_execz .LBB6_8294
.LBB6_8298:                             ;   in Loop: Header=BB6_8295 Depth=2
	s_sleep 1
	s_trap 2
	ds_load_b64 v[2:3], v0
	s_wait_dscnt 0x0
	scratch_load_b64 v[4:5], off, s33 offset:220 ; 8-byte Folded Reload
	s_and_not1_b32 s40, s40, exec_lo
	s_wait_loadcnt 0x0
	v_cmp_ge_u64_e32 vcc_lo, v[2:3], v[4:5]
	s_or_not1_b32 s44, vcc_lo, exec_lo
	s_branch .LBB6_8294
.LBB6_8299:                             ;   in Loop: Header=BB6_49 Depth=1
	s_or_b32 exec_lo, exec_lo, s28
	s_and_saveexec_b32 s28, s29
	s_delay_alu instid0(SALU_CYCLE_1)
	s_xor_b32 s28, exec_lo, s28
	s_cbranch_execz .LBB6_8301
; %bb.8300:                             ;   in Loop: Header=BB6_49 Depth=1
	ds_store_b32 v0, v103
	s_trap 2
.LBB6_8301:                             ;   in Loop: Header=BB6_49 Depth=1
	s_or_b32 exec_lo, exec_lo, s27
	;;#ASMSTART
	s_wakeup
	;;#ASMEND
.LBB6_8302:                             ;   in Loop: Header=BB6_49 Depth=1
	s_or_b32 exec_lo, exec_lo, s26
.LBB6_8303:                             ;   in Loop: Header=BB6_49 Depth=1
	s_and_not1_saveexec_b32 s25, s25
	s_cbranch_execz .LBB6_8305
; %bb.8304:                             ;   in Loop: Header=BB6_49 Depth=1
	global_wb scope:SCOPE_DEV
	s_wait_storecnt 0x0
	s_wait_loadcnt_dscnt 0x0
	global_inv scope:SCOPE_DEV
	s_barrier_signal -1
	s_barrier_wait -1
.LBB6_8305:                             ;   in Loop: Header=BB6_49 Depth=1
	s_or_b32 exec_lo, exec_lo, s25
.LBB6_8306:                             ;   in Loop: Header=BB6_49 Depth=1
	s_delay_alu instid0(SALU_CYCLE_1) | instskip(SKIP_2) | instid1(VALU_DEP_1)
	s_or_b32 exec_lo, exec_lo, s11
	s_wait_loadcnt 0x0
	v_and_b32_e32 v0, 16, v101
	v_cmp_ne_u32_e32 vcc_lo, 0, v0
	s_and_b32 s11, vcc_lo, s10
	s_delay_alu instid0(SALU_CYCLE_1)
	s_and_saveexec_b32 s10, s11
	s_cbranch_execz .LBB6_8308
; %bb.8307:                             ;   in Loop: Header=BB6_49 Depth=1
	global_wb scope:SCOPE_SYS
	s_wait_storecnt_dscnt 0x0
	global_inv scope:SCOPE_SYS
.LBB6_8308:                             ;   in Loop: Header=BB6_49 Depth=1
	s_or_b32 exec_lo, exec_lo, s10
	v_cmp_ne_u32_e32 vcc_lo, 0, v0
	s_xor_b32 s10, s7, -1
	s_delay_alu instid0(SALU_CYCLE_1) | instskip(NEXT) | instid1(SALU_CYCLE_1)
	s_and_b32 s11, vcc_lo, s10
	s_and_saveexec_b32 s10, s11
	s_cbranch_execz .LBB6_8310
; %bb.8309:                             ;   in Loop: Header=BB6_49 Depth=1
	scratch_load_b64 v[2:3], off, s33 offset:484 ; 8-byte Folded Reload
	global_wb scope:SCOPE_SYS
	s_wait_storecnt 0x0
	s_wait_xcnt 0x0
	s_wait_loadcnt_dscnt 0x0
	flat_store_b32 v[2:3], v103 scope:SCOPE_SYS
.LBB6_8310:                             ;   in Loop: Header=BB6_49 Depth=1
	s_wait_xcnt 0x0
	s_or_b32 exec_lo, exec_lo, s10
	v_and_b32_e32 v0, 48, v101
	s_mov_b32 s10, exec_lo
	s_delay_alu instid0(VALU_DEP_1)
	v_cmpx_ne_u32_e32 0, v0
	s_cbranch_execz .LBB6_8312
; %bb.8311:                             ;   in Loop: Header=BB6_49 Depth=1
	scratch_load_b128 v[2:5], off, s33 offset:204 th:TH_LOAD_LU ; 16-byte Folded Reload
	s_wait_loadcnt 0x0
	v_add_nc_u64_e32 v[4:5], 1, v[4:5]
	s_clause 0x1
	scratch_store_b128 off, v[2:5], s33 offset:204
	scratch_load_b64 v[2:3], off, s33 offset:196
	global_wb scope:SCOPE_SYS
	s_wait_storecnt 0x0
	s_wait_xcnt 0x0
	s_wait_loadcnt_dscnt 0x0
	flat_store_b64 v[2:3], v[4:5] scope:SCOPE_SYS
.LBB6_8312:                             ;   in Loop: Header=BB6_49 Depth=1
	s_wait_xcnt 0x0
	s_or_b32 exec_lo, exec_lo, s10
	scratch_load_b64 v[2:3], off, s33 offset:284 ; 8-byte Folded Reload
	s_wait_loadcnt 0x0
	v_mov_b32_e32 v0, v2
.LBB6_8313:                             ;   in Loop: Header=BB6_49 Depth=1
	s_wait_xcnt 0x0
	s_or_b32 exec_lo, exec_lo, s24
	s_and_saveexec_b32 s11, s23
	s_cbranch_execnz .LBB6_8314
; %bb.22406:                            ;   in Loop: Header=BB6_49 Depth=1
	s_add_pc_i64 .LBB6_48-.Lpost_addpc39
.Lpost_addpc39:
.LBB6_8314:                             ;   in Loop: Header=BB6_49 Depth=1
	s_clause 0x1
	scratch_load_b64 v[2:3], off, s33 offset:300 th:TH_LOAD_LU
	scratch_load_b64 v[4:5], off, s33 offset:284 th:TH_LOAD_LU
	s_mov_b32 s23, exec_lo
	s_wait_loadcnt 0x1
	v_dual_sub_nc_u32 v0, v2, v0 :: v_dual_bitop2_b32 v2, 12, v101 bitop3:0x40
	s_wait_loadcnt 0x0
	s_delay_alu instid0(VALU_DEP_1) | instskip(SKIP_1) | instid1(VALU_DEP_2)
	v_min_i32_e32 v6, v4, v0
	s_wait_xcnt 0x0
	v_cmpx_ne_u32_e32 0, v2
	s_cbranch_execz .LBB6_8340
; %bb.8315:                             ;   in Loop: Header=BB6_49 Depth=1
	s_clause 0x1
	scratch_load_b64 v[2:3], off, s33 offset:188
	scratch_load_b128 v[10:13], off, s33 offset:204
	v_dual_mov_b32 v5, v1 :: v_dual_bitop2_b32 v4, 8, v101 bitop3:0x40
	s_mov_b32 s24, exec_lo
	s_wait_loadcnt 0x1
	s_delay_alu instid0(VALU_DEP_1) | instskip(SKIP_3) | instid1(VALU_DEP_1)
	v_add_nc_u64_e32 v[8:9], v[2:3], v[4:5]
	s_wait_loadcnt 0x0
	v_add_nc_u64_e32 v[2:3], 1, v[12:13]
	s_wait_xcnt 0x0
	v_cmpx_lt_u64_e64 v[8:9], v[2:3]
	s_cbranch_execz .LBB6_8327
; %bb.8316:                             ;   in Loop: Header=BB6_49 Depth=1
	v_and_b32_e32 v0, 64, v101
	s_mov_b32 s25, 0
	s_mov_b32 s29, 0
                                        ; implicit-def: $sgpr26
                                        ; implicit-def: $sgpr27
                                        ; implicit-def: $sgpr28
	s_delay_alu instid0(VALU_DEP_1)
	v_cmp_eq_u32_e32 vcc_lo, 0, v0
	s_branch .LBB6_8319
.LBB6_8317:                             ;   in Loop: Header=BB6_8319 Depth=2
	s_wait_xcnt 0x0
	s_or_b32 exec_lo, exec_lo, s44
	s_delay_alu instid0(SALU_CYCLE_1)
	s_and_not1_b32 s10, s28, exec_lo
	s_and_b32 s28, s42, exec_lo
	s_and_not1_b32 s27, s27, exec_lo
	s_and_b32 s41, s41, exec_lo
	s_or_b32 s28, s10, s28
	s_or_b32 s27, s27, s41
.LBB6_8318:                             ;   in Loop: Header=BB6_8319 Depth=2
	s_or_b32 exec_lo, exec_lo, s40
	s_delay_alu instid0(SALU_CYCLE_1) | instskip(NEXT) | instid1(SALU_CYCLE_1)
	s_and_b32 s10, exec_lo, s27
	s_or_b32 s25, s10, s25
	s_and_not1_b32 s10, s26, exec_lo
	s_and_b32 s26, s28, exec_lo
	s_delay_alu instid0(SALU_CYCLE_1)
	s_or_b32 s26, s10, s26
	s_and_not1_b32 exec_lo, exec_lo, s25
	s_cbranch_execz .LBB6_8324
.LBB6_8319:                             ;   Parent Loop BB6_49 Depth=1
                                        ; =>  This Inner Loop Header: Depth=2
	s_sleep 1
	scratch_load_b64 v[8:9], off, s33 offset:196 ; 8-byte Folded Reload
	s_or_b32 s28, s28, exec_lo
	s_or_b32 s27, s27, exec_lo
                                        ; implicit-def: $vgpr0
	s_wait_loadcnt 0x0
	flat_load_b64 v[8:9], v[8:9] scope:SCOPE_SYS
	s_wait_loadcnt_dscnt 0x0
	scratch_store_b64 off, v[8:9], s33 offset:188 ; 8-byte Folded Spill
	s_wait_xcnt 0x0
	s_and_saveexec_b32 s40, vcc_lo
	s_cbranch_execz .LBB6_8318
; %bb.8320:                             ;   in Loop: Header=BB6_8319 Depth=2
	s_cmp_lt_i32 s29, 0x270f
	s_mov_b32 s41, -1
	s_cselect_b32 s43, -1, 0
	s_cmp_gt_i32 s29, 0x270e
	s_cbranch_scc0 .LBB6_8322
; %bb.8321:                             ;   in Loop: Header=BB6_8319 Depth=2
	s_trap 2
	ds_load_b64 v[8:9], v0
	s_and_not1_b32 s29, s43, exec_lo
	s_mov_b32 s42, 0
	s_wait_storecnt_dscnt 0x0
	flat_load_b32 v0, v[8:9] scope:SCOPE_SYS
	s_wait_loadcnt_dscnt 0x0
	global_inv scope:SCOPE_SYS
	v_cmp_eq_u32_e64 s10, 0, v0
	s_and_b32 s10, s10, exec_lo
	s_delay_alu instid0(SALU_CYCLE_1)
	s_or_b32 s43, s29, s10
	s_mov_b32 s29, 0
	s_and_saveexec_b32 s44, s43
	s_cbranch_execz .LBB6_8317
	s_branch .LBB6_8323
.LBB6_8322:                             ;   in Loop: Header=BB6_8319 Depth=2
	s_add_co_i32 s29, s29, 1
	s_mov_b32 s42, -1
                                        ; implicit-def: $vgpr0
	s_and_saveexec_b32 s44, s43
	s_cbranch_execz .LBB6_8317
.LBB6_8323:                             ;   in Loop: Header=BB6_8319 Depth=2
	scratch_load_b64 v[8:9], off, s33 offset:188 ; 8-byte Folded Reload
	s_or_b32 s42, s42, exec_lo
	s_wait_loadcnt 0x0
	v_add_nc_u64_e32 v[8:9], v[8:9], v[4:5]
	s_delay_alu instid0(VALU_DEP_1)
	v_cmp_ge_u64_e64 s10, v[8:9], v[2:3]
	s_or_not1_b32 s41, s10, exec_lo
	s_branch .LBB6_8317
.LBB6_8324:                             ;   in Loop: Header=BB6_49 Depth=1
	s_or_b32 exec_lo, exec_lo, s25
	s_xor_b32 s10, s26, -1
	s_delay_alu instid0(SALU_CYCLE_1) | instskip(NEXT) | instid1(SALU_CYCLE_1)
	s_and_saveexec_b32 s25, s10
	s_xor_b32 s10, exec_lo, s25
	s_cbranch_execz .LBB6_8326
; %bb.8325:                             ;   in Loop: Header=BB6_49 Depth=1
	v_or_b32_e32 v101, 64, v101
	s_wait_loadcnt 0x0
	s_wait_storecnt 0x0
	ds_store_b32 v0, v0
	s_trap 2
.LBB6_8326:                             ;   in Loop: Header=BB6_49 Depth=1
	s_or_b32 exec_lo, exec_lo, s10
.LBB6_8327:                             ;   in Loop: Header=BB6_49 Depth=1
	s_delay_alu instid0(SALU_CYCLE_1)
	s_or_b32 exec_lo, exec_lo, s24
	scratch_load_b128 v[8:11], off, s33 offset:204 ; 16-byte Folded Reload
	v_and_b32_e32 v0, 0x108, v101
	s_mov_b32 s10, exec_lo
	;;#ASMSTART
	s_wakeup
	;;#ASMEND
	s_wait_loadcnt 0x0
	v_and_b32_e32 v8, 7, v10
	s_wait_xcnt 0x0
	v_cmpx_ne_u32_e32 0x108, v0
	s_xor_b32 s10, exec_lo, s10
; %bb.8328:                             ;   in Loop: Header=BB6_49 Depth=1
	v_mov_b32_e32 v9, v1
; %bb.8329:                             ;   in Loop: Header=BB6_49 Depth=1
	s_and_not1_saveexec_b32 s10, s10
	s_cbranch_execz .LBB6_8331
; %bb.8330:                             ;   in Loop: Header=BB6_49 Depth=1
	scratch_load_b128 v[10:13], off, s33 offset:204 ; 16-byte Folded Reload
	v_dual_ashrrev_i32 v7, 31, v6 :: v_dual_mov_b32 v9, v1
	s_wait_loadcnt 0x0
	v_mad_nc_u64_u32 v[10:11], v8, 24, v[10:11]
	flat_store_b64 v[10:11], v[6:7] offset:8
.LBB6_8331:                             ;   in Loop: Header=BB6_49 Depth=1
	s_wait_xcnt 0x0
	s_or_b32 exec_lo, exec_lo, s10
	v_and_b32_e32 v0, 0x100, v101
	s_mov_b32 s10, -1
	s_mov_b32 s24, exec_lo
                                        ; implicit-def: $vgpr10_vgpr11
	s_delay_alu instid0(VALU_DEP_1)
	v_cmpx_ne_u32_e32 0, v0
	s_cbranch_execz .LBB6_8335
; %bb.8332:                             ;   in Loop: Header=BB6_49 Depth=1
	scratch_load_b128 v[10:13], off, s33 offset:204 ; 16-byte Folded Reload
	s_mov_b32 s25, exec_lo
	s_wait_loadcnt 0x0
	v_mad_nc_u64_u32 v[12:13], v8, 24, v[10:11]
                                        ; implicit-def: $vgpr10_vgpr11
	s_delay_alu instid0(VALU_DEP_1)
	v_mad_u32 v13, v9, 24, v13
	flat_load_b32 v0, v[12:13]
	s_wait_loadcnt_dscnt 0x0
	v_cmp_ne_u32_e32 vcc_lo, 1, v0
	s_wait_xcnt 0x0
	v_cmpx_eq_u32_e32 1, v0
	s_cbranch_execz .LBB6_8334
; %bb.8333:                             ;   in Loop: Header=BB6_49 Depth=1
	flat_load_b32 v10, v[12:13] offset:4 scope:SCOPE_SYS
	s_wait_loadcnt_dscnt 0x0
	v_ashrrev_i32_e32 v11, 31, v10
.LBB6_8334:                             ;   in Loop: Header=BB6_49 Depth=1
	s_wait_xcnt 0x0
	s_or_b32 exec_lo, exec_lo, s25
	s_delay_alu instid0(SALU_CYCLE_1)
	s_or_not1_b32 s10, vcc_lo, exec_lo
.LBB6_8335:                             ;   in Loop: Header=BB6_49 Depth=1
	s_or_b32 exec_lo, exec_lo, s24
	s_and_saveexec_b32 s24, s10
	s_cbranch_execz .LBB6_8337
; %bb.8336:                             ;   in Loop: Header=BB6_49 Depth=1
	scratch_load_b64 v[10:11], off, s33 offset:460 ; 8-byte Folded Reload
	s_wait_loadcnt 0x0
	v_mul_u64_e32 v[10:11], v[8:9], v[10:11]
.LBB6_8337:                             ;   in Loop: Header=BB6_49 Depth=1
	s_wait_xcnt 0x0
	s_or_b32 exec_lo, exec_lo, s24
	v_cmp_eq_u32_e32 vcc_lo, 0, v4
	scratch_load_b64 v[4:5], off, s33 offset:448 ; 8-byte Folded Reload
	v_and_b32_e32 v7, 0x2000, v101
	s_mov_b32 s10, exec_lo
	v_cndmask_b32_e32 v0, 0xc8, v113, vcc_lo
	s_delay_alu instid0(VALU_DEP_1)
	v_add_nc_u32_e32 v0, v0, v0
	s_wait_loadcnt 0x0
	v_add_nc_u64_e32 v[4:5], v[4:5], v[10:11]
	ds_store_b64 v0, v[4:5] offset:584
	s_wait_xcnt 0x0
	v_cmpx_ne_u32_e32 0, v7
	s_cbranch_execz .LBB6_8339
; %bb.8338:                             ;   in Loop: Header=BB6_49 Depth=1
	ds_load_b64 v[4:5], v0 offset:872
	s_wait_dscnt 0x0
	v_add_nc_u64_e32 v[4:5], 1, v[4:5]
	ds_store_b64 v0, v[4:5] offset:872
.LBB6_8339:                             ;   in Loop: Header=BB6_49 Depth=1
	s_or_b32 exec_lo, exec_lo, s10
	scratch_load_b128 v[8:11], off, s33 offset:204 ; 16-byte Folded Reload
	s_wait_loadcnt 0x0
	v_mov_b64_e32 v[10:11], v[2:3]
	scratch_store_b128 off, v[8:11], s33 offset:204 ; 16-byte Folded Spill
.LBB6_8340:                             ;   in Loop: Header=BB6_49 Depth=1
	s_wait_xcnt 0x0
	s_or_b32 exec_lo, exec_lo, s23
	s_and_saveexec_b32 s10, s2
	s_cbranch_execz .LBB6_8359
; %bb.8341:                             ;   in Loop: Header=BB6_49 Depth=1
	s_and_saveexec_b32 s23, s3
	s_delay_alu instid0(SALU_CYCLE_1)
	s_xor_b32 s23, exec_lo, s23
	s_cbranch_execz .LBB6_8356
; %bb.8342:                             ;   in Loop: Header=BB6_49 Depth=1
	s_and_saveexec_b32 s24, s4
	s_cbranch_execz .LBB6_8355
; %bb.8343:                             ;   in Loop: Header=BB6_49 Depth=1
	s_mov_b32 s26, exec_lo
	s_mov_b32 s25, exec_lo
	v_mbcnt_lo_u32_b32 v0, s26, 0
	global_wb scope:SCOPE_DEV
	s_wait_storecnt_dscnt 0x0
	global_inv scope:SCOPE_DEV
	v_cmpx_eq_u32_e32 0, v0
	s_cbranch_execz .LBB6_8345
; %bb.8344:                             ;   in Loop: Header=BB6_49 Depth=1
	s_bcnt1_i32_b32 s26, s26
	s_delay_alu instid0(SALU_CYCLE_1)
	v_dual_mov_b32 v3, v1 :: v_dual_mov_b32 v2, s26
	s_wait_loadcnt 0x0
	ds_add_u64 v0, v[2:3]
	s_trap 2
.LBB6_8345:                             ;   in Loop: Header=BB6_49 Depth=1
	s_or_b32 exec_lo, exec_lo, s25
	s_trap 2
	ds_load_b64 v[2:3], v0
	s_wait_dscnt 0x0
	s_clause 0x1
	scratch_load_b64 v[4:5], off, s33 offset:220 th:TH_LOAD_LU
	scratch_load_b64 v[8:9], off, s33 offset:276
	s_mov_b32 s25, exec_lo
	s_wait_loadcnt 0x0
	v_add_nc_u64_e32 v[4:5], v[4:5], v[8:9]
	scratch_store_b64 off, v[4:5], s33 offset:220 ; 8-byte Folded Spill
	s_wait_xcnt 0x0
	v_cmpx_lt_u64_e64 v[2:3], v[4:5]
	s_cbranch_execz .LBB6_8354
; %bb.8346:                             ;   in Loop: Header=BB6_49 Depth=1
	s_mov_b32 s26, 0
	s_mov_b32 s29, 0
                                        ; implicit-def: $sgpr27
                                        ; implicit-def: $sgpr28
	s_branch .LBB6_8348
.LBB6_8347:                             ;   in Loop: Header=BB6_8348 Depth=2
	s_wait_xcnt 0x0
	s_or_b32 exec_lo, exec_lo, s41
	s_delay_alu instid0(SALU_CYCLE_1) | instskip(NEXT) | instid1(SALU_CYCLE_1)
	s_and_b32 s40, exec_lo, s42
	s_or_b32 s26, s40, s26
	s_and_not1_b32 s27, s27, exec_lo
	s_and_b32 s40, s28, exec_lo
	s_delay_alu instid0(SALU_CYCLE_1)
	s_or_b32 s27, s27, s40
	s_and_not1_b32 exec_lo, exec_lo, s26
	s_cbranch_execz .LBB6_8352
.LBB6_8348:                             ;   Parent Loop BB6_49 Depth=1
                                        ; =>  This Inner Loop Header: Depth=2
	s_add_co_i32 s29, s29, 1
	s_delay_alu instid0(SALU_CYCLE_1) | instskip(SKIP_1) | instid1(SALU_CYCLE_1)
	s_cmp_lg_u32 s29, 0x2710
	s_cselect_b32 s40, -1, 0
	s_and_b32 vcc_lo, exec_lo, s40
	s_cbranch_vccz .LBB6_8350
; %bb.8349:                             ;   in Loop: Header=BB6_8348 Depth=2
	s_mov_b32 s42, -1
	s_or_b32 s28, s28, exec_lo
	s_and_saveexec_b32 s41, s40
	s_cbranch_execz .LBB6_8347
	s_branch .LBB6_8351
.LBB6_8350:                             ;   in Loop: Header=BB6_8348 Depth=2
	s_trap 2
	ds_load_b64 v[2:3], v0
	s_and_not1_b32 s40, s40, exec_lo
	s_mov_b32 s29, 0
	s_wait_storecnt_dscnt 0x0
	flat_load_b32 v0, v[2:3] scope:SCOPE_SYS
	s_wait_loadcnt_dscnt 0x0
	global_inv scope:SCOPE_SYS
	v_cmp_eq_u32_e32 vcc_lo, 0, v0
	s_and_b32 s41, vcc_lo, exec_lo
	s_delay_alu instid0(SALU_CYCLE_1)
	s_or_b32 s40, s40, s41
	s_mov_b32 s42, -1
	s_or_b32 s28, s28, exec_lo
	s_wait_xcnt 0x0
	s_and_saveexec_b32 s41, s40
	s_cbranch_execz .LBB6_8347
.LBB6_8351:                             ;   in Loop: Header=BB6_8348 Depth=2
	s_sleep 1
	s_trap 2
	ds_load_b64 v[2:3], v0
	s_wait_dscnt 0x0
	scratch_load_b64 v[4:5], off, s33 offset:220 ; 8-byte Folded Reload
	s_and_not1_b32 s28, s28, exec_lo
	s_wait_loadcnt 0x0
	v_cmp_ge_u64_e32 vcc_lo, v[2:3], v[4:5]
	s_or_not1_b32 s42, vcc_lo, exec_lo
	s_branch .LBB6_8347
.LBB6_8352:                             ;   in Loop: Header=BB6_49 Depth=1
	s_or_b32 exec_lo, exec_lo, s26
	s_and_saveexec_b32 s26, s27
	s_delay_alu instid0(SALU_CYCLE_1)
	s_xor_b32 s26, exec_lo, s26
	s_cbranch_execz .LBB6_8354
; %bb.8353:                             ;   in Loop: Header=BB6_49 Depth=1
	ds_store_b32 v0, v103
	s_trap 2
.LBB6_8354:                             ;   in Loop: Header=BB6_49 Depth=1
	s_or_b32 exec_lo, exec_lo, s25
	;;#ASMSTART
	s_wakeup
	;;#ASMEND
.LBB6_8355:                             ;   in Loop: Header=BB6_49 Depth=1
	s_or_b32 exec_lo, exec_lo, s24
.LBB6_8356:                             ;   in Loop: Header=BB6_49 Depth=1
	s_and_not1_saveexec_b32 s23, s23
	s_cbranch_execz .LBB6_8358
; %bb.8357:                             ;   in Loop: Header=BB6_49 Depth=1
	global_wb scope:SCOPE_DEV
	s_wait_storecnt 0x0
	s_wait_loadcnt_dscnt 0x0
	global_inv scope:SCOPE_DEV
	s_barrier_signal -1
	s_barrier_wait -1
.LBB6_8358:                             ;   in Loop: Header=BB6_49 Depth=1
	s_or_b32 exec_lo, exec_lo, s23
.LBB6_8359:                             ;   in Loop: Header=BB6_49 Depth=1
	s_delay_alu instid0(SALU_CYCLE_1)
	s_or_b32 exec_lo, exec_lo, s10
	s_trap 2
	ds_load_b32 v0, v0
	v_cmp_lt_i32_e32 vcc_lo, 0, v6
	s_wait_dscnt 0x0
	v_readfirstlane_b32 s10, v0
	v_and_b32_e32 v0, 16, v101
	s_cmp_eq_u32 s10, 0
	s_delay_alu instid0(VALU_DEP_1) | instskip(SKIP_1) | instid1(SALU_CYCLE_1)
	v_cmp_ne_u32_e64 s10, 0, v0
	s_cselect_b32 s23, -1, 0
	s_and_b32 s23, vcc_lo, s23
	s_delay_alu instid0(SALU_CYCLE_1) | instskip(NEXT) | instid1(SALU_CYCLE_1)
	s_and_b32 s23, s10, s23
	s_and_saveexec_b32 s10, s23
	s_cbranch_execz .LBB6_8361
; %bb.8360:                             ;   in Loop: Header=BB6_49 Depth=1
	global_wb scope:SCOPE_SYS
	s_wait_loadcnt 0x0
	s_wait_storecnt 0x0
	global_inv scope:SCOPE_SYS
.LBB6_8361:                             ;   in Loop: Header=BB6_49 Depth=1
	s_or_b32 exec_lo, exec_lo, s10
	v_cmp_ne_u32_e32 vcc_lo, 0, v0
	s_xor_b32 s10, s7, -1
	s_delay_alu instid0(SALU_CYCLE_1) | instskip(NEXT) | instid1(SALU_CYCLE_1)
	s_and_b32 s23, vcc_lo, s10
	s_and_saveexec_b32 s10, s23
	s_cbranch_execz .LBB6_8363
; %bb.8362:                             ;   in Loop: Header=BB6_49 Depth=1
	scratch_load_b64 v[2:3], off, s33 offset:484 ; 8-byte Folded Reload
	global_wb scope:SCOPE_SYS
	s_wait_loadcnt 0x0
	s_wait_storecnt 0x0
	s_wait_xcnt 0x0
	flat_store_b32 v[2:3], v103 scope:SCOPE_SYS
.LBB6_8363:                             ;   in Loop: Header=BB6_49 Depth=1
	s_wait_xcnt 0x0
	s_or_b32 exec_lo, exec_lo, s10
	v_and_b32_e32 v0, 48, v101
	s_mov_b32 s10, exec_lo
	s_delay_alu instid0(VALU_DEP_1)
	v_cmpx_ne_u32_e32 0, v0
	s_cbranch_execnz .LBB6_8364
; %bb.22408:                            ;   in Loop: Header=BB6_49 Depth=1
	s_add_pc_i64 .LBB6_47-.Lpost_addpc40
.Lpost_addpc40:
.LBB6_8364:                             ;   in Loop: Header=BB6_49 Depth=1
	scratch_load_b128 v[2:5], off, s33 offset:204 th:TH_LOAD_LU ; 16-byte Folded Reload
	s_wait_loadcnt 0x0
	v_add_nc_u64_e32 v[4:5], 1, v[4:5]
	s_clause 0x1
	scratch_store_b128 off, v[2:5], s33 offset:204
	scratch_load_b64 v[2:3], off, s33 offset:196
	global_wb scope:SCOPE_SYS
	s_wait_storecnt 0x0
	s_wait_xcnt 0x0
	s_wait_loadcnt_dscnt 0x0
	flat_store_b64 v[2:3], v[4:5] scope:SCOPE_SYS
; %bb.22370:                            ;   in Loop: Header=BB6_49 Depth=1
	s_add_pc_i64 .LBB6_47-.Lpost_addpc21
.Lpost_addpc21:
.LBB6_8365:
	s_or_b32 exec_lo, exec_lo, s20
.LBB6_8366:
	s_delay_alu instid0(SALU_CYCLE_1)
	s_or_b32 exec_lo, exec_lo, s18
                                        ; implicit-def: $vgpr0_vgpr1
                                        ; kill: killed $vgpr0_vgpr1
                                        ; implicit-def: $vgpr7
                                        ; implicit-def: $vgpr0_vgpr1
	s_clause 0x1
	scratch_store_b128 off, v[0:3], s33 offset:408
	; meta instruction
	scratch_store_b64 off, v[0:1], s33 offset:460
                                        ; implicit-def: $vgpr0_vgpr1
                                        ; kill: killed $vgpr0_vgpr1
                                        ; implicit-def: $vgpr0_vgpr1
                                        ; kill: killed $vgpr0_vgpr1
	;; [unrolled: 2-line block ×3, first 2 shown]
                                        ; implicit-def: $vgpr0
                                        ; kill: killed $vgpr0
                                        ; implicit-def: $vgpr0_vgpr1
                                        ; kill: killed $vgpr0_vgpr1
.LBB6_8367:
	s_wait_xcnt 0x0
	s_and_not1_saveexec_b32 s17, s17
	s_cbranch_execnz .LBB6_8368
; %bb.22410:
	s_add_pc_i64 .LBB6_16679-.Lpost_addpc41
.Lpost_addpc41:
.LBB6_8368:
	v_mov_b64_e32 v[0:1], 0
	s_mov_b32 s18, exec_lo
	s_clause 0x1
	scratch_store_b64 off, v[0:1], s33 offset:220
	scratch_load_b128 v[0:3], off, s33 offset:408
	s_wait_loadcnt 0x0
	v_cmpx_ne_u64_e32 0, v[0:1]
	s_cbranch_execnz .LBB6_8369
; %bb.22412:
	s_add_pc_i64 .LBB6_16678-.Lpost_addpc42
.Lpost_addpc42:
.LBB6_8369:
	s_clause 0x2
	scratch_load_b32 v2, off, s33 offset:480
	scratch_load_b32 v3, off, s33 offset:456
	scratch_load_b64 v[0:1], off, s33 offset:460
	s_ashr_i32 s2, s15, 31
	v_mov_b64_e32 v[12:13], 0
	s_lshr_b32 s2, s2, 24
	s_mov_b64 s[12:13], 0xffffffffffffff
	s_add_co_i32 s2, s15, s2
	s_mov_b32 s20, 0
	s_ashr_i32 s19, s2, 8
	s_mov_b32 s22, 0x7f800000
	s_wait_loadcnt 0x2
	v_cmp_eq_u32_e32 vcc_lo, 32, v2
	s_wait_loadcnt 0x0
	v_dual_lshrrev_b32 v4, 5, v3 :: v_dual_ashrrev_i32 v1, 31, v0
	v_cmp_ge_u32_e64 s1, v3, v2
	v_cmp_ne_u32_e64 s2, 32, v2
	s_xor_b32 s21, vcc_lo, -1
	s_clause 0x2
	scratch_store_b64 off, v[0:1], s33 offset:460
	scratch_load_b32 v0, off, s33 offset:500
	scratch_load_b32 v1, off, s33 offset:504
	s_wait_loadcnt 0x1
	v_and_b32_e32 v0, 31, v0
	s_wait_loadcnt 0x0
	v_cmp_ne_u32_e64 s3, v2, v1
	v_dual_mov_b32 v1, 0 :: v_dual_bitop2_b32 v3, 31, v3 bitop3:0x40
	s_delay_alu instid0(VALU_DEP_3) | instskip(NEXT) | instid1(VALU_DEP_2)
	v_cmp_eq_u32_e64 s4, 0, v0
	v_dual_mov_b32 v5, v1 :: v_dual_lshlrev_b32 v0, 11, v4
	s_delay_alu instid0(VALU_DEP_3) | instskip(SKIP_2) | instid1(VALU_DEP_4)
	v_cmp_le_u32_e64 s5, v3, v7
	v_mov_b32_e32 v7, v1
	v_cmp_eq_u32_e64 s6, 0, v3
	v_lshl_or_b32 v6, v3, 4, v0
	scratch_store_b32 off, v4, s33 offset:332 ; 4-byte Folded Spill
	s_wait_xcnt 0x0
	v_lshrrev_b32_e32 v4, 5, v2
	v_and_b32_e32 v2, 0x1fe0, v2
	scratch_store_b64 off, v[6:7], s33 offset:360 ; 8-byte Folded Spill
	s_wait_xcnt 0x0
	v_lshlrev_b32_e32 v6, 11, v4
	scratch_store_b32 off, v3, s33 offset:356 ; 4-byte Folded Spill
	s_wait_xcnt 0x0
	v_mov_b32_e32 v3, v1
	scratch_store_b64 off, v[6:7], s33 offset:292 ; 8-byte Folded Spill
	s_wait_xcnt 0x0
	v_lshlrev_b32_e32 v6, 9, v4
	s_clause 0x2
	scratch_store_b64 off, v[6:7], s33 offset:324
	scratch_store_b64 off, v[4:5], s33 offset:276
	;; [unrolled: 1-line block ×3, first 2 shown]
	s_wait_xcnt 0x0
	v_mov_b64_e32 v[2:3], 0
	v_lshlrev_b32_e32 v4, 10, v4
	s_clause 0x1
	scratch_store_b64 off, v[4:5], s33 offset:284
	scratch_store_b64 off, v[2:3], s33 offset:220
	s_trap 2
	s_clause 0x1
	scratch_load_b128 v[2:5], off, s33 offset:408
	scratch_load_b64 v[6:7], off, s33 offset:432
	s_branch .LBB6_8372
.LBB6_8370:                             ;   in Loop: Header=BB6_8372 Depth=1
	s_wait_xcnt 0x0
	s_or_b32 exec_lo, exec_lo, s7
.LBB6_8371:                             ;   in Loop: Header=BB6_8372 Depth=1
	s_delay_alu instid0(SALU_CYCLE_1)
	s_or_b32 exec_lo, exec_lo, s10
	s_wait_loadcnt 0x2
	s_clause 0x1
	scratch_load_b64 v[6:7], off, s33 offset:432
	scratch_load_b128 v[2:5], off, s33 offset:408
	s_wait_loadcnt 0x1
	v_add_nc_u64_e32 v[12:13], v[12:13], v[6:7]
	s_wait_loadcnt 0x0
	s_delay_alu instid0(VALU_DEP_1)
	v_cmp_ge_u64_e32 vcc_lo, v[12:13], v[2:3]
	s_or_b32 s20, vcc_lo, s20
	s_wait_xcnt 0x0
	s_and_not1_b32 exec_lo, exec_lo, s20
	s_cbranch_execnz .LBB6_8372
; %bb.22414:
	s_add_pc_i64 .LBB6_16677-.Lpost_addpc43
.Lpost_addpc43:
.LBB6_8372:                             ; =>This Loop Header: Depth=1
                                        ;     Child Loop BB6_8380 Depth 2
                                        ;     Child Loop BB6_8405 Depth 2
	;; [unrolled: 1-line block ×10, first 2 shown]
	s_wait_loadcnt 0x1
	v_sub_nc_u64_e32 v[2:3], v[2:3], v[12:13]
	s_wait_loadcnt_dscnt 0x0
	s_delay_alu instid0(VALU_DEP_1) | instskip(NEXT) | instid1(VALU_DEP_1)
	v_min_u64 v[14:15], v[6:7], v[2:3]
	v_add_nc_u32_e32 v0, 15, v14
	s_delay_alu instid0(VALU_DEP_2) | instskip(NEXT) | instid1(VALU_DEP_2)
	v_cmp_eq_u64_e32 vcc_lo, 0, v[14:15]
	v_and_b32_e32 v0, 0x7ffffff0, v0
	s_or_b32 s23, s1, vcc_lo
	s_delay_alu instid0(SALU_CYCLE_1) | instskip(NEXT) | instid1(VALU_DEP_1)
	s_xor_b32 s7, s23, -1
	v_dual_mov_b32 v0, v1 :: v_dual_max_i32 v99, s19, v0
	s_wait_xcnt 0x0
	s_and_saveexec_b32 s24, s7
	s_cbranch_execnz .LBB6_8373
; %bb.22416:                            ;   in Loop: Header=BB6_8372 Depth=1
	s_add_pc_i64 .LBB6_16631-.Lpost_addpc44
.Lpost_addpc44:
.LBB6_8373:                             ;   in Loop: Header=BB6_8372 Depth=1
	s_and_saveexec_b32 s7, s0
	s_cbranch_execz .LBB6_8375
; %bb.8374:                             ;   in Loop: Header=BB6_8372 Depth=1
	s_trap 2
	ds_load_b64 v[6:7], v0
	ds_load_2addr_b64 v[2:5], v0 offset1:1
	scratch_load_b64 v[8:9], off, s33 offset:472 ; 8-byte Folded Reload
	s_wait_dscnt 0x1
	v_cmp_ne_u64_e32 vcc_lo, 0, v[6:7]
	s_wait_loadcnt 0x0
	v_add_nc_u64_e32 v[8:9], v[12:13], v[8:9]
	s_delay_alu instid0(VALU_DEP_1) | instskip(SKIP_3) | instid1(VALU_DEP_3)
	v_add_nc_u64_e32 v[10:11], v[6:7], v[8:9]
	s_wait_dscnt 0x0
	v_add_nc_u64_e32 v[2:3], v[2:3], v[8:9]
	v_add_nc_u64_e32 v[4:5], v[4:5], v[8:9]
	v_dual_cndmask_b32 v7, 0, v11 :: v_dual_cndmask_b32 v6, 0, v10
	ds_store_b64 v0, v[2:3]
	ds_store_b64 v0, v[4:5]
	;; [unrolled: 1-line block ×3, first 2 shown]
.LBB6_8375:                             ;   in Loop: Header=BB6_8372 Depth=1
	s_wait_xcnt 0x0
	s_or_b32 exec_lo, exec_lo, s7
	v_and_b32_e32 v0, 4, v101
	s_mov_b32 s10, exec_lo
	s_delay_alu instid0(VALU_DEP_1)
	v_cmpx_ne_u32_e32 0, v0
	s_cbranch_execz .LBB6_8397
; %bb.8376:                             ;   in Loop: Header=BB6_8372 Depth=1
	scratch_load_b128 v[2:5], off, s33 offset:204 ; 16-byte Folded Reload
	s_mov_b32 s11, exec_lo
	s_wait_loadcnt 0x0
	v_add_nc_u64_e32 v[2:3], 1, v[4:5]
	scratch_load_b64 v[4:5], off, s33 offset:188 ; 8-byte Folded Reload
	s_wait_loadcnt 0x0
	s_wait_xcnt 0x0
	v_cmpx_lt_u64_e64 v[4:5], v[2:3]
	s_cbranch_execz .LBB6_8388
; %bb.8377:                             ;   in Loop: Header=BB6_8372 Depth=1
	v_and_b32_e32 v0, 64, v101
	s_mov_b32 s25, 0
	s_mov_b32 s29, 0
                                        ; implicit-def: $sgpr26
                                        ; implicit-def: $sgpr27
                                        ; implicit-def: $sgpr28
	s_delay_alu instid0(VALU_DEP_1)
	v_cmp_eq_u32_e32 vcc_lo, 0, v0
	s_branch .LBB6_8380
.LBB6_8378:                             ;   in Loop: Header=BB6_8380 Depth=2
	s_wait_xcnt 0x0
	s_or_b32 exec_lo, exec_lo, s44
	s_delay_alu instid0(SALU_CYCLE_1)
	s_and_not1_b32 s7, s28, exec_lo
	s_and_b32 s28, s42, exec_lo
	s_and_not1_b32 s27, s27, exec_lo
	s_and_b32 s41, s41, exec_lo
	s_or_b32 s28, s7, s28
	s_or_b32 s27, s27, s41
.LBB6_8379:                             ;   in Loop: Header=BB6_8380 Depth=2
	s_or_b32 exec_lo, exec_lo, s40
	s_delay_alu instid0(SALU_CYCLE_1) | instskip(NEXT) | instid1(SALU_CYCLE_1)
	s_and_b32 s7, exec_lo, s27
	s_or_b32 s25, s7, s25
	s_and_not1_b32 s7, s26, exec_lo
	s_and_b32 s26, s28, exec_lo
	s_delay_alu instid0(SALU_CYCLE_1)
	s_or_b32 s26, s7, s26
	s_and_not1_b32 exec_lo, exec_lo, s25
	s_cbranch_execz .LBB6_8385
.LBB6_8380:                             ;   Parent Loop BB6_8372 Depth=1
                                        ; =>  This Inner Loop Header: Depth=2
	s_sleep 1
	scratch_load_b64 v[4:5], off, s33 offset:196 ; 8-byte Folded Reload
	s_or_b32 s28, s28, exec_lo
	s_or_b32 s27, s27, exec_lo
                                        ; implicit-def: $vgpr0
	s_wait_loadcnt 0x0
	flat_load_b64 v[4:5], v[4:5] scope:SCOPE_SYS
	s_wait_loadcnt_dscnt 0x0
	scratch_store_b64 off, v[4:5], s33 offset:188 ; 8-byte Folded Spill
	s_wait_xcnt 0x0
	s_and_saveexec_b32 s40, vcc_lo
	s_cbranch_execz .LBB6_8379
; %bb.8381:                             ;   in Loop: Header=BB6_8380 Depth=2
	s_cmp_lt_i32 s29, 0x270f
	s_mov_b32 s41, -1
	s_cselect_b32 s43, -1, 0
	s_cmp_gt_i32 s29, 0x270e
	s_cbranch_scc0 .LBB6_8383
; %bb.8382:                             ;   in Loop: Header=BB6_8380 Depth=2
	s_trap 2
	ds_load_b64 v[4:5], v0
	s_and_not1_b32 s29, s43, exec_lo
	s_mov_b32 s42, 0
	s_wait_storecnt_dscnt 0x0
	flat_load_b32 v0, v[4:5] scope:SCOPE_SYS
	s_wait_loadcnt_dscnt 0x0
	global_inv scope:SCOPE_SYS
	v_cmp_eq_u32_e64 s7, 0, v0
	s_and_b32 s7, s7, exec_lo
	s_delay_alu instid0(SALU_CYCLE_1)
	s_or_b32 s43, s29, s7
	s_mov_b32 s29, 0
	s_wait_xcnt 0x0
	s_and_saveexec_b32 s44, s43
	s_cbranch_execz .LBB6_8378
	s_branch .LBB6_8384
.LBB6_8383:                             ;   in Loop: Header=BB6_8380 Depth=2
	s_add_co_i32 s29, s29, 1
	s_mov_b32 s42, -1
                                        ; implicit-def: $vgpr0
	s_and_saveexec_b32 s44, s43
	s_cbranch_execz .LBB6_8378
.LBB6_8384:                             ;   in Loop: Header=BB6_8380 Depth=2
	scratch_load_b64 v[4:5], off, s33 offset:188 ; 8-byte Folded Reload
	s_or_b32 s42, s42, exec_lo
	s_wait_loadcnt 0x0
	v_cmp_ge_u64_e64 s7, v[4:5], v[2:3]
	s_or_not1_b32 s41, s7, exec_lo
	s_branch .LBB6_8378
.LBB6_8385:                             ;   in Loop: Header=BB6_8372 Depth=1
	s_or_b32 exec_lo, exec_lo, s25
	s_xor_b32 s7, s26, -1
	s_delay_alu instid0(SALU_CYCLE_1) | instskip(NEXT) | instid1(SALU_CYCLE_1)
	s_and_saveexec_b32 s25, s7
	s_xor_b32 s7, exec_lo, s25
	s_cbranch_execz .LBB6_8387
; %bb.8386:                             ;   in Loop: Header=BB6_8372 Depth=1
	v_or_b32_e32 v101, 64, v101
	s_wait_loadcnt 0x0
	s_wait_storecnt 0x0
	ds_store_b32 v0, v0
	s_trap 2
.LBB6_8387:                             ;   in Loop: Header=BB6_8372 Depth=1
	s_or_b32 exec_lo, exec_lo, s7
.LBB6_8388:                             ;   in Loop: Header=BB6_8372 Depth=1
	s_delay_alu instid0(SALU_CYCLE_1)
	s_or_b32 exec_lo, exec_lo, s11
	scratch_load_b128 v[4:7], off, s33 offset:204 ; 16-byte Folded Reload
	v_and_b32_e32 v0, 0x100, v101
	s_mov_b32 s7, -1
	s_mov_b32 s11, exec_lo
	;;#ASMSTART
	s_wakeup
	;;#ASMEND
	s_wait_loadcnt 0x0
	v_dual_mov_b32 v5, v1 :: v_dual_bitop2_b32 v4, 7, v6 bitop3:0x40
                                        ; implicit-def: $vgpr6_vgpr7
	s_wait_xcnt 0x0
	v_cmpx_ne_u32_e32 0, v0
	s_cbranch_execz .LBB6_8392
; %bb.8389:                             ;   in Loop: Header=BB6_8372 Depth=1
	scratch_load_b128 v[6:9], off, s33 offset:204 ; 16-byte Folded Reload
	s_mov_b32 s25, exec_lo
	s_wait_loadcnt 0x0
	v_mad_nc_u64_u32 v[8:9], v4, 24, v[6:7]
                                        ; implicit-def: $vgpr6_vgpr7
	flat_load_b32 v0, v[8:9]
	s_wait_loadcnt_dscnt 0x0
	v_cmp_ne_u32_e32 vcc_lo, 1, v0
	s_wait_xcnt 0x0
	v_cmpx_eq_u32_e32 1, v0
	s_cbranch_execz .LBB6_8391
; %bb.8390:                             ;   in Loop: Header=BB6_8372 Depth=1
	flat_load_b32 v6, v[8:9] offset:4 scope:SCOPE_SYS
	s_wait_loadcnt_dscnt 0x0
	v_ashrrev_i32_e32 v7, 31, v6
.LBB6_8391:                             ;   in Loop: Header=BB6_8372 Depth=1
	s_wait_xcnt 0x0
	s_or_b32 exec_lo, exec_lo, s25
	s_delay_alu instid0(SALU_CYCLE_1)
	s_or_not1_b32 s7, vcc_lo, exec_lo
.LBB6_8392:                             ;   in Loop: Header=BB6_8372 Depth=1
	s_or_b32 exec_lo, exec_lo, s11
	s_and_saveexec_b32 s11, s7
	s_cbranch_execz .LBB6_8394
; %bb.8393:                             ;   in Loop: Header=BB6_8372 Depth=1
	scratch_load_b64 v[6:7], off, s33 offset:460 ; 8-byte Folded Reload
	s_wait_loadcnt 0x0
	v_mul_u64_e32 v[6:7], v[4:5], v[6:7]
.LBB6_8394:                             ;   in Loop: Header=BB6_8372 Depth=1
	s_wait_xcnt 0x0
	s_or_b32 exec_lo, exec_lo, s11
	scratch_load_b64 v[4:5], off, s33 offset:448 ; 8-byte Folded Reload
	v_and_b32_e32 v0, 0x2000, v101
	s_mov_b32 s7, exec_lo
	s_wait_loadcnt 0x0
	v_add_nc_u64_e32 v[4:5], v[4:5], v[6:7]
	ds_store_b64 v0, v[4:5] offset:728
	s_wait_xcnt 0x0
	v_cmpx_ne_u32_e32 0, v0
	s_cbranch_execz .LBB6_8396
; %bb.8395:                             ;   in Loop: Header=BB6_8372 Depth=1
	ds_load_b64 v[4:5], v0 offset:872
	s_wait_dscnt 0x0
	v_add_nc_u64_e32 v[4:5], 1, v[4:5]
	ds_store_b64 v0, v[4:5] offset:872
.LBB6_8396:                             ;   in Loop: Header=BB6_8372 Depth=1
	s_or_b32 exec_lo, exec_lo, s7
	scratch_load_b128 v[4:7], off, s33 offset:204 ; 16-byte Folded Reload
	s_wait_loadcnt 0x0
	v_mov_b64_e32 v[6:7], v[2:3]
	scratch_store_b128 off, v[4:7], s33 offset:204 ; 16-byte Folded Spill
.LBB6_8397:                             ;   in Loop: Header=BB6_8372 Depth=1
	s_wait_xcnt 0x0
	s_or_b32 exec_lo, exec_lo, s10
	s_and_saveexec_b32 s7, s2
	s_cbranch_execz .LBB6_8416
; %bb.8398:                             ;   in Loop: Header=BB6_8372 Depth=1
	s_and_saveexec_b32 s10, s3
	s_delay_alu instid0(SALU_CYCLE_1)
	s_xor_b32 s10, exec_lo, s10
	s_cbranch_execz .LBB6_8413
; %bb.8399:                             ;   in Loop: Header=BB6_8372 Depth=1
	s_and_saveexec_b32 s11, s4
	s_cbranch_execz .LBB6_8412
; %bb.8400:                             ;   in Loop: Header=BB6_8372 Depth=1
	s_mov_b32 s26, exec_lo
	s_mov_b32 s25, exec_lo
	v_mbcnt_lo_u32_b32 v0, s26, 0
	global_wb scope:SCOPE_DEV
	s_wait_storecnt_dscnt 0x0
	global_inv scope:SCOPE_DEV
	v_cmpx_eq_u32_e32 0, v0
	s_cbranch_execz .LBB6_8402
; %bb.8401:                             ;   in Loop: Header=BB6_8372 Depth=1
	s_bcnt1_i32_b32 s26, s26
	s_delay_alu instid0(SALU_CYCLE_1)
	v_dual_mov_b32 v3, v1 :: v_dual_mov_b32 v2, s26
	s_wait_loadcnt 0x0
	ds_add_u64 v0, v[2:3]
	s_trap 2
.LBB6_8402:                             ;   in Loop: Header=BB6_8372 Depth=1
	s_or_b32 exec_lo, exec_lo, s25
	s_trap 2
	ds_load_b64 v[2:3], v0
	s_wait_dscnt 0x0
	s_clause 0x1
	scratch_load_b64 v[4:5], off, s33 offset:220 th:TH_LOAD_LU
	scratch_load_b64 v[6:7], off, s33 offset:276
	s_mov_b32 s25, exec_lo
	s_wait_loadcnt 0x0
	v_add_nc_u64_e32 v[4:5], v[4:5], v[6:7]
	scratch_store_b64 off, v[4:5], s33 offset:220 ; 8-byte Folded Spill
	s_wait_xcnt 0x0
	v_cmpx_lt_u64_e64 v[2:3], v[4:5]
	s_cbranch_execz .LBB6_8411
; %bb.8403:                             ;   in Loop: Header=BB6_8372 Depth=1
	s_mov_b32 s26, 0
	s_mov_b32 s29, 0
                                        ; implicit-def: $sgpr27
                                        ; implicit-def: $sgpr28
	s_branch .LBB6_8405
.LBB6_8404:                             ;   in Loop: Header=BB6_8405 Depth=2
	s_wait_xcnt 0x0
	s_or_b32 exec_lo, exec_lo, s41
	s_delay_alu instid0(SALU_CYCLE_1) | instskip(NEXT) | instid1(SALU_CYCLE_1)
	s_and_b32 s40, exec_lo, s42
	s_or_b32 s26, s40, s26
	s_and_not1_b32 s27, s27, exec_lo
	s_and_b32 s40, s28, exec_lo
	s_delay_alu instid0(SALU_CYCLE_1)
	s_or_b32 s27, s27, s40
	s_and_not1_b32 exec_lo, exec_lo, s26
	s_cbranch_execz .LBB6_8409
.LBB6_8405:                             ;   Parent Loop BB6_8372 Depth=1
                                        ; =>  This Inner Loop Header: Depth=2
	s_add_co_i32 s29, s29, 1
	s_delay_alu instid0(SALU_CYCLE_1) | instskip(SKIP_1) | instid1(SALU_CYCLE_1)
	s_cmp_lg_u32 s29, 0x2710
	s_cselect_b32 s40, -1, 0
	s_and_b32 vcc_lo, exec_lo, s40
	s_cbranch_vccz .LBB6_8407
; %bb.8406:                             ;   in Loop: Header=BB6_8405 Depth=2
	s_mov_b32 s42, -1
	s_or_b32 s28, s28, exec_lo
	s_and_saveexec_b32 s41, s40
	s_cbranch_execz .LBB6_8404
	s_branch .LBB6_8408
.LBB6_8407:                             ;   in Loop: Header=BB6_8405 Depth=2
	s_trap 2
	ds_load_b64 v[2:3], v0
	s_and_not1_b32 s40, s40, exec_lo
	s_mov_b32 s29, 0
	s_wait_storecnt_dscnt 0x0
	flat_load_b32 v0, v[2:3] scope:SCOPE_SYS
	s_wait_loadcnt_dscnt 0x0
	global_inv scope:SCOPE_SYS
	v_cmp_eq_u32_e32 vcc_lo, 0, v0
	s_and_b32 s41, vcc_lo, exec_lo
	s_delay_alu instid0(SALU_CYCLE_1)
	s_or_b32 s40, s40, s41
	s_mov_b32 s42, -1
	s_or_b32 s28, s28, exec_lo
	s_wait_xcnt 0x0
	s_and_saveexec_b32 s41, s40
	s_cbranch_execz .LBB6_8404
.LBB6_8408:                             ;   in Loop: Header=BB6_8405 Depth=2
	s_sleep 1
	s_trap 2
	ds_load_b64 v[2:3], v0
	s_wait_dscnt 0x0
	scratch_load_b64 v[4:5], off, s33 offset:220 ; 8-byte Folded Reload
	s_and_not1_b32 s28, s28, exec_lo
	s_wait_loadcnt 0x0
	v_cmp_ge_u64_e32 vcc_lo, v[2:3], v[4:5]
	s_or_not1_b32 s42, vcc_lo, exec_lo
	s_branch .LBB6_8404
.LBB6_8409:                             ;   in Loop: Header=BB6_8372 Depth=1
	s_or_b32 exec_lo, exec_lo, s26
	s_and_saveexec_b32 s26, s27
	s_delay_alu instid0(SALU_CYCLE_1)
	s_xor_b32 s26, exec_lo, s26
	s_cbranch_execz .LBB6_8411
; %bb.8410:                             ;   in Loop: Header=BB6_8372 Depth=1
	v_mov_b32_e32 v0, 1
	ds_store_b32 v0, v0
	s_trap 2
.LBB6_8411:                             ;   in Loop: Header=BB6_8372 Depth=1
	s_or_b32 exec_lo, exec_lo, s25
	;;#ASMSTART
	s_wakeup
	;;#ASMEND
.LBB6_8412:                             ;   in Loop: Header=BB6_8372 Depth=1
	s_or_b32 exec_lo, exec_lo, s11
.LBB6_8413:                             ;   in Loop: Header=BB6_8372 Depth=1
	s_and_not1_saveexec_b32 s10, s10
	s_cbranch_execz .LBB6_8415
; %bb.8414:                             ;   in Loop: Header=BB6_8372 Depth=1
	global_wb scope:SCOPE_DEV
	s_wait_storecnt 0x0
	s_wait_loadcnt_dscnt 0x0
	global_inv scope:SCOPE_DEV
	s_barrier_signal -1
	s_barrier_wait -1
.LBB6_8415:                             ;   in Loop: Header=BB6_8372 Depth=1
	s_or_b32 exec_lo, exec_lo, s10
.LBB6_8416:                             ;   in Loop: Header=BB6_8372 Depth=1
	s_delay_alu instid0(SALU_CYCLE_1) | instskip(SKIP_3) | instid1(VALU_DEP_1)
	s_or_b32 exec_lo, exec_lo, s7
	s_trap 2
	ds_load_b32 v0, v0
	v_and_b32_e32 v2, 0x4000, v101
	v_cmp_ne_u32_e32 vcc_lo, 0, v2
	s_and_b32 s10, s21, vcc_lo
	s_delay_alu instid0(SALU_CYCLE_1)
	s_and_saveexec_b32 s7, s10
	s_cbranch_execz .LBB6_8435
; %bb.8417:                             ;   in Loop: Header=BB6_8372 Depth=1
	s_and_saveexec_b32 s10, s3
	s_delay_alu instid0(SALU_CYCLE_1)
	s_xor_b32 s10, exec_lo, s10
	s_cbranch_execz .LBB6_8432
; %bb.8418:                             ;   in Loop: Header=BB6_8372 Depth=1
	s_and_saveexec_b32 s11, s4
	s_cbranch_execz .LBB6_8431
; %bb.8419:                             ;   in Loop: Header=BB6_8372 Depth=1
	s_mov_b32 s26, exec_lo
	s_mov_b32 s25, exec_lo
	v_mbcnt_lo_u32_b32 v2, s26, 0
	global_wb scope:SCOPE_DEV
	s_wait_storecnt 0x0
	s_wait_loadcnt_dscnt 0x0
	global_inv scope:SCOPE_DEV
	v_cmpx_eq_u32_e32 0, v2
	s_cbranch_execz .LBB6_8421
; %bb.8420:                             ;   in Loop: Header=BB6_8372 Depth=1
	s_bcnt1_i32_b32 s26, s26
	s_delay_alu instid0(SALU_CYCLE_1)
	v_dual_mov_b32 v3, v1 :: v_dual_mov_b32 v2, s26
	s_wait_loadcnt 0x0
	ds_add_u64 v0, v[2:3]
	s_trap 2
.LBB6_8421:                             ;   in Loop: Header=BB6_8372 Depth=1
	s_or_b32 exec_lo, exec_lo, s25
	s_trap 2
	ds_load_b64 v[2:3], v0
	s_wait_dscnt 0x0
	s_clause 0x1
	scratch_load_b64 v[4:5], off, s33 offset:220 th:TH_LOAD_LU
	scratch_load_b64 v[6:7], off, s33 offset:276
	s_mov_b32 s25, exec_lo
	s_wait_loadcnt 0x0
	v_add_nc_u64_e32 v[4:5], v[4:5], v[6:7]
	scratch_store_b64 off, v[4:5], s33 offset:220 ; 8-byte Folded Spill
	s_wait_xcnt 0x0
	v_cmpx_lt_u64_e64 v[2:3], v[4:5]
	s_cbranch_execz .LBB6_8430
; %bb.8422:                             ;   in Loop: Header=BB6_8372 Depth=1
	s_mov_b32 s26, 0
	s_mov_b32 s29, 0
                                        ; implicit-def: $sgpr27
                                        ; implicit-def: $sgpr28
	s_branch .LBB6_8424
.LBB6_8423:                             ;   in Loop: Header=BB6_8424 Depth=2
	s_wait_xcnt 0x0
	s_or_b32 exec_lo, exec_lo, s41
	s_delay_alu instid0(SALU_CYCLE_1) | instskip(NEXT) | instid1(SALU_CYCLE_1)
	s_and_b32 s40, exec_lo, s42
	s_or_b32 s26, s40, s26
	s_and_not1_b32 s27, s27, exec_lo
	s_and_b32 s40, s28, exec_lo
	s_delay_alu instid0(SALU_CYCLE_1)
	s_or_b32 s27, s27, s40
	s_and_not1_b32 exec_lo, exec_lo, s26
	s_cbranch_execz .LBB6_8428
.LBB6_8424:                             ;   Parent Loop BB6_8372 Depth=1
                                        ; =>  This Inner Loop Header: Depth=2
	s_add_co_i32 s29, s29, 1
	s_delay_alu instid0(SALU_CYCLE_1) | instskip(SKIP_1) | instid1(SALU_CYCLE_1)
	s_cmp_lg_u32 s29, 0x2710
	s_cselect_b32 s40, -1, 0
	s_and_b32 vcc_lo, exec_lo, s40
	s_cbranch_vccz .LBB6_8426
; %bb.8425:                             ;   in Loop: Header=BB6_8424 Depth=2
	s_mov_b32 s42, -1
	s_or_b32 s28, s28, exec_lo
	s_and_saveexec_b32 s41, s40
	s_cbranch_execz .LBB6_8423
	s_branch .LBB6_8427
.LBB6_8426:                             ;   in Loop: Header=BB6_8424 Depth=2
	s_trap 2
	ds_load_b64 v[2:3], v0
	s_and_not1_b32 s40, s40, exec_lo
	s_mov_b32 s29, 0
	s_wait_storecnt_dscnt 0x0
	flat_load_b32 v2, v[2:3] scope:SCOPE_SYS
	s_wait_loadcnt_dscnt 0x0
	global_inv scope:SCOPE_SYS
	v_cmp_eq_u32_e32 vcc_lo, 0, v2
	s_and_b32 s41, vcc_lo, exec_lo
	s_delay_alu instid0(SALU_CYCLE_1)
	s_or_b32 s40, s40, s41
	s_mov_b32 s42, -1
	s_or_b32 s28, s28, exec_lo
	s_wait_xcnt 0x0
	s_and_saveexec_b32 s41, s40
	s_cbranch_execz .LBB6_8423
.LBB6_8427:                             ;   in Loop: Header=BB6_8424 Depth=2
	s_sleep 1
	s_trap 2
	ds_load_b64 v[2:3], v0
	s_wait_dscnt 0x0
	scratch_load_b64 v[4:5], off, s33 offset:220 ; 8-byte Folded Reload
	s_and_not1_b32 s28, s28, exec_lo
	s_wait_loadcnt 0x0
	v_cmp_ge_u64_e32 vcc_lo, v[2:3], v[4:5]
	s_or_not1_b32 s42, vcc_lo, exec_lo
	s_branch .LBB6_8423
.LBB6_8428:                             ;   in Loop: Header=BB6_8372 Depth=1
	s_or_b32 exec_lo, exec_lo, s26
	s_and_saveexec_b32 s26, s27
	s_delay_alu instid0(SALU_CYCLE_1)
	s_xor_b32 s26, exec_lo, s26
	s_cbranch_execz .LBB6_8430
; %bb.8429:                             ;   in Loop: Header=BB6_8372 Depth=1
	v_mov_b32_e32 v2, 1
	ds_store_b32 v0, v2
	s_trap 2
.LBB6_8430:                             ;   in Loop: Header=BB6_8372 Depth=1
	s_or_b32 exec_lo, exec_lo, s25
	;;#ASMSTART
	s_wakeup
	;;#ASMEND
.LBB6_8431:                             ;   in Loop: Header=BB6_8372 Depth=1
	s_or_b32 exec_lo, exec_lo, s11
.LBB6_8432:                             ;   in Loop: Header=BB6_8372 Depth=1
	s_and_not1_saveexec_b32 s10, s10
	s_cbranch_execz .LBB6_8434
; %bb.8433:                             ;   in Loop: Header=BB6_8372 Depth=1
	global_wb scope:SCOPE_DEV
	s_wait_storecnt 0x0
	s_wait_loadcnt_dscnt 0x0
	global_inv scope:SCOPE_DEV
	s_barrier_signal -1
	s_barrier_wait -1
.LBB6_8434:                             ;   in Loop: Header=BB6_8372 Depth=1
	s_or_b32 exec_lo, exec_lo, s10
.LBB6_8435:                             ;   in Loop: Header=BB6_8372 Depth=1
	s_delay_alu instid0(SALU_CYCLE_1)
	s_or_b32 exec_lo, exec_lo, s7
	s_trap 2
	s_wait_dscnt 0x0
	ds_load_b64 v[86:87], v0
	v_min_u32_e32 v99, v99, v14
	s_wait_dscnt 0x0
	v_cmp_eq_u64_e32 vcc_lo, 0, v[86:87]
	s_cbranch_vccnz .LBB6_8443
; %bb.8436:                             ;   in Loop: Header=BB6_8372 Depth=1
	s_clause 0x1
	scratch_store_b64 off, v[14:15], s33 offset:316
	scratch_store_b64 off, v[12:13], s33 offset:308
	s_trap 2
	ds_load_b64 v[96:97], v0
	s_wait_dscnt 0x0
	v_cmp_eq_u64_e32 vcc_lo, 0, v[96:97]
	s_cbranch_vccnz .LBB6_8444
; %bb.8437:                             ;   in Loop: Header=BB6_8372 Depth=1
	s_mov_b32 s7, -1
	s_wait_xcnt 0x0
	s_and_saveexec_b32 s10, s5
	s_cbranch_execz .LBB6_8439
; %bb.8438:                             ;   in Loop: Header=BB6_8372 Depth=1
	ds_load_b32 v2, v0 offset:720
	s_wait_dscnt 0x0
	v_and_b32_e32 v2, 15, v2
	s_delay_alu instid0(VALU_DEP_1)
	v_cmp_eq_u32_e32 vcc_lo, 0, v2
	s_or_not1_b32 s7, vcc_lo, exec_lo
.LBB6_8439:                             ;   in Loop: Header=BB6_8372 Depth=1
	s_or_b32 exec_lo, exec_lo, s10
	s_and_saveexec_b32 s10, s6
	s_cbranch_execz .LBB6_8441
; %bb.8440:                             ;   in Loop: Header=BB6_8372 Depth=1
	ds_load_b32 v2, v0 offset:784
	s_wait_dscnt 0x0
	v_and_b32_e32 v2, 15, v2
	s_delay_alu instid0(VALU_DEP_1) | instskip(SKIP_3) | instid1(SALU_CYCLE_1)
	v_cmp_eq_u32_e32 vcc_lo, 0, v2
	s_and_b32 s11, s7, vcc_lo
	s_and_not1_b32 s7, s7, exec_lo
	s_and_b32 s11, s11, exec_lo
	s_or_b32 s7, s7, s11
.LBB6_8441:                             ;   in Loop: Header=BB6_8372 Depth=1
	s_or_b32 exec_lo, exec_lo, s10
	scratch_load_b32 v5, off, s33 offset:456 ; 4-byte Folded Reload
	v_cmp_eq_u32_e32 vcc_lo, 0, v0
	s_xor_b32 s7, s7, -1
	v_mov_b32_e32 v10, 0
	v_cndmask_b32_e64 v2, 0, 1, s7
	s_mov_b32 s7, -1
	v_cndmask_b32_e32 v103, 0, v99, vcc_lo
	s_delay_alu instid0(VALU_DEP_2) | instskip(NEXT) | instid1(VALU_DEP_2)
	v_cmp_ne_u32_e32 vcc_lo, 0, v2
	v_mov_b32_e32 v4, v103
	s_cbranch_vccz .LBB6_8445
; %bb.8442:                             ;   in Loop: Header=BB6_8372 Depth=1
	s_wait_xcnt 0x0
	s_and_saveexec_b32 s25, s7
	s_cbranch_execz .LBB6_22372
; %bb.22418:                            ;   in Loop: Header=BB6_8372 Depth=1
	s_add_pc_i64 .LBB6_14008-.Lpost_addpc45
.Lpost_addpc45:
.LBB6_22372:                            ;   in Loop: Header=BB6_8372 Depth=1
	s_add_pc_i64 .LBB6_16606-.Lpost_addpc22
.Lpost_addpc22:
.LBB6_8443:                             ;   in Loop: Header=BB6_8372 Depth=1
	s_mov_b32 s7, 0
	s_and_saveexec_b32 s10, s2
	s_cbranch_execz .LBB6_22374
; %bb.22420:                            ;   in Loop: Header=BB6_8372 Depth=1
	s_add_pc_i64 .LBB6_16608-.Lpost_addpc46
.Lpost_addpc46:
.LBB6_22374:                            ;   in Loop: Header=BB6_8372 Depth=1
	s_add_pc_i64 .LBB6_16626-.Lpost_addpc23
.Lpost_addpc23:
.LBB6_8444:                             ;   in Loop: Header=BB6_8372 Depth=1
	s_mov_b32 s7, 0
; %bb.22376:                            ;   in Loop: Header=BB6_8372 Depth=1
	s_add_pc_i64 .LBB6_16607-.Lpost_addpc24
.Lpost_addpc24:
.LBB6_8445:                             ;   in Loop: Header=BB6_8372 Depth=1
	scratch_load_b32 v2, off, s33 offset:332 ; 4-byte Folded Reload
	v_lshrrev_b32_e32 v0, 11, v103
	s_mov_b32 s10, exec_lo
	s_wait_loadcnt 0x0
	s_delay_alu instid0(VALU_DEP_1) | instskip(SKIP_1) | instid1(VALU_DEP_1)
	v_sub_nc_u32_e32 v6, v0, v2
	s_wait_xcnt 0x0
	v_cmpx_lt_i32_e32 0, v6
	s_cbranch_execz .LBB6_12937
; %bb.8446:                             ;   in Loop: Header=BB6_8372 Depth=1
	s_trap 2
	scratch_load_b64 v[4:5], off, s33 offset:360 ; 8-byte Folded Reload
	ds_load_b64 v[2:3], v0
	v_dual_mov_b32 v88, v103 :: v_dual_mov_b32 v79, v99
	v_mov_b32_e32 v78, v101
	s_wait_dscnt 0x0
	v_readfirstlane_b32 s26, v2
	v_readfirstlane_b32 s27, v3
	s_and_b32 s11, s26, 3
	s_bfe_i32 s7, s26, 0x80000
	s_clz_i32_u32 s29, s11
	s_bfe_u32 s25, s26, 0x50002
	s_min_u32 s29, s29, 32
	s_and_b32 s28, s26, 0x7c
	s_sub_co_i32 s42, s29, 29
	s_lshl_b32 s40, s26, 24
	s_sext_i32_i8 s41, s26
	s_lshl_b64 s[26:27], s[26:27], s42
	s_and_b32 s40, s40, 0x80000000
	s_sub_co_i32 s27, 30, s29
	s_and_b32 s26, s26, 3
	s_cmp_gt_i32 s41, -1
	s_cselect_b32 s29, s22, 0xff800000
	s_cmp_eq_u32 s11, 0
	s_cselect_b32 s29, s29, 0x7f800001
	s_cmp_eq_u32 s25, 0
	s_cselect_b32 s25, s27, s25
	s_cselect_b32 s11, s26, s11
	s_lshl_b32 s25, s25, 23
	s_lshl_b32 s11, s11, 21
	s_add_co_i32 s25, s25, s40
	s_delay_alu instid0(SALU_CYCLE_1)
	s_or_b32 s11, s25, s11
	s_mov_b32 s25, 0
	s_add_co_i32 s11, s11, 0x38000000
	s_cmp_eq_u32 s28, 0x7c
	s_cselect_b32 s11, s29, s11
	s_and_b32 s26, s7, 0xff
	s_delay_alu instid0(SALU_CYCLE_1)
	s_and_b32 s27, 0xffff, s26
	s_wait_loadcnt 0x0
	v_add_nc_u64_e32 v[98:99], v[86:87], v[4:5]
	v_add_nc_u64_e32 v[100:101], v[96:97], v[4:5]
	v_add_nc_u64_e32 v[102:103], v[2:3], v[4:5]
	s_branch .LBB6_8449
.LBB6_8447:                             ;   in Loop: Header=BB6_8449 Depth=2
	s_or_b32 exec_lo, exec_lo, s28
.LBB6_8448:                             ;   in Loop: Header=BB6_8449 Depth=2
	s_delay_alu instid0(SALU_CYCLE_1)
	s_or_b32 exec_lo, exec_lo, s7
	v_lshl_or_b32 v0, v70, 8, v68
	v_dual_lshlrev_b32 v3, 16, v81 :: v_dual_lshlrev_b32 v4, 24, v14
	v_lshl_or_b32 v5, v80, 8, v21
	v_dual_lshlrev_b32 v12, 16, v82 :: v_dual_lshlrev_b32 v14, 24, v69
	v_lshl_or_b32 v21, v53, 8, v49
	s_delay_alu instid0(VALU_DEP_4)
	v_or3_b32 v13, v0, v3, v4
	v_lshlrev_b32_e32 v0, 24, v112
	v_lshl_or_b32 v3, v55, 8, v15
	v_dual_lshlrev_b32 v4, 16, v66 :: v_dual_lshlrev_b32 v15, 24, v16
	v_lshlrev_b32_e32 v16, 16, v65
	v_lshl_or_b32 v33, v44, 8, v41
	v_dual_lshlrev_b32 v37, 16, v56 :: v_dual_lshlrev_b32 v18, 24, v18
	v_lshl_or_b32 v25, v46, 8, v25
	v_dual_lshlrev_b32 v49, 16, v57 :: v_dual_lshlrev_b32 v50, 24, v60
	v_or3_b32 v12, v5, v12, v0
	v_or3_b32 v14, v3, v4, v14
	v_lshl_or_b32 v0, v116, 8, v19
	v_dual_lshlrev_b32 v3, 16, v119 :: v_dual_lshlrev_b32 v5, 24, v20
	v_lshlrev_b32_e32 v4, 24, v43
	v_or3_b32 v15, v21, v16, v15
	v_or3_b32 v67, v33, v37, v18
	;; [unrolled: 1-line block ×3, first 2 shown]
	v_lshlrev_b32_e32 v16, 16, v117
	v_lshl_or_b32 v18, v114, 8, v85
	v_lshl_or_b32 v19, v52, 8, v39
	v_dual_lshlrev_b32 v20, 16, v64 :: v_dual_lshlrev_b32 v21, 24, v22
	v_lshl_or_b32 v7, v9, 8, v7
	v_dual_lshlrev_b32 v9, 16, v28 :: v_dual_lshlrev_b32 v25, 16, v113
	v_dual_lshlrev_b32 v22, 24, v32 :: v_dual_lshlrev_b32 v28, 24, v118
	v_lshl_or_b32 v23, v83, 8, v23
	v_or3_b32 v68, v0, v3, v4
	v_dual_lshlrev_b32 v0, 24, v24 :: v_dual_lshlrev_b32 v3, 16, v58
	v_lshl_or_b32 v4, v47, 8, v42
	v_or3_b32 v69, v18, v16, v5
	v_or3_b32 v19, v19, v20, v21
	;; [unrolled: 1-line block ×5, first 2 shown]
	v_lshl_or_b32 v5, v35, 8, v30
	v_dual_lshlrev_b32 v7, 16, v38 :: v_dual_lshlrev_b32 v16, 16, v48
	v_lshlrev_b32_e32 v9, 24, v10
	v_lshl_or_b32 v10, v36, 8, v17
	v_lshlrev_b32_e32 v17, 24, v51
	v_lshl_or_b32 v11, v26, 8, v11
	v_dual_lshlrev_b32 v22, 16, v31 :: v_dual_lshlrev_b32 v23, 24, v34
	v_dual_lshlrev_b32 v24, 24, v2 :: v_dual_lshlrev_b32 v25, 16, v29
	v_lshl_or_b32 v8, v27, 8, v8
	s_clause 0x1
	global_store_b128 v[100:101], v[18:21], off th:TH_STORE_NT
	global_store_b128 v[100:101], v[66:69], off offset:512 th:TH_STORE_NT
	v_or3_b32 v3, v5, v7, v9
	v_or3_b32 v2, v10, v16, v17
	;; [unrolled: 1-line block ×4, first 2 shown]
	scratch_load_b64 v[8:9], off, s33 offset:276 ; 8-byte Folded Reload
	s_clause 0x1
	global_store_b128 v[100:101], v[12:15], off offset:1024 th:TH_STORE_NT
	global_store_b128 v[100:101], v[2:5], off offset:1536 th:TH_STORE_NT
	scratch_load_b64 v[2:3], off, s33 offset:292 ; 8-byte Folded Reload
	s_wait_loadcnt 0x1
	v_sub_nc_u32_e32 v6, v6, v8
	s_wait_loadcnt 0x0
	v_add_nc_u64_e32 v[98:99], v[98:99], v[2:3]
	v_add_nc_u64_e32 v[102:103], v[102:103], v[2:3]
	s_delay_alu instid0(VALU_DEP_3)
	v_cmp_gt_i32_e32 vcc_lo, 1, v6
	v_add_nc_u64_e32 v[100:101], v[100:101], v[2:3]
	s_or_b32 s25, vcc_lo, s25
	s_wait_xcnt 0x0
	s_and_not1_b32 exec_lo, exec_lo, s25
	s_cbranch_execz .LBB6_12936
.LBB6_8449:                             ;   Parent Loop BB6_8372 Depth=1
                                        ; =>  This Inner Loop Header: Depth=2
	s_cmp_lt_i32 s26, 0x80
	s_cbranch_scc1 .LBB6_8453
; %bb.8450:                             ;   in Loop: Header=BB6_8449 Depth=2
	s_cmp_eq_u32 s27, 0x80
	s_mov_b32 s7, -1
	s_cbranch_scc0 .LBB6_8452
; %bb.8451:                             ;   in Loop: Header=BB6_8449 Depth=2
	s_mov_b32 s7, 0
.LBB6_8452:                             ;   in Loop: Header=BB6_8449 Depth=2
	s_brev_b32 s28, 1
	s_branch .LBB6_8455
.LBB6_8453:                             ;   in Loop: Header=BB6_8449 Depth=2
	s_mov_b32 s7, 0
	s_brev_b32 s28, 1
	s_cbranch_execz .LBB6_8455
; %bb.8454:                             ;   in Loop: Header=BB6_8449 Depth=2
	s_cmp_lg_u32 s27, 0
	s_mov_b32 s28, 0
	s_cselect_b32 s7, -1, 0
.LBB6_8455:                             ;   in Loop: Header=BB6_8449 Depth=2
	s_delay_alu instid0(SALU_CYCLE_1)
	s_and_not1_b32 vcc_lo, exec_lo, s7
	s_cbranch_vccnz .LBB6_8457
; %bb.8456:                             ;   in Loop: Header=BB6_8449 Depth=2
	s_mov_b32 s28, s11
.LBB6_8457:                             ;   in Loop: Header=BB6_8449 Depth=2
	global_load_b128 v[10:13], v[98:99], off th:TH_LOAD_NT
	s_wait_loadcnt 0x0
	v_and_b32_e32 v0, 0xff, v10
	s_delay_alu instid0(VALU_DEP_1)
	v_cmp_ne_u16_e32 vcc_lo, 0, v0
	v_mov_b32_e32 v0, 0
	s_wait_xcnt 0x0
	s_and_saveexec_b32 s7, vcc_lo
	s_cbranch_execz .LBB6_8467
; %bb.8458:                             ;   in Loop: Header=BB6_8449 Depth=2
	v_bfe_i32 v3, v10, 0, 8
	v_bfrev_b32_e32 v0, 1
	s_mov_b32 s29, exec_lo
	s_delay_alu instid0(VALU_DEP_2)
	v_cmpx_ne_u16_e32 0xff80, v3
	s_cbranch_execz .LBB6_8466
; %bb.8459:                             ;   in Loop: Header=BB6_8449 Depth=2
	v_and_b32_e32 v0, 0x7c, v10
	v_and_b32_e32 v2, 3, v10
	s_delay_alu instid0(VALU_DEP_2) | instskip(SKIP_1) | instid1(SALU_CYCLE_1)
	v_cmp_ne_u32_e32 vcc_lo, 0x7c, v0
                                        ; implicit-def: $vgpr0
	s_and_saveexec_b32 s40, vcc_lo
	s_xor_b32 s40, exec_lo, s40
	s_cbranch_execz .LBB6_8463
; %bb.8460:                             ;   in Loop: Header=BB6_8449 Depth=2
	v_bfe_u32 v0, v10, 2, 5
	s_mov_b32 s41, exec_lo
	s_delay_alu instid0(VALU_DEP_1)
	v_cmpx_eq_u32_e32 0, v0
; %bb.8461:                             ;   in Loop: Header=BB6_8449 Depth=2
	v_clz_i32_u32_e32 v0, v2
	s_delay_alu instid0(VALU_DEP_1) | instskip(NEXT) | instid1(VALU_DEP_1)
	v_min_u32_e32 v0, 32, v0
	v_subrev_nc_u32_e32 v2, 29, v0
	s_delay_alu instid0(VALU_DEP_1) | instskip(NEXT) | instid1(VALU_DEP_1)
	v_lshlrev_b64_e32 v[2:3], v2, v[10:11]
	v_dual_sub_nc_u32 v0, 30, v0 :: v_dual_bitop2_b32 v2, 3, v2 bitop3:0x40
; %bb.8462:                             ;   in Loop: Header=BB6_8449 Depth=2
	s_or_b32 exec_lo, exec_lo, s41
	v_lshlrev_b32_e32 v3, 24, v10
	s_delay_alu instid0(VALU_DEP_1) | instskip(NEXT) | instid1(VALU_DEP_1)
	v_and_b32_e32 v3, 0x80000000, v3
	v_lshl_add_u32 v0, v0, 23, v3
                                        ; implicit-def: $vgpr3
	s_delay_alu instid0(VALU_DEP_1) | instskip(NEXT) | instid1(VALU_DEP_1)
	v_lshl_or_b32 v0, v2, 21, v0
                                        ; implicit-def: $vgpr2
	v_add_nc_u32_e32 v0, 0x38000000, v0
.LBB6_8463:                             ;   in Loop: Header=BB6_8449 Depth=2
	s_and_not1_saveexec_b32 s40, s40
; %bb.8464:                             ;   in Loop: Header=BB6_8449 Depth=2
	v_cmp_lt_i16_e32 vcc_lo, -1, v3
	v_mov_b32_e32 v0, 0x7f800000
	s_delay_alu instid0(VALU_DEP_1) | instskip(SKIP_1) | instid1(VALU_DEP_2)
	v_cndmask_b32_e32 v0, 0xff800000, v0, vcc_lo
	v_cmp_eq_u32_e32 vcc_lo, 0, v2
	v_cndmask_b32_e32 v0, 0x7f800001, v0, vcc_lo
; %bb.8465:                             ;   in Loop: Header=BB6_8449 Depth=2
	s_or_b32 exec_lo, exec_lo, s40
.LBB6_8466:                             ;   in Loop: Header=BB6_8449 Depth=2
	s_delay_alu instid0(SALU_CYCLE_1)
	s_or_b32 exec_lo, exec_lo, s29
.LBB6_8467:                             ;   in Loop: Header=BB6_8449 Depth=2
	s_delay_alu instid0(SALU_CYCLE_1) | instskip(NEXT) | instid1(VALU_DEP_1)
	s_or_b32 exec_lo, exec_lo, s7
	v_dual_mul_f32 v2, s28, v0 :: v_dual_mov_b32 v5, v1
                                        ; implicit-def: $vgpr7
	s_mov_b32 s7, exec_lo
	s_delay_alu instid0(VALU_DEP_1) | instskip(SKIP_2) | instid1(VALU_DEP_3)
	v_and_b32_e32 v4, 0x7f800000, v2
	v_and_b32_e32 v0, 0x7fffff, v2
	v_lshrrev_b32_e32 v3, 24, v2
	v_cmpx_ne_u64_e32 0x7f800000, v[4:5]
	s_xor_b32 s29, exec_lo, s7
	s_cbranch_execz .LBB6_8481
; %bb.8468:                             ;   in Loop: Header=BB6_8449 Depth=2
	v_and_b32_e32 v4, 0x7fffffff, v2
	v_mov_b32_e32 v5, v1
	v_and_b32_e32 v8, 0x80, v3
                                        ; implicit-def: $vgpr7
	s_mov_b32 s7, exec_lo
	s_delay_alu instid0(VALU_DEP_2)
	v_cmpx_gt_u64_e32 0x47600001, v[4:5]
	s_xor_b32 s40, exec_lo, s7
	s_cbranch_execz .LBB6_8478
; %bb.8469:                             ;   in Loop: Header=BB6_8449 Depth=2
	v_mov_b32_e32 v7, 0
	s_mov_b32 s41, exec_lo
	v_cmpx_ne_u32_e32 0, v2
	s_cbranch_execz .LBB6_8477
; %bb.8470:                             ;   in Loop: Header=BB6_8449 Depth=2
	v_bfe_u32 v7, v2, 23, 8
	v_or_b32_e32 v4, 0x800000, v0
	s_mov_b32 s42, exec_lo
	s_delay_alu instid0(VALU_DEP_2) | instskip(SKIP_1) | instid1(VALU_DEP_2)
	v_dual_mov_b32 v5, v1 :: v_dual_sub_nc_u32 v2, 0x71, v7
	v_cmp_gt_u32_e32 vcc_lo, 0x72, v7
	v_cndmask_b32_e32 v2, 0, v2, vcc_lo
	v_cmp_eq_u32_e32 vcc_lo, 0, v7
	s_delay_alu instid0(VALU_DEP_2) | instskip(NEXT) | instid1(VALU_DEP_1)
	v_cndmask_b32_e64 v9, v2, 0x70, vcc_lo
	v_dual_cndmask_b32 v4, v4, v0, vcc_lo :: v_dual_add_nc_u32 v2, 21, v9
	v_add_nc_u32_e32 v14, 20, v9
	s_delay_alu instid0(VALU_DEP_2) | instskip(NEXT) | instid1(VALU_DEP_2)
	v_lshlrev_b64_e64 v[2:3], v2, -1
	v_lshlrev_b64_e64 v[14:15], v14, 1
	s_delay_alu instid0(VALU_DEP_2) | instskip(NEXT) | instid1(VALU_DEP_3)
	v_bfi_b32 v17, v3, 0, 0
	v_bfi_b32 v16, v2, 0, v4
	v_lshrrev_b64 v[2:3], v9, v[4:5]
	s_delay_alu instid0(VALU_DEP_1) | instskip(NEXT) | instid1(VALU_DEP_3)
	v_mov_b64_e32 v[4:5], v[2:3]
	v_cmpx_eq_u64_e64 v[16:17], v[14:15]
; %bb.8471:                             ;   in Loop: Header=BB6_8449 Depth=2
	v_bfe_u32 v4, v2, 21, 1
	v_mov_b32_e32 v5, v1
	s_delay_alu instid0(VALU_DEP_1) | instskip(NEXT) | instid1(VALU_DEP_1)
	v_add_nc_u64_e32 v[4:5], v[2:3], v[4:5]
	v_add_nc_u64_e32 v[4:5], -1, v[4:5]
; %bb.8472:                             ;   in Loop: Header=BB6_8449 Depth=2
	s_or_b32 exec_lo, exec_lo, s42
	v_add_nc_u32_e32 v0, 0xffffff81, v7
	v_lshrrev_b32_e32 v3, 23, v2
	s_mov_b32 s7, exec_lo
	s_delay_alu instid0(VALU_DEP_2) | instskip(NEXT) | instid1(VALU_DEP_1)
	v_cndmask_b32_e64 v0, v0, 0xffffff82, vcc_lo
	v_add3_u32 v5, v9, v0, v3
	v_and_b32_e32 v0, 0x1fffff, v4
                                        ; implicit-def: $vgpr4
	s_delay_alu instid0(VALU_DEP_1) | instskip(NEXT) | instid1(VALU_DEP_1)
	v_dual_add_nc_u32 v7, 14, v5 :: v_dual_add_nc_u32 v0, v0, v2
                                        ; implicit-def: $vgpr2_vgpr3
	v_cmpx_ne_u32_e32 0, v7
	s_xor_b32 s7, exec_lo, s7
; %bb.8473:                             ;   in Loop: Header=BB6_8449 Depth=2
	s_delay_alu instid0(VALU_DEP_2) | instskip(SKIP_1) | instid1(VALU_DEP_1)
	v_cmp_lt_u64_e32 vcc_lo, 0xffffff, v[0:1]
	v_add_nc_u32_e32 v2, 15, v5
	v_cndmask_b32_e32 v4, v7, v2, vcc_lo
	v_cndmask_b32_e64 v2, 0, 1, vcc_lo
	s_delay_alu instid0(VALU_DEP_1)
	v_lshrrev_b64 v[2:3], v2, v[0:1]
; %bb.8474:                             ;   in Loop: Header=BB6_8449 Depth=2
	s_and_not1_saveexec_b32 s7, s7
; %bb.8475:                             ;   in Loop: Header=BB6_8449 Depth=2
	v_mov_b64_e32 v[2:3], v[0:1]
	v_bfe_u32 v4, v0, 23, 1
; %bb.8476:                             ;   in Loop: Header=BB6_8449 Depth=2
	s_or_b32 exec_lo, exec_lo, s7
	s_delay_alu instid0(VALU_DEP_2) | instskip(NEXT) | instid1(VALU_DEP_2)
	v_lshrrev_b64 v[2:3], 21, v[2:3]
	v_cmp_gt_i32_e32 vcc_lo, 32, v4
	v_min_i32_e32 v0, 31, v4
	v_cmp_eq_u32_e64 s7, 0, v4
	s_delay_alu instid0(VALU_DEP_2) | instskip(SKIP_1) | instid1(VALU_DEP_2)
	v_dual_cndmask_b32 v3, 0, v3 :: v_dual_lshlrev_b32 v0, 2, v0
	v_cndmask_b32_e32 v2, 3, v2, vcc_lo
	v_and_b32_e32 v0, 0xfc, v0
	s_delay_alu instid0(VALU_DEP_2) | instskip(NEXT) | instid1(VALU_DEP_2)
	v_cmp_eq_u64_e32 vcc_lo, 0, v[2:3]
	v_and_or_b32 v0, v2, 3, v0
	s_and_b32 s7, s7, vcc_lo
	s_delay_alu instid0(VALU_DEP_1) | instid1(SALU_CYCLE_1)
	v_cndmask_b32_e64 v0, v0, 0, s7
	s_delay_alu instid0(VALU_DEP_1)
	v_or_b32_e32 v7, v0, v8
.LBB6_8477:                             ;   in Loop: Header=BB6_8449 Depth=2
	s_or_b32 exec_lo, exec_lo, s41
                                        ; implicit-def: $vgpr8
.LBB6_8478:                             ;   in Loop: Header=BB6_8449 Depth=2
	s_and_not1_saveexec_b32 s7, s40
; %bb.8479:                             ;   in Loop: Header=BB6_8449 Depth=2
	v_or_b32_e32 v7, 0x7b, v8
; %bb.8480:                             ;   in Loop: Header=BB6_8449 Depth=2
	s_or_b32 exec_lo, exec_lo, s7
                                        ; implicit-def: $vgpr2
                                        ; implicit-def: $vgpr3
.LBB6_8481:                             ;   in Loop: Header=BB6_8449 Depth=2
	s_and_not1_saveexec_b32 s7, s29
	s_cbranch_execz .LBB6_8487
; %bb.8482:                             ;   in Loop: Header=BB6_8449 Depth=2
	s_mov_b32 s29, exec_lo
                                        ; implicit-def: $vgpr7
	v_cmpx_ne_u64_e32 0, v[0:1]
	s_xor_b32 s29, exec_lo, s29
; %bb.8483:                             ;   in Loop: Header=BB6_8449 Depth=2
	v_or_b32_e32 v7, 0x7f, v3
                                        ; implicit-def: $vgpr2
; %bb.8484:                             ;   in Loop: Header=BB6_8449 Depth=2
	s_and_not1_saveexec_b32 s29, s29
; %bb.8485:                             ;   in Loop: Header=BB6_8449 Depth=2
	v_cmp_lt_i32_e32 vcc_lo, -1, v2
	v_mov_b32_e32 v0, 0x7c
	s_delay_alu instid0(VALU_DEP_1)
	v_cndmask_b32_e32 v7, 0xfc, v0, vcc_lo
; %bb.8486:                             ;   in Loop: Header=BB6_8449 Depth=2
	s_or_b32 exec_lo, exec_lo, s29
.LBB6_8487:                             ;   in Loop: Header=BB6_8449 Depth=2
	s_delay_alu instid0(SALU_CYCLE_1) | instskip(SKIP_3) | instid1(VALU_DEP_2)
	s_or_b32 exec_lo, exec_lo, s7
	v_lshrrev_b16 v2, 8, v10
	v_mov_b32_e32 v3, 0
	s_mov_b32 s7, exec_lo
	v_cmpx_ne_u16_e32 0, v2
	s_cbranch_execz .LBB6_8497
; %bb.8488:                             ;   in Loop: Header=BB6_8449 Depth=2
	v_bfrev_b32_e32 v3, 1
	s_mov_b32 s29, exec_lo
	v_cmpx_ne_u16_e32 0x80, v2
	s_cbranch_execz .LBB6_8496
; %bb.8489:                             ;   in Loop: Header=BB6_8449 Depth=2
	v_and_b32_e32 v4, 0xffff, v2
	s_delay_alu instid0(VALU_DEP_1) | instskip(SKIP_1) | instid1(VALU_DEP_2)
	v_and_b32_e32 v3, 0x7c, v4
	v_and_b32_e32 v0, 3, v4
	v_cmp_ne_u32_e32 vcc_lo, 0x7c, v3
                                        ; implicit-def: $vgpr3
	s_and_saveexec_b32 s40, vcc_lo
	s_delay_alu instid0(SALU_CYCLE_1)
	s_xor_b32 s40, exec_lo, s40
	s_cbranch_execz .LBB6_8493
; %bb.8490:                             ;   in Loop: Header=BB6_8449 Depth=2
	v_bfe_u32 v3, v4, 2, 5
	s_mov_b32 s41, exec_lo
	s_delay_alu instid0(VALU_DEP_1)
	v_cmpx_eq_u32_e32 0, v3
; %bb.8491:                             ;   in Loop: Header=BB6_8449 Depth=2
	v_clz_i32_u32_e32 v0, v0
	v_mov_b32_e32 v3, v1
	s_delay_alu instid0(VALU_DEP_2) | instskip(NEXT) | instid1(VALU_DEP_1)
	v_min_u32_e32 v0, 32, v0
	v_subrev_nc_u32_e32 v4, 29, v0
	s_delay_alu instid0(VALU_DEP_1) | instskip(NEXT) | instid1(VALU_DEP_1)
	v_lshlrev_b64_e32 v[2:3], v4, v[2:3]
	v_dual_sub_nc_u32 v3, 30, v0 :: v_dual_bitop2_b32 v0, 3, v2 bitop3:0x40
; %bb.8492:                             ;   in Loop: Header=BB6_8449 Depth=2
	s_or_b32 exec_lo, exec_lo, s41
	v_lshlrev_b32_e32 v2, 16, v10
	s_delay_alu instid0(VALU_DEP_1) | instskip(NEXT) | instid1(VALU_DEP_1)
	v_and_b32_e32 v2, 0x80000000, v2
	v_lshl_add_u32 v2, v3, 23, v2
	s_delay_alu instid0(VALU_DEP_1) | instskip(NEXT) | instid1(VALU_DEP_1)
	v_lshl_or_b32 v0, v0, 21, v2
	v_add_nc_u32_e32 v3, 0x38000000, v0
                                        ; implicit-def: $vgpr0
.LBB6_8493:                             ;   in Loop: Header=BB6_8449 Depth=2
	s_and_not1_saveexec_b32 s40, s40
; %bb.8494:                             ;   in Loop: Header=BB6_8449 Depth=2
	v_cmp_lt_i16_e32 vcc_lo, -1, v10
	v_mov_b32_e32 v2, 0x7f800000
	s_delay_alu instid0(VALU_DEP_1) | instskip(SKIP_1) | instid1(VALU_DEP_2)
	v_cndmask_b32_e32 v2, 0xff800000, v2, vcc_lo
	v_cmp_eq_u32_e32 vcc_lo, 0, v0
	v_cndmask_b32_e32 v3, 0x7f800001, v2, vcc_lo
; %bb.8495:                             ;   in Loop: Header=BB6_8449 Depth=2
	s_or_b32 exec_lo, exec_lo, s40
.LBB6_8496:                             ;   in Loop: Header=BB6_8449 Depth=2
	s_delay_alu instid0(SALU_CYCLE_1)
	s_or_b32 exec_lo, exec_lo, s29
.LBB6_8497:                             ;   in Loop: Header=BB6_8449 Depth=2
	s_delay_alu instid0(SALU_CYCLE_1) | instskip(NEXT) | instid1(VALU_DEP_1)
	s_or_b32 exec_lo, exec_lo, s7
	v_dual_mul_f32 v2, s28, v3 :: v_dual_mov_b32 v5, v1
                                        ; implicit-def: $vgpr9
	s_mov_b32 s7, exec_lo
	s_delay_alu instid0(VALU_DEP_1) | instskip(SKIP_2) | instid1(VALU_DEP_3)
	v_and_b32_e32 v4, 0x7f800000, v2
	v_and_b32_e32 v0, 0x7fffff, v2
	v_lshrrev_b32_e32 v3, 24, v2
	v_cmpx_ne_u64_e32 0x7f800000, v[4:5]
	s_xor_b32 s29, exec_lo, s7
	s_cbranch_execz .LBB6_8511
; %bb.8498:                             ;   in Loop: Header=BB6_8449 Depth=2
	v_and_b32_e32 v4, 0x7fffffff, v2
	v_mov_b32_e32 v5, v1
	v_and_b32_e32 v8, 0x80, v3
                                        ; implicit-def: $vgpr9
	s_mov_b32 s7, exec_lo
	s_delay_alu instid0(VALU_DEP_2)
	v_cmpx_gt_u64_e32 0x47600001, v[4:5]
	s_xor_b32 s40, exec_lo, s7
	s_cbranch_execz .LBB6_8508
; %bb.8499:                             ;   in Loop: Header=BB6_8449 Depth=2
	v_mov_b32_e32 v9, 0
	s_mov_b32 s41, exec_lo
	v_cmpx_ne_u32_e32 0, v2
	s_cbranch_execz .LBB6_8507
; %bb.8500:                             ;   in Loop: Header=BB6_8449 Depth=2
	v_bfe_u32 v9, v2, 23, 8
	v_or_b32_e32 v4, 0x800000, v0
	s_mov_b32 s42, exec_lo
	s_delay_alu instid0(VALU_DEP_2) | instskip(SKIP_1) | instid1(VALU_DEP_2)
	v_dual_mov_b32 v5, v1 :: v_dual_sub_nc_u32 v2, 0x71, v9
	v_cmp_gt_u32_e32 vcc_lo, 0x72, v9
	v_cndmask_b32_e32 v2, 0, v2, vcc_lo
	v_cmp_eq_u32_e32 vcc_lo, 0, v9
	v_cndmask_b32_e32 v4, v4, v0, vcc_lo
	s_delay_alu instid0(VALU_DEP_3) | instskip(NEXT) | instid1(VALU_DEP_1)
	v_cndmask_b32_e64 v14, v2, 0x70, vcc_lo
	v_dual_add_nc_u32 v2, 21, v14 :: v_dual_add_nc_u32 v15, 20, v14
	s_delay_alu instid0(VALU_DEP_1) | instskip(NEXT) | instid1(VALU_DEP_2)
	v_lshlrev_b64_e64 v[2:3], v2, -1
	v_lshlrev_b64_e64 v[16:17], v15, 1
	s_delay_alu instid0(VALU_DEP_2) | instskip(NEXT) | instid1(VALU_DEP_3)
	v_bfi_b32 v19, v3, 0, 0
	v_bfi_b32 v18, v2, 0, v4
	v_lshrrev_b64 v[2:3], v14, v[4:5]
	s_delay_alu instid0(VALU_DEP_1) | instskip(NEXT) | instid1(VALU_DEP_3)
	v_mov_b64_e32 v[4:5], v[2:3]
	v_cmpx_eq_u64_e64 v[18:19], v[16:17]
; %bb.8501:                             ;   in Loop: Header=BB6_8449 Depth=2
	v_bfe_u32 v4, v2, 21, 1
	v_mov_b32_e32 v5, v1
	s_delay_alu instid0(VALU_DEP_1) | instskip(NEXT) | instid1(VALU_DEP_1)
	v_add_nc_u64_e32 v[4:5], v[2:3], v[4:5]
	v_add_nc_u64_e32 v[4:5], -1, v[4:5]
; %bb.8502:                             ;   in Loop: Header=BB6_8449 Depth=2
	s_or_b32 exec_lo, exec_lo, s42
	v_add_nc_u32_e32 v0, 0xffffff81, v9
	v_lshrrev_b32_e32 v3, 23, v2
	s_mov_b32 s7, exec_lo
	s_delay_alu instid0(VALU_DEP_2) | instskip(NEXT) | instid1(VALU_DEP_1)
	v_cndmask_b32_e64 v0, v0, 0xffffff82, vcc_lo
	v_add3_u32 v5, v14, v0, v3
	v_and_b32_e32 v0, 0x1fffff, v4
                                        ; implicit-def: $vgpr4
	s_delay_alu instid0(VALU_DEP_1) | instskip(NEXT) | instid1(VALU_DEP_1)
	v_dual_add_nc_u32 v9, 14, v5 :: v_dual_add_nc_u32 v0, v0, v2
                                        ; implicit-def: $vgpr2_vgpr3
	v_cmpx_ne_u32_e32 0, v9
	s_xor_b32 s7, exec_lo, s7
; %bb.8503:                             ;   in Loop: Header=BB6_8449 Depth=2
	s_delay_alu instid0(VALU_DEP_2) | instskip(SKIP_1) | instid1(VALU_DEP_1)
	v_cmp_lt_u64_e32 vcc_lo, 0xffffff, v[0:1]
	v_add_nc_u32_e32 v2, 15, v5
	v_cndmask_b32_e32 v4, v9, v2, vcc_lo
	v_cndmask_b32_e64 v2, 0, 1, vcc_lo
	s_delay_alu instid0(VALU_DEP_1)
	v_lshrrev_b64 v[2:3], v2, v[0:1]
; %bb.8504:                             ;   in Loop: Header=BB6_8449 Depth=2
	s_and_not1_saveexec_b32 s7, s7
; %bb.8505:                             ;   in Loop: Header=BB6_8449 Depth=2
	v_mov_b64_e32 v[2:3], v[0:1]
	v_bfe_u32 v4, v0, 23, 1
; %bb.8506:                             ;   in Loop: Header=BB6_8449 Depth=2
	s_or_b32 exec_lo, exec_lo, s7
	s_delay_alu instid0(VALU_DEP_2) | instskip(NEXT) | instid1(VALU_DEP_2)
	v_lshrrev_b64 v[2:3], 21, v[2:3]
	v_cmp_gt_i32_e32 vcc_lo, 32, v4
	v_min_i32_e32 v0, 31, v4
	v_cmp_eq_u32_e64 s7, 0, v4
	s_delay_alu instid0(VALU_DEP_2) | instskip(SKIP_1) | instid1(VALU_DEP_2)
	v_dual_cndmask_b32 v3, 0, v3 :: v_dual_lshlrev_b32 v0, 2, v0
	v_cndmask_b32_e32 v2, 3, v2, vcc_lo
	v_and_b32_e32 v0, 0xfc, v0
	s_delay_alu instid0(VALU_DEP_2) | instskip(NEXT) | instid1(VALU_DEP_2)
	v_cmp_eq_u64_e32 vcc_lo, 0, v[2:3]
	v_and_or_b32 v0, v2, 3, v0
	s_and_b32 s7, s7, vcc_lo
	s_delay_alu instid0(VALU_DEP_1) | instid1(SALU_CYCLE_1)
	v_cndmask_b32_e64 v0, v0, 0, s7
	s_delay_alu instid0(VALU_DEP_1)
	v_or_b32_e32 v9, v0, v8
.LBB6_8507:                             ;   in Loop: Header=BB6_8449 Depth=2
	s_or_b32 exec_lo, exec_lo, s41
                                        ; implicit-def: $vgpr8
.LBB6_8508:                             ;   in Loop: Header=BB6_8449 Depth=2
	s_and_not1_saveexec_b32 s7, s40
; %bb.8509:                             ;   in Loop: Header=BB6_8449 Depth=2
	v_or_b32_e32 v9, 0x7b, v8
; %bb.8510:                             ;   in Loop: Header=BB6_8449 Depth=2
	s_or_b32 exec_lo, exec_lo, s7
                                        ; implicit-def: $vgpr2
                                        ; implicit-def: $vgpr3
.LBB6_8511:                             ;   in Loop: Header=BB6_8449 Depth=2
	s_and_not1_saveexec_b32 s7, s29
	s_cbranch_execz .LBB6_8517
; %bb.8512:                             ;   in Loop: Header=BB6_8449 Depth=2
	s_mov_b32 s29, exec_lo
                                        ; implicit-def: $vgpr9
	v_cmpx_ne_u64_e32 0, v[0:1]
	s_xor_b32 s29, exec_lo, s29
; %bb.8513:                             ;   in Loop: Header=BB6_8449 Depth=2
	v_or_b32_e32 v9, 0x7f, v3
                                        ; implicit-def: $vgpr2
; %bb.8514:                             ;   in Loop: Header=BB6_8449 Depth=2
	s_and_not1_saveexec_b32 s29, s29
; %bb.8515:                             ;   in Loop: Header=BB6_8449 Depth=2
	v_cmp_lt_i32_e32 vcc_lo, -1, v2
	v_mov_b32_e32 v0, 0x7c
	s_delay_alu instid0(VALU_DEP_1)
	v_cndmask_b32_e32 v9, 0xfc, v0, vcc_lo
; %bb.8516:                             ;   in Loop: Header=BB6_8449 Depth=2
	s_or_b32 exec_lo, exec_lo, s29
.LBB6_8517:                             ;   in Loop: Header=BB6_8449 Depth=2
	s_delay_alu instid0(SALU_CYCLE_1) | instskip(SKIP_2) | instid1(VALU_DEP_1)
	s_or_b32 exec_lo, exec_lo, s7
	v_dual_lshrrev_b32 v0, 16, v10 :: v_dual_mov_b32 v2, 0
	s_mov_b32 s7, exec_lo
	v_and_b32_e32 v3, 0xff, v0
	s_delay_alu instid0(VALU_DEP_1)
	v_cmpx_ne_u16_e32 0, v3
	s_cbranch_execz .LBB6_8527
; %bb.8518:                             ;   in Loop: Header=BB6_8449 Depth=2
	v_bfrev_b32_e32 v2, 1
	s_mov_b32 s29, exec_lo
	v_cmpx_ne_u16_e32 0x80, v3
	s_cbranch_execz .LBB6_8526
; %bb.8519:                             ;   in Loop: Header=BB6_8449 Depth=2
	v_and_b32_e32 v2, 0x7c0000, v10
	v_bfe_u32 v3, v10, 16, 2
	s_delay_alu instid0(VALU_DEP_2) | instskip(SKIP_1) | instid1(SALU_CYCLE_1)
	v_cmp_ne_u32_e32 vcc_lo, 0x7c0000, v2
                                        ; implicit-def: $vgpr2
	s_and_saveexec_b32 s40, vcc_lo
	s_xor_b32 s40, exec_lo, s40
	s_cbranch_execz .LBB6_8523
; %bb.8520:                             ;   in Loop: Header=BB6_8449 Depth=2
	v_bfe_u32 v2, v10, 18, 5
	s_mov_b32 s41, exec_lo
	s_delay_alu instid0(VALU_DEP_1)
	v_cmpx_eq_u32_e32 0, v2
; %bb.8521:                             ;   in Loop: Header=BB6_8449 Depth=2
	v_clz_i32_u32_e32 v2, v3
	s_delay_alu instid0(VALU_DEP_1) | instskip(NEXT) | instid1(VALU_DEP_1)
	v_min_u32_e32 v2, 32, v2
	v_subrev_nc_u32_e32 v3, 29, v2
	s_delay_alu instid0(VALU_DEP_1) | instskip(NEXT) | instid1(VALU_DEP_1)
	v_lshlrev_b64_e32 v[4:5], v3, v[0:1]
	v_dual_sub_nc_u32 v2, 30, v2 :: v_dual_bitop2_b32 v3, 3, v4 bitop3:0x40
; %bb.8522:                             ;   in Loop: Header=BB6_8449 Depth=2
	s_or_b32 exec_lo, exec_lo, s41
	v_lshlrev_b32_e32 v0, 24, v0
	s_delay_alu instid0(VALU_DEP_1) | instskip(NEXT) | instid1(VALU_DEP_1)
	v_and_b32_e32 v0, 0x80000000, v0
	v_lshl_add_u32 v0, v2, 23, v0
	s_delay_alu instid0(VALU_DEP_1) | instskip(NEXT) | instid1(VALU_DEP_1)
	v_lshl_or_b32 v0, v3, 21, v0
                                        ; implicit-def: $vgpr3
	v_add_nc_u32_e32 v2, 0x38000000, v0
                                        ; implicit-def: $vgpr0
.LBB6_8523:                             ;   in Loop: Header=BB6_8449 Depth=2
	s_and_not1_saveexec_b32 s40, s40
; %bb.8524:                             ;   in Loop: Header=BB6_8449 Depth=2
	v_bfe_i32 v0, v0, 0, 8
	s_delay_alu instid0(VALU_DEP_1) | instskip(SKIP_1) | instid1(VALU_DEP_1)
	v_cmp_lt_i16_e32 vcc_lo, -1, v0
	v_mov_b32_e32 v0, 0x7f800000
	v_cndmask_b32_e32 v0, 0xff800000, v0, vcc_lo
	v_cmp_eq_u32_e32 vcc_lo, 0, v3
	s_delay_alu instid0(VALU_DEP_2)
	v_cndmask_b32_e32 v2, 0x7f800001, v0, vcc_lo
; %bb.8525:                             ;   in Loop: Header=BB6_8449 Depth=2
	s_or_b32 exec_lo, exec_lo, s40
.LBB6_8526:                             ;   in Loop: Header=BB6_8449 Depth=2
	s_delay_alu instid0(SALU_CYCLE_1)
	s_or_b32 exec_lo, exec_lo, s29
.LBB6_8527:                             ;   in Loop: Header=BB6_8449 Depth=2
	s_delay_alu instid0(SALU_CYCLE_1) | instskip(NEXT) | instid1(VALU_DEP_1)
	s_or_b32 exec_lo, exec_lo, s7
	v_dual_mul_f32 v2, s28, v2 :: v_dual_mov_b32 v5, v1
                                        ; implicit-def: $vgpr28
	s_mov_b32 s7, exec_lo
	s_delay_alu instid0(VALU_DEP_1) | instskip(SKIP_2) | instid1(VALU_DEP_3)
	v_and_b32_e32 v4, 0x7f800000, v2
	v_and_b32_e32 v0, 0x7fffff, v2
	v_lshrrev_b32_e32 v3, 24, v2
	v_cmpx_ne_u64_e32 0x7f800000, v[4:5]
	s_xor_b32 s29, exec_lo, s7
	s_cbranch_execz .LBB6_8541
; %bb.8528:                             ;   in Loop: Header=BB6_8449 Depth=2
	v_and_b32_e32 v4, 0x7fffffff, v2
	v_mov_b32_e32 v5, v1
	v_and_b32_e32 v8, 0x80, v3
                                        ; implicit-def: $vgpr28
	s_mov_b32 s7, exec_lo
	s_delay_alu instid0(VALU_DEP_2)
	v_cmpx_gt_u64_e32 0x47600001, v[4:5]
	s_xor_b32 s40, exec_lo, s7
	s_cbranch_execz .LBB6_8538
; %bb.8529:                             ;   in Loop: Header=BB6_8449 Depth=2
	v_mov_b32_e32 v28, 0
	s_mov_b32 s41, exec_lo
	v_cmpx_ne_u32_e32 0, v2
	s_cbranch_execz .LBB6_8537
; %bb.8530:                             ;   in Loop: Header=BB6_8449 Depth=2
	v_bfe_u32 v14, v2, 23, 8
	v_or_b32_e32 v4, 0x800000, v0
	s_mov_b32 s42, exec_lo
	s_delay_alu instid0(VALU_DEP_2) | instskip(SKIP_1) | instid1(VALU_DEP_2)
	v_dual_mov_b32 v5, v1 :: v_dual_sub_nc_u32 v2, 0x71, v14
	v_cmp_gt_u32_e32 vcc_lo, 0x72, v14
	v_cndmask_b32_e32 v2, 0, v2, vcc_lo
	v_cmp_eq_u32_e32 vcc_lo, 0, v14
	s_delay_alu instid0(VALU_DEP_2) | instskip(NEXT) | instid1(VALU_DEP_1)
	v_cndmask_b32_e64 v15, v2, 0x70, vcc_lo
	v_dual_cndmask_b32 v4, v4, v0, vcc_lo :: v_dual_add_nc_u32 v2, 21, v15
	v_add_nc_u32_e32 v16, 20, v15
	s_delay_alu instid0(VALU_DEP_2) | instskip(NEXT) | instid1(VALU_DEP_2)
	v_lshlrev_b64_e64 v[2:3], v2, -1
	v_lshlrev_b64_e64 v[16:17], v16, 1
	s_delay_alu instid0(VALU_DEP_2) | instskip(NEXT) | instid1(VALU_DEP_3)
	v_bfi_b32 v19, v3, 0, 0
	v_bfi_b32 v18, v2, 0, v4
	v_lshrrev_b64 v[2:3], v15, v[4:5]
	s_delay_alu instid0(VALU_DEP_1) | instskip(NEXT) | instid1(VALU_DEP_3)
	v_mov_b64_e32 v[4:5], v[2:3]
	v_cmpx_eq_u64_e64 v[18:19], v[16:17]
; %bb.8531:                             ;   in Loop: Header=BB6_8449 Depth=2
	v_bfe_u32 v4, v2, 21, 1
	v_mov_b32_e32 v5, v1
	s_delay_alu instid0(VALU_DEP_1) | instskip(NEXT) | instid1(VALU_DEP_1)
	v_add_nc_u64_e32 v[4:5], v[2:3], v[4:5]
	v_add_nc_u64_e32 v[4:5], -1, v[4:5]
; %bb.8532:                             ;   in Loop: Header=BB6_8449 Depth=2
	s_or_b32 exec_lo, exec_lo, s42
	v_add_nc_u32_e32 v0, 0xffffff81, v14
	v_lshrrev_b32_e32 v3, 23, v2
	s_mov_b32 s7, exec_lo
	s_delay_alu instid0(VALU_DEP_2) | instskip(NEXT) | instid1(VALU_DEP_1)
	v_cndmask_b32_e64 v0, v0, 0xffffff82, vcc_lo
	v_add3_u32 v5, v15, v0, v3
	v_and_b32_e32 v0, 0x1fffff, v4
                                        ; implicit-def: $vgpr4
	s_delay_alu instid0(VALU_DEP_1) | instskip(NEXT) | instid1(VALU_DEP_1)
	v_dual_add_nc_u32 v14, 14, v5 :: v_dual_add_nc_u32 v0, v0, v2
                                        ; implicit-def: $vgpr2_vgpr3
	v_cmpx_ne_u32_e32 0, v14
	s_xor_b32 s7, exec_lo, s7
; %bb.8533:                             ;   in Loop: Header=BB6_8449 Depth=2
	s_delay_alu instid0(VALU_DEP_2) | instskip(SKIP_1) | instid1(VALU_DEP_1)
	v_cmp_lt_u64_e32 vcc_lo, 0xffffff, v[0:1]
	v_add_nc_u32_e32 v2, 15, v5
	v_cndmask_b32_e32 v4, v14, v2, vcc_lo
	v_cndmask_b32_e64 v2, 0, 1, vcc_lo
	s_delay_alu instid0(VALU_DEP_1)
	v_lshrrev_b64 v[2:3], v2, v[0:1]
; %bb.8534:                             ;   in Loop: Header=BB6_8449 Depth=2
	s_and_not1_saveexec_b32 s7, s7
; %bb.8535:                             ;   in Loop: Header=BB6_8449 Depth=2
	v_mov_b64_e32 v[2:3], v[0:1]
	v_bfe_u32 v4, v0, 23, 1
; %bb.8536:                             ;   in Loop: Header=BB6_8449 Depth=2
	s_or_b32 exec_lo, exec_lo, s7
	s_delay_alu instid0(VALU_DEP_2) | instskip(NEXT) | instid1(VALU_DEP_2)
	v_lshrrev_b64 v[2:3], 21, v[2:3]
	v_cmp_gt_i32_e32 vcc_lo, 32, v4
	v_min_i32_e32 v0, 31, v4
	v_cmp_eq_u32_e64 s7, 0, v4
	s_delay_alu instid0(VALU_DEP_2) | instskip(SKIP_1) | instid1(VALU_DEP_2)
	v_dual_cndmask_b32 v3, 0, v3 :: v_dual_lshlrev_b32 v0, 2, v0
	v_cndmask_b32_e32 v2, 3, v2, vcc_lo
	v_and_b32_e32 v0, 0xfc, v0
	s_delay_alu instid0(VALU_DEP_2) | instskip(NEXT) | instid1(VALU_DEP_2)
	v_cmp_eq_u64_e32 vcc_lo, 0, v[2:3]
	v_and_or_b32 v0, v2, 3, v0
	s_and_b32 s7, s7, vcc_lo
	s_delay_alu instid0(VALU_DEP_1) | instid1(SALU_CYCLE_1)
	v_cndmask_b32_e64 v0, v0, 0, s7
	s_delay_alu instid0(VALU_DEP_1)
	v_or_b32_e32 v28, v0, v8
.LBB6_8537:                             ;   in Loop: Header=BB6_8449 Depth=2
	s_or_b32 exec_lo, exec_lo, s41
                                        ; implicit-def: $vgpr8
.LBB6_8538:                             ;   in Loop: Header=BB6_8449 Depth=2
	s_and_not1_saveexec_b32 s7, s40
; %bb.8539:                             ;   in Loop: Header=BB6_8449 Depth=2
	v_or_b32_e32 v28, 0x7b, v8
; %bb.8540:                             ;   in Loop: Header=BB6_8449 Depth=2
	s_or_b32 exec_lo, exec_lo, s7
                                        ; implicit-def: $vgpr2
                                        ; implicit-def: $vgpr3
.LBB6_8541:                             ;   in Loop: Header=BB6_8449 Depth=2
	s_and_not1_saveexec_b32 s7, s29
	s_cbranch_execz .LBB6_8547
; %bb.8542:                             ;   in Loop: Header=BB6_8449 Depth=2
	s_mov_b32 s29, exec_lo
                                        ; implicit-def: $vgpr28
	v_cmpx_ne_u64_e32 0, v[0:1]
	s_xor_b32 s29, exec_lo, s29
; %bb.8543:                             ;   in Loop: Header=BB6_8449 Depth=2
	v_or_b32_e32 v28, 0x7f, v3
                                        ; implicit-def: $vgpr2
; %bb.8544:                             ;   in Loop: Header=BB6_8449 Depth=2
	s_and_not1_saveexec_b32 s29, s29
; %bb.8545:                             ;   in Loop: Header=BB6_8449 Depth=2
	v_cmp_lt_i32_e32 vcc_lo, -1, v2
	v_mov_b32_e32 v0, 0x7c
	s_delay_alu instid0(VALU_DEP_1)
	v_cndmask_b32_e32 v28, 0xfc, v0, vcc_lo
; %bb.8546:                             ;   in Loop: Header=BB6_8449 Depth=2
	s_or_b32 exec_lo, exec_lo, s29
.LBB6_8547:                             ;   in Loop: Header=BB6_8449 Depth=2
	s_delay_alu instid0(SALU_CYCLE_1)
	s_or_b32 exec_lo, exec_lo, s7
	v_mov_b32_e32 v2, 0
	s_mov_b32 s7, exec_lo
	v_cmpx_lt_u32_e32 0xffffff, v10
	s_cbranch_execz .LBB6_8557
; %bb.8548:                             ;   in Loop: Header=BB6_8449 Depth=2
	v_lshrrev_b32_e32 v0, 24, v10
	v_bfrev_b32_e32 v2, 1
	s_mov_b32 s29, exec_lo
	s_delay_alu instid0(VALU_DEP_2)
	v_cmpx_ne_u32_e32 0x80, v0
	s_cbranch_execz .LBB6_8556
; %bb.8549:                             ;   in Loop: Header=BB6_8449 Depth=2
	v_and_b32_e32 v2, 0x7c000000, v10
	v_bfe_u32 v3, v10, 24, 2
	s_delay_alu instid0(VALU_DEP_2) | instskip(SKIP_1) | instid1(SALU_CYCLE_1)
	v_cmp_ne_u32_e32 vcc_lo, 0x7c000000, v2
                                        ; implicit-def: $vgpr2
	s_and_saveexec_b32 s40, vcc_lo
	s_xor_b32 s40, exec_lo, s40
	s_cbranch_execz .LBB6_8553
; %bb.8550:                             ;   in Loop: Header=BB6_8449 Depth=2
	v_bfe_u32 v2, v10, 26, 5
	s_mov_b32 s41, exec_lo
	s_delay_alu instid0(VALU_DEP_1)
	v_cmpx_eq_u32_e32 0, v2
; %bb.8551:                             ;   in Loop: Header=BB6_8449 Depth=2
	v_clz_i32_u32_e32 v2, v3
	s_delay_alu instid0(VALU_DEP_1) | instskip(NEXT) | instid1(VALU_DEP_1)
	v_min_u32_e32 v2, 32, v2
	v_subrev_nc_u32_e32 v3, 29, v2
	s_delay_alu instid0(VALU_DEP_1) | instskip(NEXT) | instid1(VALU_DEP_1)
	v_lshlrev_b64_e32 v[4:5], v3, v[0:1]
	v_dual_sub_nc_u32 v2, 30, v2 :: v_dual_bitop2_b32 v3, 3, v4 bitop3:0x40
; %bb.8552:                             ;   in Loop: Header=BB6_8449 Depth=2
	s_or_b32 exec_lo, exec_lo, s41
	v_and_b32_e32 v0, 0x80000000, v10
	s_delay_alu instid0(VALU_DEP_1) | instskip(NEXT) | instid1(VALU_DEP_1)
	v_lshl_add_u32 v0, v2, 23, v0
	v_lshl_or_b32 v0, v3, 21, v0
                                        ; implicit-def: $vgpr3
	s_delay_alu instid0(VALU_DEP_1)
	v_add_nc_u32_e32 v2, 0x38000000, v0
.LBB6_8553:                             ;   in Loop: Header=BB6_8449 Depth=2
	s_and_not1_saveexec_b32 s40, s40
; %bb.8554:                             ;   in Loop: Header=BB6_8449 Depth=2
	v_cmp_lt_i32_e32 vcc_lo, -1, v10
	v_mov_b32_e32 v0, 0x7f800000
	s_delay_alu instid0(VALU_DEP_1) | instskip(SKIP_1) | instid1(VALU_DEP_2)
	v_cndmask_b32_e32 v0, 0xff800000, v0, vcc_lo
	v_cmp_eq_u32_e32 vcc_lo, 0, v3
	v_cndmask_b32_e32 v2, 0x7f800001, v0, vcc_lo
; %bb.8555:                             ;   in Loop: Header=BB6_8449 Depth=2
	s_or_b32 exec_lo, exec_lo, s40
.LBB6_8556:                             ;   in Loop: Header=BB6_8449 Depth=2
	s_delay_alu instid0(SALU_CYCLE_1)
	s_or_b32 exec_lo, exec_lo, s29
.LBB6_8557:                             ;   in Loop: Header=BB6_8449 Depth=2
	s_delay_alu instid0(SALU_CYCLE_1) | instskip(NEXT) | instid1(VALU_DEP_1)
	s_or_b32 exec_lo, exec_lo, s7
	v_dual_mul_f32 v2, s28, v2 :: v_dual_mov_b32 v5, v1
                                        ; implicit-def: $vgpr32
	s_mov_b32 s7, exec_lo
	s_delay_alu instid0(VALU_DEP_1) | instskip(SKIP_2) | instid1(VALU_DEP_3)
	v_and_b32_e32 v4, 0x7f800000, v2
	v_and_b32_e32 v0, 0x7fffff, v2
	v_lshrrev_b32_e32 v3, 24, v2
	v_cmpx_ne_u64_e32 0x7f800000, v[4:5]
	s_xor_b32 s29, exec_lo, s7
	s_cbranch_execz .LBB6_8571
; %bb.8558:                             ;   in Loop: Header=BB6_8449 Depth=2
	v_and_b32_e32 v4, 0x7fffffff, v2
	v_mov_b32_e32 v5, v1
	v_and_b32_e32 v8, 0x80, v3
                                        ; implicit-def: $vgpr32
	s_mov_b32 s7, exec_lo
	s_delay_alu instid0(VALU_DEP_2)
	v_cmpx_gt_u64_e32 0x47600001, v[4:5]
	s_xor_b32 s40, exec_lo, s7
	s_cbranch_execz .LBB6_8568
; %bb.8559:                             ;   in Loop: Header=BB6_8449 Depth=2
	v_mov_b32_e32 v32, 0
	s_mov_b32 s41, exec_lo
	v_cmpx_ne_u32_e32 0, v2
	s_cbranch_execz .LBB6_8567
; %bb.8560:                             ;   in Loop: Header=BB6_8449 Depth=2
	v_bfe_u32 v14, v2, 23, 8
	v_or_b32_e32 v4, 0x800000, v0
	s_mov_b32 s42, exec_lo
	s_delay_alu instid0(VALU_DEP_2) | instskip(SKIP_1) | instid1(VALU_DEP_2)
	v_dual_mov_b32 v5, v1 :: v_dual_sub_nc_u32 v2, 0x71, v14
	v_cmp_gt_u32_e32 vcc_lo, 0x72, v14
	v_cndmask_b32_e32 v2, 0, v2, vcc_lo
	v_cmp_eq_u32_e32 vcc_lo, 0, v14
	s_delay_alu instid0(VALU_DEP_2) | instskip(NEXT) | instid1(VALU_DEP_1)
	v_cndmask_b32_e64 v15, v2, 0x70, vcc_lo
	v_dual_cndmask_b32 v4, v4, v0, vcc_lo :: v_dual_add_nc_u32 v2, 21, v15
	v_add_nc_u32_e32 v16, 20, v15
	s_delay_alu instid0(VALU_DEP_2) | instskip(NEXT) | instid1(VALU_DEP_2)
	v_lshlrev_b64_e64 v[2:3], v2, -1
	v_lshlrev_b64_e64 v[16:17], v16, 1
	s_delay_alu instid0(VALU_DEP_2) | instskip(NEXT) | instid1(VALU_DEP_3)
	v_bfi_b32 v19, v3, 0, 0
	v_bfi_b32 v18, v2, 0, v4
	v_lshrrev_b64 v[2:3], v15, v[4:5]
	s_delay_alu instid0(VALU_DEP_1) | instskip(NEXT) | instid1(VALU_DEP_3)
	v_mov_b64_e32 v[4:5], v[2:3]
	v_cmpx_eq_u64_e64 v[18:19], v[16:17]
; %bb.8561:                             ;   in Loop: Header=BB6_8449 Depth=2
	v_bfe_u32 v4, v2, 21, 1
	v_mov_b32_e32 v5, v1
	s_delay_alu instid0(VALU_DEP_1) | instskip(NEXT) | instid1(VALU_DEP_1)
	v_add_nc_u64_e32 v[4:5], v[2:3], v[4:5]
	v_add_nc_u64_e32 v[4:5], -1, v[4:5]
; %bb.8562:                             ;   in Loop: Header=BB6_8449 Depth=2
	s_or_b32 exec_lo, exec_lo, s42
	v_add_nc_u32_e32 v0, 0xffffff81, v14
	v_lshrrev_b32_e32 v3, 23, v2
	s_mov_b32 s7, exec_lo
	s_delay_alu instid0(VALU_DEP_2) | instskip(NEXT) | instid1(VALU_DEP_1)
	v_cndmask_b32_e64 v0, v0, 0xffffff82, vcc_lo
	v_add3_u32 v5, v15, v0, v3
	v_and_b32_e32 v0, 0x1fffff, v4
                                        ; implicit-def: $vgpr4
	s_delay_alu instid0(VALU_DEP_1) | instskip(NEXT) | instid1(VALU_DEP_1)
	v_dual_add_nc_u32 v14, 14, v5 :: v_dual_add_nc_u32 v0, v0, v2
                                        ; implicit-def: $vgpr2_vgpr3
	v_cmpx_ne_u32_e32 0, v14
	s_xor_b32 s7, exec_lo, s7
; %bb.8563:                             ;   in Loop: Header=BB6_8449 Depth=2
	s_delay_alu instid0(VALU_DEP_2) | instskip(SKIP_1) | instid1(VALU_DEP_1)
	v_cmp_lt_u64_e32 vcc_lo, 0xffffff, v[0:1]
	v_add_nc_u32_e32 v2, 15, v5
	v_cndmask_b32_e32 v4, v14, v2, vcc_lo
	v_cndmask_b32_e64 v2, 0, 1, vcc_lo
	s_delay_alu instid0(VALU_DEP_1)
	v_lshrrev_b64 v[2:3], v2, v[0:1]
; %bb.8564:                             ;   in Loop: Header=BB6_8449 Depth=2
	s_and_not1_saveexec_b32 s7, s7
; %bb.8565:                             ;   in Loop: Header=BB6_8449 Depth=2
	v_mov_b64_e32 v[2:3], v[0:1]
	v_bfe_u32 v4, v0, 23, 1
; %bb.8566:                             ;   in Loop: Header=BB6_8449 Depth=2
	s_or_b32 exec_lo, exec_lo, s7
	s_delay_alu instid0(VALU_DEP_2) | instskip(NEXT) | instid1(VALU_DEP_2)
	v_lshrrev_b64 v[2:3], 21, v[2:3]
	v_cmp_gt_i32_e32 vcc_lo, 32, v4
	v_min_i32_e32 v0, 31, v4
	v_cmp_eq_u32_e64 s7, 0, v4
	s_delay_alu instid0(VALU_DEP_2) | instskip(SKIP_1) | instid1(VALU_DEP_2)
	v_dual_cndmask_b32 v3, 0, v3 :: v_dual_lshlrev_b32 v0, 2, v0
	v_cndmask_b32_e32 v2, 3, v2, vcc_lo
	v_and_b32_e32 v0, 0xfc, v0
	s_delay_alu instid0(VALU_DEP_2) | instskip(NEXT) | instid1(VALU_DEP_2)
	v_cmp_eq_u64_e32 vcc_lo, 0, v[2:3]
	v_and_or_b32 v0, v2, 3, v0
	s_and_b32 s7, s7, vcc_lo
	s_delay_alu instid0(VALU_DEP_1) | instid1(SALU_CYCLE_1)
	v_cndmask_b32_e64 v0, v0, 0, s7
	s_delay_alu instid0(VALU_DEP_1)
	v_or_b32_e32 v32, v0, v8
.LBB6_8567:                             ;   in Loop: Header=BB6_8449 Depth=2
	s_or_b32 exec_lo, exec_lo, s41
                                        ; implicit-def: $vgpr8
.LBB6_8568:                             ;   in Loop: Header=BB6_8449 Depth=2
	s_and_not1_saveexec_b32 s7, s40
; %bb.8569:                             ;   in Loop: Header=BB6_8449 Depth=2
	v_or_b32_e32 v32, 0x7b, v8
; %bb.8570:                             ;   in Loop: Header=BB6_8449 Depth=2
	s_or_b32 exec_lo, exec_lo, s7
                                        ; implicit-def: $vgpr2
                                        ; implicit-def: $vgpr3
.LBB6_8571:                             ;   in Loop: Header=BB6_8449 Depth=2
	s_and_not1_saveexec_b32 s7, s29
	s_cbranch_execz .LBB6_8577
; %bb.8572:                             ;   in Loop: Header=BB6_8449 Depth=2
	s_mov_b32 s29, exec_lo
                                        ; implicit-def: $vgpr32
	v_cmpx_ne_u64_e32 0, v[0:1]
	s_xor_b32 s29, exec_lo, s29
; %bb.8573:                             ;   in Loop: Header=BB6_8449 Depth=2
	v_or_b32_e32 v32, 0x7f, v3
                                        ; implicit-def: $vgpr2
; %bb.8574:                             ;   in Loop: Header=BB6_8449 Depth=2
	s_and_not1_saveexec_b32 s29, s29
; %bb.8575:                             ;   in Loop: Header=BB6_8449 Depth=2
	v_cmp_lt_i32_e32 vcc_lo, -1, v2
	v_mov_b32_e32 v0, 0x7c
	s_delay_alu instid0(VALU_DEP_1)
	v_cndmask_b32_e32 v32, 0xfc, v0, vcc_lo
; %bb.8576:                             ;   in Loop: Header=BB6_8449 Depth=2
	s_or_b32 exec_lo, exec_lo, s29
.LBB6_8577:                             ;   in Loop: Header=BB6_8449 Depth=2
	s_delay_alu instid0(SALU_CYCLE_1) | instskip(SKIP_3) | instid1(VALU_DEP_2)
	s_or_b32 exec_lo, exec_lo, s7
	v_and_b32_e32 v3, 0xff, v11
	v_dual_mov_b32 v0, v11 :: v_dual_mov_b32 v2, 0
	s_mov_b32 s7, exec_lo
	v_cmpx_ne_u16_e32 0, v3
	s_cbranch_execz .LBB6_8587
; %bb.8578:                             ;   in Loop: Header=BB6_8449 Depth=2
	v_bfrev_b32_e32 v2, 1
	s_mov_b32 s29, exec_lo
	v_cmpx_ne_u16_e32 0x80, v3
	s_cbranch_execz .LBB6_8586
; %bb.8579:                             ;   in Loop: Header=BB6_8449 Depth=2
	v_and_b32_e32 v2, 0x7c, v11
	v_and_b32_e32 v3, 3, v11
	s_delay_alu instid0(VALU_DEP_2) | instskip(SKIP_1) | instid1(SALU_CYCLE_1)
	v_cmp_ne_u32_e32 vcc_lo, 0x7c, v2
                                        ; implicit-def: $vgpr2
	s_and_saveexec_b32 s40, vcc_lo
	s_xor_b32 s40, exec_lo, s40
	s_cbranch_execz .LBB6_8583
; %bb.8580:                             ;   in Loop: Header=BB6_8449 Depth=2
	v_bfe_u32 v2, v11, 2, 5
	s_mov_b32 s41, exec_lo
	s_delay_alu instid0(VALU_DEP_1)
	v_cmpx_eq_u32_e32 0, v2
; %bb.8581:                             ;   in Loop: Header=BB6_8449 Depth=2
	v_clz_i32_u32_e32 v2, v3
	s_delay_alu instid0(VALU_DEP_1) | instskip(NEXT) | instid1(VALU_DEP_1)
	v_min_u32_e32 v2, 32, v2
	v_subrev_nc_u32_e32 v3, 29, v2
	s_delay_alu instid0(VALU_DEP_1) | instskip(NEXT) | instid1(VALU_DEP_1)
	v_lshlrev_b64_e32 v[4:5], v3, v[0:1]
	v_dual_sub_nc_u32 v2, 30, v2 :: v_dual_bitop2_b32 v3, 3, v4 bitop3:0x40
; %bb.8582:                             ;   in Loop: Header=BB6_8449 Depth=2
	s_or_b32 exec_lo, exec_lo, s41
	v_lshlrev_b32_e32 v4, 24, v11
	s_delay_alu instid0(VALU_DEP_1) | instskip(NEXT) | instid1(VALU_DEP_1)
	v_and_b32_e32 v4, 0x80000000, v4
	v_lshl_add_u32 v2, v2, 23, v4
	s_delay_alu instid0(VALU_DEP_1) | instskip(NEXT) | instid1(VALU_DEP_1)
	v_lshl_or_b32 v2, v3, 21, v2
                                        ; implicit-def: $vgpr3
	v_add_nc_u32_e32 v2, 0x38000000, v2
.LBB6_8583:                             ;   in Loop: Header=BB6_8449 Depth=2
	s_and_not1_saveexec_b32 s40, s40
; %bb.8584:                             ;   in Loop: Header=BB6_8449 Depth=2
	v_bfe_i32 v2, v11, 0, 8
	s_delay_alu instid0(VALU_DEP_1) | instskip(SKIP_1) | instid1(VALU_DEP_1)
	v_cmp_lt_i16_e32 vcc_lo, -1, v2
	v_mov_b32_e32 v2, 0x7f800000
	v_cndmask_b32_e32 v2, 0xff800000, v2, vcc_lo
	v_cmp_eq_u32_e32 vcc_lo, 0, v3
	s_delay_alu instid0(VALU_DEP_2)
	v_cndmask_b32_e32 v2, 0x7f800001, v2, vcc_lo
; %bb.8585:                             ;   in Loop: Header=BB6_8449 Depth=2
	s_or_b32 exec_lo, exec_lo, s40
.LBB6_8586:                             ;   in Loop: Header=BB6_8449 Depth=2
	s_delay_alu instid0(SALU_CYCLE_1)
	s_or_b32 exec_lo, exec_lo, s29
.LBB6_8587:                             ;   in Loop: Header=BB6_8449 Depth=2
	s_delay_alu instid0(SALU_CYCLE_1) | instskip(NEXT) | instid1(VALU_DEP_1)
	s_or_b32 exec_lo, exec_lo, s7
	v_dual_mul_f32 v4, s28, v2 :: v_dual_mov_b32 v15, v1
	v_mov_b32_e32 v3, v1
                                        ; implicit-def: $vgpr39
	s_mov_b32 s7, exec_lo
	s_delay_alu instid0(VALU_DEP_2) | instskip(SKIP_2) | instid1(VALU_DEP_3)
	v_and_b32_e32 v14, 0x7f800000, v4
	v_and_b32_e32 v2, 0x7fffff, v4
	v_lshrrev_b32_e32 v5, 24, v4
	v_cmpx_ne_u64_e32 0x7f800000, v[14:15]
	s_xor_b32 s29, exec_lo, s7
	s_cbranch_execz .LBB6_8601
; %bb.8588:                             ;   in Loop: Header=BB6_8449 Depth=2
	v_and_b32_e32 v14, 0x7fffffff, v4
	v_mov_b32_e32 v15, v1
	v_and_b32_e32 v8, 0x80, v5
                                        ; implicit-def: $vgpr39
	s_mov_b32 s7, exec_lo
	s_delay_alu instid0(VALU_DEP_2)
	v_cmpx_gt_u64_e32 0x47600001, v[14:15]
	s_xor_b32 s40, exec_lo, s7
	s_cbranch_execz .LBB6_8598
; %bb.8589:                             ;   in Loop: Header=BB6_8449 Depth=2
	v_mov_b32_e32 v39, 0
	s_mov_b32 s41, exec_lo
	v_cmpx_ne_u32_e32 0, v4
	s_cbranch_execz .LBB6_8597
; %bb.8590:                             ;   in Loop: Header=BB6_8449 Depth=2
	v_bfe_u32 v14, v4, 23, 8
	v_or_b32_e32 v16, 0x800000, v2
	s_delay_alu instid0(VALU_DEP_2) | instskip(SKIP_1) | instid1(VALU_DEP_2)
	v_sub_nc_u32_e32 v4, 0x71, v14
	v_cmp_gt_u32_e32 vcc_lo, 0x72, v14
	v_cndmask_b32_e32 v4, 0, v4, vcc_lo
	v_cmp_eq_u32_e32 vcc_lo, 0, v14
	s_delay_alu instid0(VALU_DEP_2) | instskip(NEXT) | instid1(VALU_DEP_1)
	v_cndmask_b32_e64 v15, v4, 0x70, vcc_lo
	v_dual_cndmask_b32 v2, v16, v2, vcc_lo :: v_dual_add_nc_u32 v4, 21, v15
	v_add_nc_u32_e32 v17, 20, v15
	s_delay_alu instid0(VALU_DEP_2) | instskip(NEXT) | instid1(VALU_DEP_2)
	v_lshlrev_b64_e64 v[4:5], v4, -1
	v_lshlrev_b64_e64 v[16:17], v17, 1
	s_delay_alu instid0(VALU_DEP_2) | instskip(SKIP_1) | instid1(VALU_DEP_4)
	v_bfi_b32 v4, v4, 0, v2
	v_lshrrev_b64 v[2:3], v15, v[2:3]
	v_bfi_b32 v5, v5, 0, 0
	s_delay_alu instid0(VALU_DEP_1) | instskip(NEXT) | instid1(VALU_DEP_3)
	v_cmp_eq_u64_e64 s7, v[4:5], v[16:17]
	v_mov_b64_e32 v[4:5], v[2:3]
	s_and_saveexec_b32 s42, s7
; %bb.8591:                             ;   in Loop: Header=BB6_8449 Depth=2
	v_bfe_u32 v4, v2, 21, 1
	v_mov_b32_e32 v5, v1
	s_delay_alu instid0(VALU_DEP_1) | instskip(NEXT) | instid1(VALU_DEP_1)
	v_add_nc_u64_e32 v[4:5], v[2:3], v[4:5]
	v_add_nc_u64_e32 v[4:5], -1, v[4:5]
; %bb.8592:                             ;   in Loop: Header=BB6_8449 Depth=2
	s_or_b32 exec_lo, exec_lo, s42
	v_add_nc_u32_e32 v3, 0xffffff81, v14
	v_lshrrev_b32_e32 v5, 23, v2
	s_mov_b32 s7, exec_lo
	s_delay_alu instid0(VALU_DEP_2) | instskip(NEXT) | instid1(VALU_DEP_1)
	v_cndmask_b32_e64 v3, v3, 0xffffff82, vcc_lo
	v_add3_u32 v5, v15, v3, v5
	v_and_b32_e32 v3, 0x1fffff, v4
                                        ; implicit-def: $vgpr4
	s_delay_alu instid0(VALU_DEP_1) | instskip(SKIP_1) | instid1(VALU_DEP_2)
	v_dual_add_nc_u32 v14, 14, v5 :: v_dual_add_nc_u32 v2, v3, v2
	v_mov_b32_e32 v3, v1
	v_cmpx_ne_u32_e32 0, v14
	s_xor_b32 s7, exec_lo, s7
; %bb.8593:                             ;   in Loop: Header=BB6_8449 Depth=2
	s_delay_alu instid0(VALU_DEP_2) | instskip(SKIP_2) | instid1(VALU_DEP_2)
	v_cmp_lt_u64_e32 vcc_lo, 0xffffff, v[2:3]
	v_add_nc_u32_e32 v4, 15, v5
	v_cndmask_b32_e64 v5, 0, 1, vcc_lo
	v_cndmask_b32_e32 v4, v14, v4, vcc_lo
	s_delay_alu instid0(VALU_DEP_2)
	v_lshrrev_b64 v[2:3], v5, v[2:3]
; %bb.8594:                             ;   in Loop: Header=BB6_8449 Depth=2
	s_and_not1_saveexec_b32 s7, s7
; %bb.8595:                             ;   in Loop: Header=BB6_8449 Depth=2
	s_delay_alu instid0(VALU_DEP_1)
	v_bfe_u32 v4, v2, 23, 1
; %bb.8596:                             ;   in Loop: Header=BB6_8449 Depth=2
	s_or_b32 exec_lo, exec_lo, s7
	s_delay_alu instid0(VALU_DEP_2) | instskip(NEXT) | instid1(VALU_DEP_2)
	v_lshrrev_b64 v[2:3], 21, v[2:3]
	v_cmp_gt_i32_e32 vcc_lo, 32, v4
	v_min_i32_e32 v5, 31, v4
	v_cmp_eq_u32_e64 s7, 0, v4
	s_delay_alu instid0(VALU_DEP_2) | instskip(SKIP_1) | instid1(VALU_DEP_2)
	v_dual_cndmask_b32 v3, 0, v3, vcc_lo :: v_dual_lshlrev_b32 v5, 2, v5
	v_cndmask_b32_e32 v2, 3, v2, vcc_lo
	v_and_b32_e32 v5, 0xfc, v5
	s_delay_alu instid0(VALU_DEP_2) | instskip(NEXT) | instid1(VALU_DEP_2)
	v_cmp_eq_u64_e32 vcc_lo, 0, v[2:3]
	v_and_or_b32 v2, v2, 3, v5
	s_and_b32 s7, s7, vcc_lo
	s_delay_alu instid0(VALU_DEP_1) | instid1(SALU_CYCLE_1)
	v_cndmask_b32_e64 v2, v2, 0, s7
	s_delay_alu instid0(VALU_DEP_1)
	v_or_b32_e32 v39, v2, v8
.LBB6_8597:                             ;   in Loop: Header=BB6_8449 Depth=2
	s_or_b32 exec_lo, exec_lo, s41
                                        ; implicit-def: $vgpr8
.LBB6_8598:                             ;   in Loop: Header=BB6_8449 Depth=2
	s_and_not1_saveexec_b32 s7, s40
; %bb.8599:                             ;   in Loop: Header=BB6_8449 Depth=2
	v_or_b32_e32 v39, 0x7b, v8
; %bb.8600:                             ;   in Loop: Header=BB6_8449 Depth=2
	s_or_b32 exec_lo, exec_lo, s7
                                        ; implicit-def: $vgpr4
                                        ; implicit-def: $vgpr2_vgpr3
                                        ; implicit-def: $vgpr5
.LBB6_8601:                             ;   in Loop: Header=BB6_8449 Depth=2
	s_and_not1_saveexec_b32 s7, s29
	s_cbranch_execz .LBB6_8607
; %bb.8602:                             ;   in Loop: Header=BB6_8449 Depth=2
	s_mov_b32 s29, exec_lo
                                        ; implicit-def: $vgpr39
	v_cmpx_ne_u64_e32 0, v[2:3]
	s_xor_b32 s29, exec_lo, s29
; %bb.8603:                             ;   in Loop: Header=BB6_8449 Depth=2
	v_or_b32_e32 v39, 0x7f, v5
                                        ; implicit-def: $vgpr4
; %bb.8604:                             ;   in Loop: Header=BB6_8449 Depth=2
	s_and_not1_saveexec_b32 s29, s29
; %bb.8605:                             ;   in Loop: Header=BB6_8449 Depth=2
	v_cmp_lt_i32_e32 vcc_lo, -1, v4
	v_mov_b32_e32 v2, 0x7c
	s_delay_alu instid0(VALU_DEP_1)
	v_cndmask_b32_e32 v39, 0xfc, v2, vcc_lo
; %bb.8606:                             ;   in Loop: Header=BB6_8449 Depth=2
	s_or_b32 exec_lo, exec_lo, s29
.LBB6_8607:                             ;   in Loop: Header=BB6_8449 Depth=2
	s_delay_alu instid0(SALU_CYCLE_1) | instskip(SKIP_3) | instid1(VALU_DEP_2)
	s_or_b32 exec_lo, exec_lo, s7
	v_lshrrev_b16 v2, 8, v0
	v_mov_b32_e32 v4, 0
	s_mov_b32 s7, exec_lo
	v_cmpx_ne_u16_e32 0, v2
	s_cbranch_execz .LBB6_8617
; %bb.8608:                             ;   in Loop: Header=BB6_8449 Depth=2
	v_bfrev_b32_e32 v4, 1
	s_mov_b32 s29, exec_lo
	v_cmpx_ne_u16_e32 0x80, v2
	s_cbranch_execz .LBB6_8616
; %bb.8609:                             ;   in Loop: Header=BB6_8449 Depth=2
	v_and_b32_e32 v5, 0xffff, v2
	s_delay_alu instid0(VALU_DEP_1) | instskip(SKIP_1) | instid1(VALU_DEP_2)
	v_and_b32_e32 v4, 0x7c, v5
	v_and_b32_e32 v3, 3, v5
	v_cmp_ne_u32_e32 vcc_lo, 0x7c, v4
                                        ; implicit-def: $vgpr4
	s_and_saveexec_b32 s40, vcc_lo
	s_delay_alu instid0(SALU_CYCLE_1)
	s_xor_b32 s40, exec_lo, s40
	s_cbranch_execz .LBB6_8613
; %bb.8610:                             ;   in Loop: Header=BB6_8449 Depth=2
	v_bfe_u32 v4, v5, 2, 5
	s_mov_b32 s41, exec_lo
	s_delay_alu instid0(VALU_DEP_1)
	v_cmpx_eq_u32_e32 0, v4
	s_cbranch_execz .LBB6_8612
; %bb.8611:                             ;   in Loop: Header=BB6_8449 Depth=2
	v_clz_i32_u32_e32 v3, v3
	s_delay_alu instid0(VALU_DEP_1) | instskip(SKIP_1) | instid1(VALU_DEP_2)
	v_min_u32_e32 v4, 32, v3
	v_mov_b32_e32 v3, v1
	v_subrev_nc_u32_e32 v5, 29, v4
	v_sub_nc_u32_e32 v4, 30, v4
	s_delay_alu instid0(VALU_DEP_2) | instskip(NEXT) | instid1(VALU_DEP_1)
	v_lshlrev_b64_e32 v[2:3], v5, v[2:3]
	v_and_b32_e32 v3, 3, v2
.LBB6_8612:                             ;   in Loop: Header=BB6_8449 Depth=2
	s_or_b32 exec_lo, exec_lo, s41
	v_lshlrev_b32_e32 v0, 16, v0
	s_delay_alu instid0(VALU_DEP_1) | instskip(NEXT) | instid1(VALU_DEP_1)
	v_and_b32_e32 v0, 0x80000000, v0
	v_lshl_add_u32 v0, v4, 23, v0
	s_delay_alu instid0(VALU_DEP_1) | instskip(NEXT) | instid1(VALU_DEP_1)
	v_lshl_or_b32 v0, v3, 21, v0
                                        ; implicit-def: $vgpr3
	v_add_nc_u32_e32 v4, 0x38000000, v0
.LBB6_8613:                             ;   in Loop: Header=BB6_8449 Depth=2
	s_and_not1_saveexec_b32 s40, s40
; %bb.8614:                             ;   in Loop: Header=BB6_8449 Depth=2
	v_cmp_lt_i16_e32 vcc_lo, -1, v0
	v_mov_b32_e32 v0, 0x7f800000
	s_delay_alu instid0(VALU_DEP_1) | instskip(SKIP_1) | instid1(VALU_DEP_2)
	v_cndmask_b32_e32 v0, 0xff800000, v0, vcc_lo
	v_cmp_eq_u32_e32 vcc_lo, 0, v3
	v_cndmask_b32_e32 v4, 0x7f800001, v0, vcc_lo
; %bb.8615:                             ;   in Loop: Header=BB6_8449 Depth=2
	s_or_b32 exec_lo, exec_lo, s40
.LBB6_8616:                             ;   in Loop: Header=BB6_8449 Depth=2
	s_delay_alu instid0(SALU_CYCLE_1)
	s_or_b32 exec_lo, exec_lo, s29
.LBB6_8617:                             ;   in Loop: Header=BB6_8449 Depth=2
	s_delay_alu instid0(SALU_CYCLE_1) | instskip(NEXT) | instid1(VALU_DEP_1)
	s_or_b32 exec_lo, exec_lo, s7
	v_dual_mul_f32 v2, s28, v4 :: v_dual_mov_b32 v5, v1
                                        ; implicit-def: $vgpr52
	s_mov_b32 s7, exec_lo
	s_delay_alu instid0(VALU_DEP_1) | instskip(SKIP_2) | instid1(VALU_DEP_3)
	v_and_b32_e32 v4, 0x7f800000, v2
	v_and_b32_e32 v0, 0x7fffff, v2
	v_lshrrev_b32_e32 v3, 24, v2
	v_cmpx_ne_u64_e32 0x7f800000, v[4:5]
	s_xor_b32 s29, exec_lo, s7
	s_cbranch_execz .LBB6_8631
; %bb.8618:                             ;   in Loop: Header=BB6_8449 Depth=2
	v_and_b32_e32 v4, 0x7fffffff, v2
	v_mov_b32_e32 v5, v1
	v_and_b32_e32 v8, 0x80, v3
                                        ; implicit-def: $vgpr52
	s_mov_b32 s7, exec_lo
	s_delay_alu instid0(VALU_DEP_2)
	v_cmpx_gt_u64_e32 0x47600001, v[4:5]
	s_xor_b32 s40, exec_lo, s7
	s_cbranch_execz .LBB6_8628
; %bb.8619:                             ;   in Loop: Header=BB6_8449 Depth=2
	v_mov_b32_e32 v52, 0
	s_mov_b32 s41, exec_lo
	v_cmpx_ne_u32_e32 0, v2
	s_cbranch_execz .LBB6_8627
; %bb.8620:                             ;   in Loop: Header=BB6_8449 Depth=2
	v_bfe_u32 v14, v2, 23, 8
	v_or_b32_e32 v4, 0x800000, v0
	s_mov_b32 s42, exec_lo
	s_delay_alu instid0(VALU_DEP_2) | instskip(SKIP_1) | instid1(VALU_DEP_2)
	v_dual_mov_b32 v5, v1 :: v_dual_sub_nc_u32 v2, 0x71, v14
	v_cmp_gt_u32_e32 vcc_lo, 0x72, v14
	v_cndmask_b32_e32 v2, 0, v2, vcc_lo
	v_cmp_eq_u32_e32 vcc_lo, 0, v14
	s_delay_alu instid0(VALU_DEP_2) | instskip(NEXT) | instid1(VALU_DEP_1)
	v_cndmask_b32_e64 v15, v2, 0x70, vcc_lo
	v_dual_cndmask_b32 v4, v4, v0, vcc_lo :: v_dual_add_nc_u32 v2, 21, v15
	v_add_nc_u32_e32 v16, 20, v15
	s_delay_alu instid0(VALU_DEP_2) | instskip(NEXT) | instid1(VALU_DEP_2)
	v_lshlrev_b64_e64 v[2:3], v2, -1
	v_lshlrev_b64_e64 v[16:17], v16, 1
	s_delay_alu instid0(VALU_DEP_2) | instskip(NEXT) | instid1(VALU_DEP_3)
	v_bfi_b32 v19, v3, 0, 0
	v_bfi_b32 v18, v2, 0, v4
	v_lshrrev_b64 v[2:3], v15, v[4:5]
	s_delay_alu instid0(VALU_DEP_1) | instskip(NEXT) | instid1(VALU_DEP_3)
	v_mov_b64_e32 v[4:5], v[2:3]
	v_cmpx_eq_u64_e64 v[18:19], v[16:17]
; %bb.8621:                             ;   in Loop: Header=BB6_8449 Depth=2
	v_bfe_u32 v4, v2, 21, 1
	v_mov_b32_e32 v5, v1
	s_delay_alu instid0(VALU_DEP_1) | instskip(NEXT) | instid1(VALU_DEP_1)
	v_add_nc_u64_e32 v[4:5], v[2:3], v[4:5]
	v_add_nc_u64_e32 v[4:5], -1, v[4:5]
; %bb.8622:                             ;   in Loop: Header=BB6_8449 Depth=2
	s_or_b32 exec_lo, exec_lo, s42
	v_add_nc_u32_e32 v0, 0xffffff81, v14
	v_lshrrev_b32_e32 v3, 23, v2
	s_mov_b32 s7, exec_lo
	s_delay_alu instid0(VALU_DEP_2) | instskip(NEXT) | instid1(VALU_DEP_1)
	v_cndmask_b32_e64 v0, v0, 0xffffff82, vcc_lo
	v_add3_u32 v5, v15, v0, v3
	v_and_b32_e32 v0, 0x1fffff, v4
                                        ; implicit-def: $vgpr4
	s_delay_alu instid0(VALU_DEP_1) | instskip(NEXT) | instid1(VALU_DEP_1)
	v_dual_add_nc_u32 v14, 14, v5 :: v_dual_add_nc_u32 v0, v0, v2
                                        ; implicit-def: $vgpr2_vgpr3
	v_cmpx_ne_u32_e32 0, v14
	s_xor_b32 s7, exec_lo, s7
; %bb.8623:                             ;   in Loop: Header=BB6_8449 Depth=2
	s_delay_alu instid0(VALU_DEP_2) | instskip(SKIP_1) | instid1(VALU_DEP_1)
	v_cmp_lt_u64_e32 vcc_lo, 0xffffff, v[0:1]
	v_add_nc_u32_e32 v2, 15, v5
	v_cndmask_b32_e32 v4, v14, v2, vcc_lo
	v_cndmask_b32_e64 v2, 0, 1, vcc_lo
	s_delay_alu instid0(VALU_DEP_1)
	v_lshrrev_b64 v[2:3], v2, v[0:1]
; %bb.8624:                             ;   in Loop: Header=BB6_8449 Depth=2
	s_and_not1_saveexec_b32 s7, s7
; %bb.8625:                             ;   in Loop: Header=BB6_8449 Depth=2
	v_mov_b64_e32 v[2:3], v[0:1]
	v_bfe_u32 v4, v0, 23, 1
; %bb.8626:                             ;   in Loop: Header=BB6_8449 Depth=2
	s_or_b32 exec_lo, exec_lo, s7
	s_delay_alu instid0(VALU_DEP_2) | instskip(NEXT) | instid1(VALU_DEP_2)
	v_lshrrev_b64 v[2:3], 21, v[2:3]
	v_cmp_gt_i32_e32 vcc_lo, 32, v4
	v_min_i32_e32 v0, 31, v4
	v_cmp_eq_u32_e64 s7, 0, v4
	s_delay_alu instid0(VALU_DEP_2) | instskip(SKIP_1) | instid1(VALU_DEP_2)
	v_dual_cndmask_b32 v3, 0, v3 :: v_dual_lshlrev_b32 v0, 2, v0
	v_cndmask_b32_e32 v2, 3, v2, vcc_lo
	v_and_b32_e32 v0, 0xfc, v0
	s_delay_alu instid0(VALU_DEP_2) | instskip(NEXT) | instid1(VALU_DEP_2)
	v_cmp_eq_u64_e32 vcc_lo, 0, v[2:3]
	v_and_or_b32 v0, v2, 3, v0
	s_and_b32 s7, s7, vcc_lo
	s_delay_alu instid0(VALU_DEP_1) | instid1(SALU_CYCLE_1)
	v_cndmask_b32_e64 v0, v0, 0, s7
	s_delay_alu instid0(VALU_DEP_1)
	v_or_b32_e32 v52, v0, v8
.LBB6_8627:                             ;   in Loop: Header=BB6_8449 Depth=2
	s_or_b32 exec_lo, exec_lo, s41
                                        ; implicit-def: $vgpr8
.LBB6_8628:                             ;   in Loop: Header=BB6_8449 Depth=2
	s_and_not1_saveexec_b32 s7, s40
; %bb.8629:                             ;   in Loop: Header=BB6_8449 Depth=2
	v_or_b32_e32 v52, 0x7b, v8
; %bb.8630:                             ;   in Loop: Header=BB6_8449 Depth=2
	s_or_b32 exec_lo, exec_lo, s7
                                        ; implicit-def: $vgpr2
                                        ; implicit-def: $vgpr3
.LBB6_8631:                             ;   in Loop: Header=BB6_8449 Depth=2
	s_and_not1_saveexec_b32 s7, s29
	s_cbranch_execz .LBB6_8637
; %bb.8632:                             ;   in Loop: Header=BB6_8449 Depth=2
	s_mov_b32 s29, exec_lo
                                        ; implicit-def: $vgpr52
	v_cmpx_ne_u64_e32 0, v[0:1]
	s_xor_b32 s29, exec_lo, s29
; %bb.8633:                             ;   in Loop: Header=BB6_8449 Depth=2
	v_or_b32_e32 v52, 0x7f, v3
                                        ; implicit-def: $vgpr2
; %bb.8634:                             ;   in Loop: Header=BB6_8449 Depth=2
	s_and_not1_saveexec_b32 s29, s29
; %bb.8635:                             ;   in Loop: Header=BB6_8449 Depth=2
	v_cmp_lt_i32_e32 vcc_lo, -1, v2
	v_mov_b32_e32 v0, 0x7c
	s_delay_alu instid0(VALU_DEP_1)
	v_cndmask_b32_e32 v52, 0xfc, v0, vcc_lo
; %bb.8636:                             ;   in Loop: Header=BB6_8449 Depth=2
	s_or_b32 exec_lo, exec_lo, s29
.LBB6_8637:                             ;   in Loop: Header=BB6_8449 Depth=2
	s_delay_alu instid0(SALU_CYCLE_1) | instskip(SKIP_2) | instid1(VALU_DEP_1)
	s_or_b32 exec_lo, exec_lo, s7
	v_dual_lshrrev_b32 v0, 16, v11 :: v_dual_mov_b32 v2, 0
	s_mov_b32 s7, exec_lo
	v_and_b32_e32 v3, 0xff, v0
	s_delay_alu instid0(VALU_DEP_1)
	v_cmpx_ne_u16_e32 0, v3
	s_cbranch_execz .LBB6_8647
; %bb.8638:                             ;   in Loop: Header=BB6_8449 Depth=2
	v_bfrev_b32_e32 v2, 1
	s_mov_b32 s29, exec_lo
	v_cmpx_ne_u16_e32 0x80, v3
	s_cbranch_execz .LBB6_8646
; %bb.8639:                             ;   in Loop: Header=BB6_8449 Depth=2
	v_and_b32_e32 v2, 0x7c0000, v11
	v_bfe_u32 v3, v11, 16, 2
	s_delay_alu instid0(VALU_DEP_2) | instskip(SKIP_1) | instid1(SALU_CYCLE_1)
	v_cmp_ne_u32_e32 vcc_lo, 0x7c0000, v2
                                        ; implicit-def: $vgpr2
	s_and_saveexec_b32 s40, vcc_lo
	s_xor_b32 s40, exec_lo, s40
	s_cbranch_execz .LBB6_8643
; %bb.8640:                             ;   in Loop: Header=BB6_8449 Depth=2
	v_bfe_u32 v2, v11, 18, 5
	s_mov_b32 s41, exec_lo
	s_delay_alu instid0(VALU_DEP_1)
	v_cmpx_eq_u32_e32 0, v2
; %bb.8641:                             ;   in Loop: Header=BB6_8449 Depth=2
	v_clz_i32_u32_e32 v2, v3
	s_delay_alu instid0(VALU_DEP_1) | instskip(NEXT) | instid1(VALU_DEP_1)
	v_min_u32_e32 v2, 32, v2
	v_subrev_nc_u32_e32 v3, 29, v2
	s_delay_alu instid0(VALU_DEP_1) | instskip(NEXT) | instid1(VALU_DEP_1)
	v_lshlrev_b64_e32 v[4:5], v3, v[0:1]
	v_dual_sub_nc_u32 v2, 30, v2 :: v_dual_bitop2_b32 v3, 3, v4 bitop3:0x40
; %bb.8642:                             ;   in Loop: Header=BB6_8449 Depth=2
	s_or_b32 exec_lo, exec_lo, s41
	v_lshlrev_b32_e32 v0, 24, v0
	s_delay_alu instid0(VALU_DEP_1) | instskip(NEXT) | instid1(VALU_DEP_1)
	v_and_b32_e32 v0, 0x80000000, v0
	v_lshl_add_u32 v0, v2, 23, v0
	s_delay_alu instid0(VALU_DEP_1) | instskip(NEXT) | instid1(VALU_DEP_1)
	v_lshl_or_b32 v0, v3, 21, v0
                                        ; implicit-def: $vgpr3
	v_add_nc_u32_e32 v2, 0x38000000, v0
                                        ; implicit-def: $vgpr0
.LBB6_8643:                             ;   in Loop: Header=BB6_8449 Depth=2
	s_and_not1_saveexec_b32 s40, s40
; %bb.8644:                             ;   in Loop: Header=BB6_8449 Depth=2
	v_bfe_i32 v0, v0, 0, 8
	s_delay_alu instid0(VALU_DEP_1) | instskip(SKIP_1) | instid1(VALU_DEP_1)
	v_cmp_lt_i16_e32 vcc_lo, -1, v0
	v_mov_b32_e32 v0, 0x7f800000
	v_cndmask_b32_e32 v0, 0xff800000, v0, vcc_lo
	v_cmp_eq_u32_e32 vcc_lo, 0, v3
	s_delay_alu instid0(VALU_DEP_2)
	v_cndmask_b32_e32 v2, 0x7f800001, v0, vcc_lo
; %bb.8645:                             ;   in Loop: Header=BB6_8449 Depth=2
	s_or_b32 exec_lo, exec_lo, s40
.LBB6_8646:                             ;   in Loop: Header=BB6_8449 Depth=2
	s_delay_alu instid0(SALU_CYCLE_1)
	s_or_b32 exec_lo, exec_lo, s29
.LBB6_8647:                             ;   in Loop: Header=BB6_8449 Depth=2
	s_delay_alu instid0(SALU_CYCLE_1) | instskip(NEXT) | instid1(VALU_DEP_1)
	s_or_b32 exec_lo, exec_lo, s7
	v_dual_mul_f32 v2, s28, v2 :: v_dual_mov_b32 v5, v1
                                        ; implicit-def: $vgpr64
	s_mov_b32 s7, exec_lo
	s_delay_alu instid0(VALU_DEP_1) | instskip(SKIP_2) | instid1(VALU_DEP_3)
	v_and_b32_e32 v4, 0x7f800000, v2
	v_and_b32_e32 v0, 0x7fffff, v2
	v_lshrrev_b32_e32 v3, 24, v2
	v_cmpx_ne_u64_e32 0x7f800000, v[4:5]
	s_xor_b32 s29, exec_lo, s7
	s_cbranch_execz .LBB6_8661
; %bb.8648:                             ;   in Loop: Header=BB6_8449 Depth=2
	v_and_b32_e32 v4, 0x7fffffff, v2
	v_mov_b32_e32 v5, v1
	v_and_b32_e32 v8, 0x80, v3
                                        ; implicit-def: $vgpr64
	s_mov_b32 s7, exec_lo
	s_delay_alu instid0(VALU_DEP_2)
	v_cmpx_gt_u64_e32 0x47600001, v[4:5]
	s_xor_b32 s40, exec_lo, s7
	s_cbranch_execz .LBB6_8658
; %bb.8649:                             ;   in Loop: Header=BB6_8449 Depth=2
	v_mov_b32_e32 v64, 0
	s_mov_b32 s41, exec_lo
	v_cmpx_ne_u32_e32 0, v2
	s_cbranch_execz .LBB6_8657
; %bb.8650:                             ;   in Loop: Header=BB6_8449 Depth=2
	v_bfe_u32 v14, v2, 23, 8
	v_or_b32_e32 v4, 0x800000, v0
	s_mov_b32 s42, exec_lo
	s_delay_alu instid0(VALU_DEP_2) | instskip(SKIP_1) | instid1(VALU_DEP_2)
	v_dual_mov_b32 v5, v1 :: v_dual_sub_nc_u32 v2, 0x71, v14
	v_cmp_gt_u32_e32 vcc_lo, 0x72, v14
	v_cndmask_b32_e32 v2, 0, v2, vcc_lo
	v_cmp_eq_u32_e32 vcc_lo, 0, v14
	s_delay_alu instid0(VALU_DEP_2) | instskip(NEXT) | instid1(VALU_DEP_1)
	v_cndmask_b32_e64 v15, v2, 0x70, vcc_lo
	v_dual_cndmask_b32 v4, v4, v0, vcc_lo :: v_dual_add_nc_u32 v2, 21, v15
	v_add_nc_u32_e32 v16, 20, v15
	s_delay_alu instid0(VALU_DEP_2) | instskip(NEXT) | instid1(VALU_DEP_2)
	v_lshlrev_b64_e64 v[2:3], v2, -1
	v_lshlrev_b64_e64 v[16:17], v16, 1
	s_delay_alu instid0(VALU_DEP_2) | instskip(NEXT) | instid1(VALU_DEP_3)
	v_bfi_b32 v19, v3, 0, 0
	v_bfi_b32 v18, v2, 0, v4
	v_lshrrev_b64 v[2:3], v15, v[4:5]
	s_delay_alu instid0(VALU_DEP_1) | instskip(NEXT) | instid1(VALU_DEP_3)
	v_mov_b64_e32 v[4:5], v[2:3]
	v_cmpx_eq_u64_e64 v[18:19], v[16:17]
; %bb.8651:                             ;   in Loop: Header=BB6_8449 Depth=2
	v_bfe_u32 v4, v2, 21, 1
	v_mov_b32_e32 v5, v1
	s_delay_alu instid0(VALU_DEP_1) | instskip(NEXT) | instid1(VALU_DEP_1)
	v_add_nc_u64_e32 v[4:5], v[2:3], v[4:5]
	v_add_nc_u64_e32 v[4:5], -1, v[4:5]
; %bb.8652:                             ;   in Loop: Header=BB6_8449 Depth=2
	s_or_b32 exec_lo, exec_lo, s42
	v_add_nc_u32_e32 v0, 0xffffff81, v14
	v_lshrrev_b32_e32 v3, 23, v2
	s_mov_b32 s7, exec_lo
	s_delay_alu instid0(VALU_DEP_2) | instskip(NEXT) | instid1(VALU_DEP_1)
	v_cndmask_b32_e64 v0, v0, 0xffffff82, vcc_lo
	v_add3_u32 v5, v15, v0, v3
	v_and_b32_e32 v0, 0x1fffff, v4
                                        ; implicit-def: $vgpr4
	s_delay_alu instid0(VALU_DEP_1) | instskip(NEXT) | instid1(VALU_DEP_1)
	v_dual_add_nc_u32 v14, 14, v5 :: v_dual_add_nc_u32 v0, v0, v2
                                        ; implicit-def: $vgpr2_vgpr3
	v_cmpx_ne_u32_e32 0, v14
	s_xor_b32 s7, exec_lo, s7
; %bb.8653:                             ;   in Loop: Header=BB6_8449 Depth=2
	s_delay_alu instid0(VALU_DEP_2) | instskip(SKIP_1) | instid1(VALU_DEP_1)
	v_cmp_lt_u64_e32 vcc_lo, 0xffffff, v[0:1]
	v_add_nc_u32_e32 v2, 15, v5
	v_cndmask_b32_e32 v4, v14, v2, vcc_lo
	v_cndmask_b32_e64 v2, 0, 1, vcc_lo
	s_delay_alu instid0(VALU_DEP_1)
	v_lshrrev_b64 v[2:3], v2, v[0:1]
; %bb.8654:                             ;   in Loop: Header=BB6_8449 Depth=2
	s_and_not1_saveexec_b32 s7, s7
; %bb.8655:                             ;   in Loop: Header=BB6_8449 Depth=2
	v_mov_b64_e32 v[2:3], v[0:1]
	v_bfe_u32 v4, v0, 23, 1
; %bb.8656:                             ;   in Loop: Header=BB6_8449 Depth=2
	s_or_b32 exec_lo, exec_lo, s7
	s_delay_alu instid0(VALU_DEP_2) | instskip(NEXT) | instid1(VALU_DEP_2)
	v_lshrrev_b64 v[2:3], 21, v[2:3]
	v_cmp_gt_i32_e32 vcc_lo, 32, v4
	v_min_i32_e32 v0, 31, v4
	v_cmp_eq_u32_e64 s7, 0, v4
	s_delay_alu instid0(VALU_DEP_2) | instskip(SKIP_1) | instid1(VALU_DEP_2)
	v_dual_cndmask_b32 v3, 0, v3 :: v_dual_lshlrev_b32 v0, 2, v0
	v_cndmask_b32_e32 v2, 3, v2, vcc_lo
	v_and_b32_e32 v0, 0xfc, v0
	s_delay_alu instid0(VALU_DEP_2) | instskip(NEXT) | instid1(VALU_DEP_2)
	v_cmp_eq_u64_e32 vcc_lo, 0, v[2:3]
	v_and_or_b32 v0, v2, 3, v0
	s_and_b32 s7, s7, vcc_lo
	s_delay_alu instid0(VALU_DEP_1) | instid1(SALU_CYCLE_1)
	v_cndmask_b32_e64 v0, v0, 0, s7
	s_delay_alu instid0(VALU_DEP_1)
	v_or_b32_e32 v64, v0, v8
.LBB6_8657:                             ;   in Loop: Header=BB6_8449 Depth=2
	s_or_b32 exec_lo, exec_lo, s41
                                        ; implicit-def: $vgpr8
.LBB6_8658:                             ;   in Loop: Header=BB6_8449 Depth=2
	s_and_not1_saveexec_b32 s7, s40
; %bb.8659:                             ;   in Loop: Header=BB6_8449 Depth=2
	v_or_b32_e32 v64, 0x7b, v8
; %bb.8660:                             ;   in Loop: Header=BB6_8449 Depth=2
	s_or_b32 exec_lo, exec_lo, s7
                                        ; implicit-def: $vgpr2
                                        ; implicit-def: $vgpr3
.LBB6_8661:                             ;   in Loop: Header=BB6_8449 Depth=2
	s_and_not1_saveexec_b32 s7, s29
	s_cbranch_execz .LBB6_8667
; %bb.8662:                             ;   in Loop: Header=BB6_8449 Depth=2
	s_mov_b32 s29, exec_lo
                                        ; implicit-def: $vgpr64
	v_cmpx_ne_u64_e32 0, v[0:1]
	s_xor_b32 s29, exec_lo, s29
; %bb.8663:                             ;   in Loop: Header=BB6_8449 Depth=2
	v_or_b32_e32 v64, 0x7f, v3
                                        ; implicit-def: $vgpr2
; %bb.8664:                             ;   in Loop: Header=BB6_8449 Depth=2
	s_and_not1_saveexec_b32 s29, s29
; %bb.8665:                             ;   in Loop: Header=BB6_8449 Depth=2
	v_cmp_lt_i32_e32 vcc_lo, -1, v2
	v_mov_b32_e32 v0, 0x7c
	s_delay_alu instid0(VALU_DEP_1)
	v_cndmask_b32_e32 v64, 0xfc, v0, vcc_lo
; %bb.8666:                             ;   in Loop: Header=BB6_8449 Depth=2
	s_or_b32 exec_lo, exec_lo, s29
.LBB6_8667:                             ;   in Loop: Header=BB6_8449 Depth=2
	s_delay_alu instid0(SALU_CYCLE_1)
	s_or_b32 exec_lo, exec_lo, s7
	v_mov_b32_e32 v2, 0
	s_mov_b32 s7, exec_lo
	v_cmpx_lt_u64_e64 s[12:13], v[10:11]
	s_cbranch_execz .LBB6_8677
; %bb.8668:                             ;   in Loop: Header=BB6_8449 Depth=2
	v_lshrrev_b32_e32 v0, 24, v11
	v_bfrev_b32_e32 v2, 1
	s_mov_b32 s29, exec_lo
	s_delay_alu instid0(VALU_DEP_2)
	v_cmpx_ne_u32_e32 0x80, v0
	s_cbranch_execz .LBB6_8676
; %bb.8669:                             ;   in Loop: Header=BB6_8449 Depth=2
	v_and_b32_e32 v2, 0x7c000000, v11
	v_bfe_u32 v3, v11, 24, 2
	s_delay_alu instid0(VALU_DEP_2) | instskip(SKIP_1) | instid1(SALU_CYCLE_1)
	v_cmp_ne_u32_e32 vcc_lo, 0x7c000000, v2
                                        ; implicit-def: $vgpr2
	s_and_saveexec_b32 s40, vcc_lo
	s_xor_b32 s40, exec_lo, s40
	s_cbranch_execz .LBB6_8673
; %bb.8670:                             ;   in Loop: Header=BB6_8449 Depth=2
	v_bfe_u32 v2, v11, 26, 5
	s_mov_b32 s41, exec_lo
	s_delay_alu instid0(VALU_DEP_1)
	v_cmpx_eq_u32_e32 0, v2
; %bb.8671:                             ;   in Loop: Header=BB6_8449 Depth=2
	v_clz_i32_u32_e32 v2, v3
	s_delay_alu instid0(VALU_DEP_1) | instskip(NEXT) | instid1(VALU_DEP_1)
	v_min_u32_e32 v2, 32, v2
	v_subrev_nc_u32_e32 v3, 29, v2
	s_delay_alu instid0(VALU_DEP_1) | instskip(NEXT) | instid1(VALU_DEP_1)
	v_lshlrev_b64_e32 v[4:5], v3, v[0:1]
	v_dual_sub_nc_u32 v2, 30, v2 :: v_dual_bitop2_b32 v3, 3, v4 bitop3:0x40
; %bb.8672:                             ;   in Loop: Header=BB6_8449 Depth=2
	s_or_b32 exec_lo, exec_lo, s41
	v_and_b32_e32 v0, 0x80000000, v11
	s_delay_alu instid0(VALU_DEP_1) | instskip(NEXT) | instid1(VALU_DEP_1)
	v_lshl_add_u32 v0, v2, 23, v0
	v_lshl_or_b32 v0, v3, 21, v0
                                        ; implicit-def: $vgpr3
	s_delay_alu instid0(VALU_DEP_1)
	v_add_nc_u32_e32 v2, 0x38000000, v0
.LBB6_8673:                             ;   in Loop: Header=BB6_8449 Depth=2
	s_and_not1_saveexec_b32 s40, s40
; %bb.8674:                             ;   in Loop: Header=BB6_8449 Depth=2
	v_cmp_lt_i64_e32 vcc_lo, -1, v[10:11]
	v_mov_b32_e32 v0, 0x7f800000
	s_delay_alu instid0(VALU_DEP_1) | instskip(SKIP_1) | instid1(VALU_DEP_2)
	v_cndmask_b32_e32 v0, 0xff800000, v0, vcc_lo
	v_cmp_eq_u32_e32 vcc_lo, 0, v3
	v_cndmask_b32_e32 v2, 0x7f800001, v0, vcc_lo
; %bb.8675:                             ;   in Loop: Header=BB6_8449 Depth=2
	s_or_b32 exec_lo, exec_lo, s40
.LBB6_8676:                             ;   in Loop: Header=BB6_8449 Depth=2
	s_delay_alu instid0(SALU_CYCLE_1)
	s_or_b32 exec_lo, exec_lo, s29
.LBB6_8677:                             ;   in Loop: Header=BB6_8449 Depth=2
	s_delay_alu instid0(SALU_CYCLE_1) | instskip(NEXT) | instid1(VALU_DEP_1)
	s_or_b32 exec_lo, exec_lo, s7
	v_dual_mul_f32 v2, s28, v2 :: v_dual_mov_b32 v5, v1
                                        ; implicit-def: $vgpr72
	s_mov_b32 s7, exec_lo
	s_delay_alu instid0(VALU_DEP_1) | instskip(SKIP_2) | instid1(VALU_DEP_3)
	v_and_b32_e32 v4, 0x7f800000, v2
	v_and_b32_e32 v0, 0x7fffff, v2
	v_lshrrev_b32_e32 v3, 24, v2
	v_cmpx_ne_u64_e32 0x7f800000, v[4:5]
	s_xor_b32 s29, exec_lo, s7
	s_cbranch_execz .LBB6_8691
; %bb.8678:                             ;   in Loop: Header=BB6_8449 Depth=2
	v_and_b32_e32 v4, 0x7fffffff, v2
	v_mov_b32_e32 v5, v1
	v_and_b32_e32 v8, 0x80, v3
                                        ; implicit-def: $vgpr72
	s_mov_b32 s7, exec_lo
	s_delay_alu instid0(VALU_DEP_2)
	v_cmpx_gt_u64_e32 0x47600001, v[4:5]
	s_xor_b32 s40, exec_lo, s7
	s_cbranch_execz .LBB6_8688
; %bb.8679:                             ;   in Loop: Header=BB6_8449 Depth=2
	v_mov_b32_e32 v72, 0
	s_mov_b32 s41, exec_lo
	v_cmpx_ne_u32_e32 0, v2
	s_cbranch_execz .LBB6_8687
; %bb.8680:                             ;   in Loop: Header=BB6_8449 Depth=2
	v_bfe_u32 v10, v2, 23, 8
	v_or_b32_e32 v4, 0x800000, v0
	s_mov_b32 s42, exec_lo
	s_delay_alu instid0(VALU_DEP_2) | instskip(SKIP_1) | instid1(VALU_DEP_2)
	v_dual_mov_b32 v5, v1 :: v_dual_sub_nc_u32 v2, 0x71, v10
	v_cmp_gt_u32_e32 vcc_lo, 0x72, v10
	v_cndmask_b32_e32 v2, 0, v2, vcc_lo
	v_cmp_eq_u32_e32 vcc_lo, 0, v10
	s_delay_alu instid0(VALU_DEP_2) | instskip(NEXT) | instid1(VALU_DEP_1)
	v_cndmask_b32_e64 v11, v2, 0x70, vcc_lo
	v_dual_cndmask_b32 v4, v4, v0, vcc_lo :: v_dual_add_nc_u32 v2, 21, v11
	v_add_nc_u32_e32 v14, 20, v11
	s_delay_alu instid0(VALU_DEP_2) | instskip(NEXT) | instid1(VALU_DEP_2)
	v_lshlrev_b64_e64 v[2:3], v2, -1
	v_lshlrev_b64_e64 v[14:15], v14, 1
	s_delay_alu instid0(VALU_DEP_2) | instskip(NEXT) | instid1(VALU_DEP_3)
	v_bfi_b32 v17, v3, 0, 0
	v_bfi_b32 v16, v2, 0, v4
	v_lshrrev_b64 v[2:3], v11, v[4:5]
	s_delay_alu instid0(VALU_DEP_1) | instskip(NEXT) | instid1(VALU_DEP_3)
	v_mov_b64_e32 v[4:5], v[2:3]
	v_cmpx_eq_u64_e64 v[16:17], v[14:15]
; %bb.8681:                             ;   in Loop: Header=BB6_8449 Depth=2
	v_bfe_u32 v4, v2, 21, 1
	v_mov_b32_e32 v5, v1
	s_delay_alu instid0(VALU_DEP_1) | instskip(NEXT) | instid1(VALU_DEP_1)
	v_add_nc_u64_e32 v[4:5], v[2:3], v[4:5]
	v_add_nc_u64_e32 v[4:5], -1, v[4:5]
; %bb.8682:                             ;   in Loop: Header=BB6_8449 Depth=2
	s_or_b32 exec_lo, exec_lo, s42
	v_add_nc_u32_e32 v0, 0xffffff81, v10
	v_lshrrev_b32_e32 v3, 23, v2
	s_mov_b32 s7, exec_lo
	s_delay_alu instid0(VALU_DEP_2) | instskip(NEXT) | instid1(VALU_DEP_1)
	v_cndmask_b32_e64 v0, v0, 0xffffff82, vcc_lo
	v_add3_u32 v5, v11, v0, v3
	v_and_b32_e32 v0, 0x1fffff, v4
                                        ; implicit-def: $vgpr4
	s_delay_alu instid0(VALU_DEP_1) | instskip(NEXT) | instid1(VALU_DEP_1)
	v_dual_add_nc_u32 v10, 14, v5 :: v_dual_add_nc_u32 v0, v0, v2
                                        ; implicit-def: $vgpr2_vgpr3
	v_cmpx_ne_u32_e32 0, v10
	s_xor_b32 s7, exec_lo, s7
; %bb.8683:                             ;   in Loop: Header=BB6_8449 Depth=2
	s_delay_alu instid0(VALU_DEP_2) | instskip(SKIP_1) | instid1(VALU_DEP_1)
	v_cmp_lt_u64_e32 vcc_lo, 0xffffff, v[0:1]
	v_add_nc_u32_e32 v2, 15, v5
	v_cndmask_b32_e32 v4, v10, v2, vcc_lo
	v_cndmask_b32_e64 v2, 0, 1, vcc_lo
	s_delay_alu instid0(VALU_DEP_1)
	v_lshrrev_b64 v[2:3], v2, v[0:1]
; %bb.8684:                             ;   in Loop: Header=BB6_8449 Depth=2
	s_and_not1_saveexec_b32 s7, s7
; %bb.8685:                             ;   in Loop: Header=BB6_8449 Depth=2
	v_mov_b64_e32 v[2:3], v[0:1]
	v_bfe_u32 v4, v0, 23, 1
; %bb.8686:                             ;   in Loop: Header=BB6_8449 Depth=2
	s_or_b32 exec_lo, exec_lo, s7
	s_delay_alu instid0(VALU_DEP_2) | instskip(NEXT) | instid1(VALU_DEP_2)
	v_lshrrev_b64 v[2:3], 21, v[2:3]
	v_cmp_gt_i32_e32 vcc_lo, 32, v4
	v_min_i32_e32 v0, 31, v4
	v_cmp_eq_u32_e64 s7, 0, v4
	s_delay_alu instid0(VALU_DEP_2) | instskip(SKIP_1) | instid1(VALU_DEP_2)
	v_dual_cndmask_b32 v3, 0, v3 :: v_dual_lshlrev_b32 v0, 2, v0
	v_cndmask_b32_e32 v2, 3, v2, vcc_lo
	v_and_b32_e32 v0, 0xfc, v0
	s_delay_alu instid0(VALU_DEP_2) | instskip(NEXT) | instid1(VALU_DEP_2)
	v_cmp_eq_u64_e32 vcc_lo, 0, v[2:3]
	v_and_or_b32 v0, v2, 3, v0
	s_and_b32 s7, s7, vcc_lo
	s_delay_alu instid0(VALU_DEP_1) | instid1(SALU_CYCLE_1)
	v_cndmask_b32_e64 v0, v0, 0, s7
	s_delay_alu instid0(VALU_DEP_1)
	v_or_b32_e32 v72, v0, v8
.LBB6_8687:                             ;   in Loop: Header=BB6_8449 Depth=2
	s_or_b32 exec_lo, exec_lo, s41
                                        ; implicit-def: $vgpr8
.LBB6_8688:                             ;   in Loop: Header=BB6_8449 Depth=2
	s_and_not1_saveexec_b32 s7, s40
; %bb.8689:                             ;   in Loop: Header=BB6_8449 Depth=2
	v_or_b32_e32 v72, 0x7b, v8
; %bb.8690:                             ;   in Loop: Header=BB6_8449 Depth=2
	s_or_b32 exec_lo, exec_lo, s7
                                        ; implicit-def: $vgpr2
                                        ; implicit-def: $vgpr3
.LBB6_8691:                             ;   in Loop: Header=BB6_8449 Depth=2
	s_and_not1_saveexec_b32 s7, s29
	s_cbranch_execz .LBB6_8697
; %bb.8692:                             ;   in Loop: Header=BB6_8449 Depth=2
	s_mov_b32 s29, exec_lo
                                        ; implicit-def: $vgpr72
	v_cmpx_ne_u64_e32 0, v[0:1]
	s_xor_b32 s29, exec_lo, s29
; %bb.8693:                             ;   in Loop: Header=BB6_8449 Depth=2
	v_or_b32_e32 v72, 0x7f, v3
                                        ; implicit-def: $vgpr2
; %bb.8694:                             ;   in Loop: Header=BB6_8449 Depth=2
	s_and_not1_saveexec_b32 s29, s29
; %bb.8695:                             ;   in Loop: Header=BB6_8449 Depth=2
	v_cmp_lt_i32_e32 vcc_lo, -1, v2
	v_mov_b32_e32 v0, 0x7c
	s_delay_alu instid0(VALU_DEP_1)
	v_cndmask_b32_e32 v72, 0xfc, v0, vcc_lo
; %bb.8696:                             ;   in Loop: Header=BB6_8449 Depth=2
	s_or_b32 exec_lo, exec_lo, s29
.LBB6_8697:                             ;   in Loop: Header=BB6_8449 Depth=2
	s_delay_alu instid0(SALU_CYCLE_1) | instskip(SKIP_1) | instid1(VALU_DEP_1)
	s_or_b32 exec_lo, exec_lo, s7
	v_and_b32_e32 v0, 0xff, v12
	v_cmp_ne_u16_e32 vcc_lo, 0, v0
	v_mov_b32_e32 v0, 0
	s_and_saveexec_b32 s7, vcc_lo
	s_cbranch_execz .LBB6_8707
; %bb.8698:                             ;   in Loop: Header=BB6_8449 Depth=2
	v_bfe_i32 v3, v12, 0, 8
	v_bfrev_b32_e32 v0, 1
	s_mov_b32 s29, exec_lo
	s_delay_alu instid0(VALU_DEP_2)
	v_cmpx_ne_u16_e32 0xff80, v3
	s_cbranch_execz .LBB6_8706
; %bb.8699:                             ;   in Loop: Header=BB6_8449 Depth=2
	v_and_b32_e32 v0, 0x7c, v12
	v_and_b32_e32 v2, 3, v12
	s_delay_alu instid0(VALU_DEP_2) | instskip(SKIP_1) | instid1(SALU_CYCLE_1)
	v_cmp_ne_u32_e32 vcc_lo, 0x7c, v0
                                        ; implicit-def: $vgpr0
	s_and_saveexec_b32 s40, vcc_lo
	s_xor_b32 s40, exec_lo, s40
	s_cbranch_execz .LBB6_8703
; %bb.8700:                             ;   in Loop: Header=BB6_8449 Depth=2
	v_bfe_u32 v0, v12, 2, 5
	s_mov_b32 s41, exec_lo
	s_delay_alu instid0(VALU_DEP_1)
	v_cmpx_eq_u32_e32 0, v0
; %bb.8701:                             ;   in Loop: Header=BB6_8449 Depth=2
	v_clz_i32_u32_e32 v0, v2
	s_delay_alu instid0(VALU_DEP_1) | instskip(NEXT) | instid1(VALU_DEP_1)
	v_min_u32_e32 v0, 32, v0
	v_subrev_nc_u32_e32 v2, 29, v0
	s_delay_alu instid0(VALU_DEP_1) | instskip(NEXT) | instid1(VALU_DEP_1)
	v_lshlrev_b64_e32 v[2:3], v2, v[12:13]
	v_dual_sub_nc_u32 v0, 30, v0 :: v_dual_bitop2_b32 v2, 3, v2 bitop3:0x40
; %bb.8702:                             ;   in Loop: Header=BB6_8449 Depth=2
	s_or_b32 exec_lo, exec_lo, s41
	v_lshlrev_b32_e32 v3, 24, v12
	s_delay_alu instid0(VALU_DEP_1) | instskip(NEXT) | instid1(VALU_DEP_1)
	v_and_b32_e32 v3, 0x80000000, v3
	v_lshl_add_u32 v0, v0, 23, v3
                                        ; implicit-def: $vgpr3
	s_delay_alu instid0(VALU_DEP_1) | instskip(NEXT) | instid1(VALU_DEP_1)
	v_lshl_or_b32 v0, v2, 21, v0
                                        ; implicit-def: $vgpr2
	v_add_nc_u32_e32 v0, 0x38000000, v0
.LBB6_8703:                             ;   in Loop: Header=BB6_8449 Depth=2
	s_and_not1_saveexec_b32 s40, s40
; %bb.8704:                             ;   in Loop: Header=BB6_8449 Depth=2
	v_cmp_lt_i16_e32 vcc_lo, -1, v3
	v_mov_b32_e32 v0, 0x7f800000
	s_delay_alu instid0(VALU_DEP_1) | instskip(SKIP_1) | instid1(VALU_DEP_2)
	v_cndmask_b32_e32 v0, 0xff800000, v0, vcc_lo
	v_cmp_eq_u32_e32 vcc_lo, 0, v2
	v_cndmask_b32_e32 v0, 0x7f800001, v0, vcc_lo
; %bb.8705:                             ;   in Loop: Header=BB6_8449 Depth=2
	s_or_b32 exec_lo, exec_lo, s40
.LBB6_8706:                             ;   in Loop: Header=BB6_8449 Depth=2
	s_delay_alu instid0(SALU_CYCLE_1)
	s_or_b32 exec_lo, exec_lo, s29
.LBB6_8707:                             ;   in Loop: Header=BB6_8449 Depth=2
	s_delay_alu instid0(SALU_CYCLE_1) | instskip(NEXT) | instid1(VALU_DEP_1)
	s_or_b32 exec_lo, exec_lo, s7
	v_dual_mul_f32 v2, s28, v0 :: v_dual_mov_b32 v5, v1
                                        ; implicit-def: $vgpr83
	s_mov_b32 s7, exec_lo
	s_delay_alu instid0(VALU_DEP_1) | instskip(SKIP_2) | instid1(VALU_DEP_3)
	v_and_b32_e32 v4, 0x7f800000, v2
	v_and_b32_e32 v0, 0x7fffff, v2
	v_lshrrev_b32_e32 v3, 24, v2
	v_cmpx_ne_u64_e32 0x7f800000, v[4:5]
	s_xor_b32 s29, exec_lo, s7
	s_cbranch_execz .LBB6_8721
; %bb.8708:                             ;   in Loop: Header=BB6_8449 Depth=2
	v_and_b32_e32 v4, 0x7fffffff, v2
	v_mov_b32_e32 v5, v1
	v_and_b32_e32 v8, 0x80, v3
                                        ; implicit-def: $vgpr83
	s_mov_b32 s7, exec_lo
	s_delay_alu instid0(VALU_DEP_2)
	v_cmpx_gt_u64_e32 0x47600001, v[4:5]
	s_xor_b32 s40, exec_lo, s7
	s_cbranch_execz .LBB6_8718
; %bb.8709:                             ;   in Loop: Header=BB6_8449 Depth=2
	v_mov_b32_e32 v83, 0
	s_mov_b32 s41, exec_lo
	v_cmpx_ne_u32_e32 0, v2
	s_cbranch_execz .LBB6_8717
; %bb.8710:                             ;   in Loop: Header=BB6_8449 Depth=2
	v_bfe_u32 v10, v2, 23, 8
	v_or_b32_e32 v4, 0x800000, v0
	s_mov_b32 s42, exec_lo
	s_delay_alu instid0(VALU_DEP_2) | instskip(SKIP_1) | instid1(VALU_DEP_2)
	v_dual_mov_b32 v5, v1 :: v_dual_sub_nc_u32 v2, 0x71, v10
	v_cmp_gt_u32_e32 vcc_lo, 0x72, v10
	v_cndmask_b32_e32 v2, 0, v2, vcc_lo
	v_cmp_eq_u32_e32 vcc_lo, 0, v10
	s_delay_alu instid0(VALU_DEP_2) | instskip(NEXT) | instid1(VALU_DEP_1)
	v_cndmask_b32_e64 v11, v2, 0x70, vcc_lo
	v_dual_cndmask_b32 v4, v4, v0, vcc_lo :: v_dual_add_nc_u32 v2, 21, v11
	v_add_nc_u32_e32 v14, 20, v11
	s_delay_alu instid0(VALU_DEP_2) | instskip(NEXT) | instid1(VALU_DEP_2)
	v_lshlrev_b64_e64 v[2:3], v2, -1
	v_lshlrev_b64_e64 v[14:15], v14, 1
	s_delay_alu instid0(VALU_DEP_2) | instskip(NEXT) | instid1(VALU_DEP_3)
	v_bfi_b32 v17, v3, 0, 0
	v_bfi_b32 v16, v2, 0, v4
	v_lshrrev_b64 v[2:3], v11, v[4:5]
	s_delay_alu instid0(VALU_DEP_1) | instskip(NEXT) | instid1(VALU_DEP_3)
	v_mov_b64_e32 v[4:5], v[2:3]
	v_cmpx_eq_u64_e64 v[16:17], v[14:15]
; %bb.8711:                             ;   in Loop: Header=BB6_8449 Depth=2
	v_bfe_u32 v4, v2, 21, 1
	v_mov_b32_e32 v5, v1
	s_delay_alu instid0(VALU_DEP_1) | instskip(NEXT) | instid1(VALU_DEP_1)
	v_add_nc_u64_e32 v[4:5], v[2:3], v[4:5]
	v_add_nc_u64_e32 v[4:5], -1, v[4:5]
; %bb.8712:                             ;   in Loop: Header=BB6_8449 Depth=2
	s_or_b32 exec_lo, exec_lo, s42
	v_add_nc_u32_e32 v0, 0xffffff81, v10
	v_lshrrev_b32_e32 v3, 23, v2
	s_mov_b32 s7, exec_lo
	s_delay_alu instid0(VALU_DEP_2) | instskip(NEXT) | instid1(VALU_DEP_1)
	v_cndmask_b32_e64 v0, v0, 0xffffff82, vcc_lo
	v_add3_u32 v5, v11, v0, v3
	v_and_b32_e32 v0, 0x1fffff, v4
                                        ; implicit-def: $vgpr4
	s_delay_alu instid0(VALU_DEP_1) | instskip(NEXT) | instid1(VALU_DEP_1)
	v_dual_add_nc_u32 v10, 14, v5 :: v_dual_add_nc_u32 v0, v0, v2
                                        ; implicit-def: $vgpr2_vgpr3
	v_cmpx_ne_u32_e32 0, v10
	s_xor_b32 s7, exec_lo, s7
; %bb.8713:                             ;   in Loop: Header=BB6_8449 Depth=2
	s_delay_alu instid0(VALU_DEP_2) | instskip(SKIP_1) | instid1(VALU_DEP_1)
	v_cmp_lt_u64_e32 vcc_lo, 0xffffff, v[0:1]
	v_add_nc_u32_e32 v2, 15, v5
	v_cndmask_b32_e32 v4, v10, v2, vcc_lo
	v_cndmask_b32_e64 v2, 0, 1, vcc_lo
	s_delay_alu instid0(VALU_DEP_1)
	v_lshrrev_b64 v[2:3], v2, v[0:1]
; %bb.8714:                             ;   in Loop: Header=BB6_8449 Depth=2
	s_and_not1_saveexec_b32 s7, s7
; %bb.8715:                             ;   in Loop: Header=BB6_8449 Depth=2
	v_mov_b64_e32 v[2:3], v[0:1]
	v_bfe_u32 v4, v0, 23, 1
; %bb.8716:                             ;   in Loop: Header=BB6_8449 Depth=2
	s_or_b32 exec_lo, exec_lo, s7
	s_delay_alu instid0(VALU_DEP_2) | instskip(NEXT) | instid1(VALU_DEP_2)
	v_lshrrev_b64 v[2:3], 21, v[2:3]
	v_cmp_gt_i32_e32 vcc_lo, 32, v4
	v_min_i32_e32 v0, 31, v4
	v_cmp_eq_u32_e64 s7, 0, v4
	s_delay_alu instid0(VALU_DEP_2) | instskip(SKIP_1) | instid1(VALU_DEP_2)
	v_dual_cndmask_b32 v3, 0, v3 :: v_dual_lshlrev_b32 v0, 2, v0
	v_cndmask_b32_e32 v2, 3, v2, vcc_lo
	v_and_b32_e32 v0, 0xfc, v0
	s_delay_alu instid0(VALU_DEP_2) | instskip(NEXT) | instid1(VALU_DEP_2)
	v_cmp_eq_u64_e32 vcc_lo, 0, v[2:3]
	v_and_or_b32 v0, v2, 3, v0
	s_and_b32 s7, s7, vcc_lo
	s_delay_alu instid0(VALU_DEP_1) | instid1(SALU_CYCLE_1)
	v_cndmask_b32_e64 v0, v0, 0, s7
	s_delay_alu instid0(VALU_DEP_1)
	v_or_b32_e32 v83, v0, v8
.LBB6_8717:                             ;   in Loop: Header=BB6_8449 Depth=2
	s_or_b32 exec_lo, exec_lo, s41
                                        ; implicit-def: $vgpr8
.LBB6_8718:                             ;   in Loop: Header=BB6_8449 Depth=2
	s_and_not1_saveexec_b32 s7, s40
; %bb.8719:                             ;   in Loop: Header=BB6_8449 Depth=2
	v_or_b32_e32 v83, 0x7b, v8
; %bb.8720:                             ;   in Loop: Header=BB6_8449 Depth=2
	s_or_b32 exec_lo, exec_lo, s7
                                        ; implicit-def: $vgpr2
                                        ; implicit-def: $vgpr3
.LBB6_8721:                             ;   in Loop: Header=BB6_8449 Depth=2
	s_and_not1_saveexec_b32 s7, s29
	s_cbranch_execz .LBB6_8727
; %bb.8722:                             ;   in Loop: Header=BB6_8449 Depth=2
	s_mov_b32 s29, exec_lo
                                        ; implicit-def: $vgpr83
	v_cmpx_ne_u64_e32 0, v[0:1]
	s_xor_b32 s29, exec_lo, s29
; %bb.8723:                             ;   in Loop: Header=BB6_8449 Depth=2
	v_or_b32_e32 v83, 0x7f, v3
                                        ; implicit-def: $vgpr2
; %bb.8724:                             ;   in Loop: Header=BB6_8449 Depth=2
	s_and_not1_saveexec_b32 s29, s29
; %bb.8725:                             ;   in Loop: Header=BB6_8449 Depth=2
	v_cmp_lt_i32_e32 vcc_lo, -1, v2
	v_mov_b32_e32 v0, 0x7c
	s_delay_alu instid0(VALU_DEP_1)
	v_cndmask_b32_e32 v83, 0xfc, v0, vcc_lo
; %bb.8726:                             ;   in Loop: Header=BB6_8449 Depth=2
	s_or_b32 exec_lo, exec_lo, s29
.LBB6_8727:                             ;   in Loop: Header=BB6_8449 Depth=2
	s_delay_alu instid0(SALU_CYCLE_1) | instskip(SKIP_3) | instid1(VALU_DEP_2)
	s_or_b32 exec_lo, exec_lo, s7
	v_lshrrev_b16 v2, 8, v12
	v_mov_b32_e32 v3, 0
	s_mov_b32 s7, exec_lo
	v_cmpx_ne_u16_e32 0, v2
	s_cbranch_execz .LBB6_8737
; %bb.8728:                             ;   in Loop: Header=BB6_8449 Depth=2
	v_bfrev_b32_e32 v3, 1
	s_mov_b32 s29, exec_lo
	v_cmpx_ne_u16_e32 0x80, v2
	s_cbranch_execz .LBB6_8736
; %bb.8729:                             ;   in Loop: Header=BB6_8449 Depth=2
	v_and_b32_e32 v4, 0xffff, v2
	s_delay_alu instid0(VALU_DEP_1) | instskip(SKIP_1) | instid1(VALU_DEP_2)
	v_and_b32_e32 v3, 0x7c, v4
	v_and_b32_e32 v0, 3, v4
	v_cmp_ne_u32_e32 vcc_lo, 0x7c, v3
                                        ; implicit-def: $vgpr3
	s_and_saveexec_b32 s40, vcc_lo
	s_delay_alu instid0(SALU_CYCLE_1)
	s_xor_b32 s40, exec_lo, s40
	s_cbranch_execz .LBB6_8733
; %bb.8730:                             ;   in Loop: Header=BB6_8449 Depth=2
	v_bfe_u32 v3, v4, 2, 5
	s_mov_b32 s41, exec_lo
	s_delay_alu instid0(VALU_DEP_1)
	v_cmpx_eq_u32_e32 0, v3
; %bb.8731:                             ;   in Loop: Header=BB6_8449 Depth=2
	v_clz_i32_u32_e32 v0, v0
	v_mov_b32_e32 v3, v1
	s_delay_alu instid0(VALU_DEP_2) | instskip(NEXT) | instid1(VALU_DEP_1)
	v_min_u32_e32 v0, 32, v0
	v_subrev_nc_u32_e32 v4, 29, v0
	s_delay_alu instid0(VALU_DEP_1) | instskip(NEXT) | instid1(VALU_DEP_1)
	v_lshlrev_b64_e32 v[2:3], v4, v[2:3]
	v_dual_sub_nc_u32 v3, 30, v0 :: v_dual_bitop2_b32 v0, 3, v2 bitop3:0x40
; %bb.8732:                             ;   in Loop: Header=BB6_8449 Depth=2
	s_or_b32 exec_lo, exec_lo, s41
	v_lshlrev_b32_e32 v2, 16, v12
	s_delay_alu instid0(VALU_DEP_1) | instskip(NEXT) | instid1(VALU_DEP_1)
	v_and_b32_e32 v2, 0x80000000, v2
	v_lshl_add_u32 v2, v3, 23, v2
	s_delay_alu instid0(VALU_DEP_1) | instskip(NEXT) | instid1(VALU_DEP_1)
	v_lshl_or_b32 v0, v0, 21, v2
	v_add_nc_u32_e32 v3, 0x38000000, v0
                                        ; implicit-def: $vgpr0
.LBB6_8733:                             ;   in Loop: Header=BB6_8449 Depth=2
	s_and_not1_saveexec_b32 s40, s40
; %bb.8734:                             ;   in Loop: Header=BB6_8449 Depth=2
	v_cmp_lt_i16_e32 vcc_lo, -1, v12
	v_mov_b32_e32 v2, 0x7f800000
	s_delay_alu instid0(VALU_DEP_1) | instskip(SKIP_1) | instid1(VALU_DEP_2)
	v_cndmask_b32_e32 v2, 0xff800000, v2, vcc_lo
	v_cmp_eq_u32_e32 vcc_lo, 0, v0
	v_cndmask_b32_e32 v3, 0x7f800001, v2, vcc_lo
; %bb.8735:                             ;   in Loop: Header=BB6_8449 Depth=2
	s_or_b32 exec_lo, exec_lo, s40
.LBB6_8736:                             ;   in Loop: Header=BB6_8449 Depth=2
	s_delay_alu instid0(SALU_CYCLE_1)
	s_or_b32 exec_lo, exec_lo, s29
.LBB6_8737:                             ;   in Loop: Header=BB6_8449 Depth=2
	s_delay_alu instid0(SALU_CYCLE_1) | instskip(NEXT) | instid1(VALU_DEP_1)
	s_or_b32 exec_lo, exec_lo, s7
	v_dual_mul_f32 v2, s28, v3 :: v_dual_mov_b32 v5, v1
                                        ; implicit-def: $vgpr113
	s_mov_b32 s7, exec_lo
	s_delay_alu instid0(VALU_DEP_1) | instskip(SKIP_2) | instid1(VALU_DEP_3)
	v_and_b32_e32 v4, 0x7f800000, v2
	v_and_b32_e32 v0, 0x7fffff, v2
	v_lshrrev_b32_e32 v3, 24, v2
	v_cmpx_ne_u64_e32 0x7f800000, v[4:5]
	s_xor_b32 s29, exec_lo, s7
	s_cbranch_execz .LBB6_8751
; %bb.8738:                             ;   in Loop: Header=BB6_8449 Depth=2
	v_and_b32_e32 v4, 0x7fffffff, v2
	v_mov_b32_e32 v5, v1
	v_and_b32_e32 v8, 0x80, v3
                                        ; implicit-def: $vgpr113
	s_mov_b32 s7, exec_lo
	s_delay_alu instid0(VALU_DEP_2)
	v_cmpx_gt_u64_e32 0x47600001, v[4:5]
	s_xor_b32 s40, exec_lo, s7
	s_cbranch_execz .LBB6_8748
; %bb.8739:                             ;   in Loop: Header=BB6_8449 Depth=2
	v_mov_b32_e32 v113, 0
	s_mov_b32 s41, exec_lo
	v_cmpx_ne_u32_e32 0, v2
	s_cbranch_execz .LBB6_8747
; %bb.8740:                             ;   in Loop: Header=BB6_8449 Depth=2
	v_bfe_u32 v10, v2, 23, 8
	v_or_b32_e32 v4, 0x800000, v0
	s_mov_b32 s42, exec_lo
	s_delay_alu instid0(VALU_DEP_2) | instskip(SKIP_1) | instid1(VALU_DEP_2)
	v_dual_mov_b32 v5, v1 :: v_dual_sub_nc_u32 v2, 0x71, v10
	v_cmp_gt_u32_e32 vcc_lo, 0x72, v10
	v_cndmask_b32_e32 v2, 0, v2, vcc_lo
	v_cmp_eq_u32_e32 vcc_lo, 0, v10
	s_delay_alu instid0(VALU_DEP_2) | instskip(NEXT) | instid1(VALU_DEP_1)
	v_cndmask_b32_e64 v11, v2, 0x70, vcc_lo
	v_dual_cndmask_b32 v4, v4, v0, vcc_lo :: v_dual_add_nc_u32 v2, 21, v11
	v_add_nc_u32_e32 v14, 20, v11
	s_delay_alu instid0(VALU_DEP_2) | instskip(NEXT) | instid1(VALU_DEP_2)
	v_lshlrev_b64_e64 v[2:3], v2, -1
	v_lshlrev_b64_e64 v[14:15], v14, 1
	s_delay_alu instid0(VALU_DEP_2) | instskip(NEXT) | instid1(VALU_DEP_3)
	v_bfi_b32 v17, v3, 0, 0
	v_bfi_b32 v16, v2, 0, v4
	v_lshrrev_b64 v[2:3], v11, v[4:5]
	s_delay_alu instid0(VALU_DEP_1) | instskip(NEXT) | instid1(VALU_DEP_3)
	v_mov_b64_e32 v[4:5], v[2:3]
	v_cmpx_eq_u64_e64 v[16:17], v[14:15]
; %bb.8741:                             ;   in Loop: Header=BB6_8449 Depth=2
	v_bfe_u32 v4, v2, 21, 1
	v_mov_b32_e32 v5, v1
	s_delay_alu instid0(VALU_DEP_1) | instskip(NEXT) | instid1(VALU_DEP_1)
	v_add_nc_u64_e32 v[4:5], v[2:3], v[4:5]
	v_add_nc_u64_e32 v[4:5], -1, v[4:5]
; %bb.8742:                             ;   in Loop: Header=BB6_8449 Depth=2
	s_or_b32 exec_lo, exec_lo, s42
	v_add_nc_u32_e32 v0, 0xffffff81, v10
	v_lshrrev_b32_e32 v3, 23, v2
	s_mov_b32 s7, exec_lo
	s_delay_alu instid0(VALU_DEP_2) | instskip(NEXT) | instid1(VALU_DEP_1)
	v_cndmask_b32_e64 v0, v0, 0xffffff82, vcc_lo
	v_add3_u32 v5, v11, v0, v3
	v_and_b32_e32 v0, 0x1fffff, v4
                                        ; implicit-def: $vgpr4
	s_delay_alu instid0(VALU_DEP_1) | instskip(NEXT) | instid1(VALU_DEP_1)
	v_dual_add_nc_u32 v10, 14, v5 :: v_dual_add_nc_u32 v0, v0, v2
                                        ; implicit-def: $vgpr2_vgpr3
	v_cmpx_ne_u32_e32 0, v10
	s_xor_b32 s7, exec_lo, s7
; %bb.8743:                             ;   in Loop: Header=BB6_8449 Depth=2
	s_delay_alu instid0(VALU_DEP_2) | instskip(SKIP_1) | instid1(VALU_DEP_1)
	v_cmp_lt_u64_e32 vcc_lo, 0xffffff, v[0:1]
	v_add_nc_u32_e32 v2, 15, v5
	v_cndmask_b32_e32 v4, v10, v2, vcc_lo
	v_cndmask_b32_e64 v2, 0, 1, vcc_lo
	s_delay_alu instid0(VALU_DEP_1)
	v_lshrrev_b64 v[2:3], v2, v[0:1]
; %bb.8744:                             ;   in Loop: Header=BB6_8449 Depth=2
	s_and_not1_saveexec_b32 s7, s7
; %bb.8745:                             ;   in Loop: Header=BB6_8449 Depth=2
	v_mov_b64_e32 v[2:3], v[0:1]
	v_bfe_u32 v4, v0, 23, 1
; %bb.8746:                             ;   in Loop: Header=BB6_8449 Depth=2
	s_or_b32 exec_lo, exec_lo, s7
	s_delay_alu instid0(VALU_DEP_2) | instskip(NEXT) | instid1(VALU_DEP_2)
	v_lshrrev_b64 v[2:3], 21, v[2:3]
	v_cmp_gt_i32_e32 vcc_lo, 32, v4
	v_min_i32_e32 v0, 31, v4
	v_cmp_eq_u32_e64 s7, 0, v4
	s_delay_alu instid0(VALU_DEP_2) | instskip(SKIP_1) | instid1(VALU_DEP_2)
	v_dual_cndmask_b32 v3, 0, v3 :: v_dual_lshlrev_b32 v0, 2, v0
	v_cndmask_b32_e32 v2, 3, v2, vcc_lo
	v_and_b32_e32 v0, 0xfc, v0
	s_delay_alu instid0(VALU_DEP_2) | instskip(NEXT) | instid1(VALU_DEP_2)
	v_cmp_eq_u64_e32 vcc_lo, 0, v[2:3]
	v_and_or_b32 v0, v2, 3, v0
	s_and_b32 s7, s7, vcc_lo
	s_delay_alu instid0(VALU_DEP_1) | instid1(SALU_CYCLE_1)
	v_cndmask_b32_e64 v0, v0, 0, s7
	s_delay_alu instid0(VALU_DEP_1)
	v_or_b32_e32 v113, v0, v8
.LBB6_8747:                             ;   in Loop: Header=BB6_8449 Depth=2
	s_or_b32 exec_lo, exec_lo, s41
                                        ; implicit-def: $vgpr8
.LBB6_8748:                             ;   in Loop: Header=BB6_8449 Depth=2
	s_and_not1_saveexec_b32 s7, s40
; %bb.8749:                             ;   in Loop: Header=BB6_8449 Depth=2
	v_or_b32_e32 v113, 0x7b, v8
; %bb.8750:                             ;   in Loop: Header=BB6_8449 Depth=2
	s_or_b32 exec_lo, exec_lo, s7
                                        ; implicit-def: $vgpr2
                                        ; implicit-def: $vgpr3
.LBB6_8751:                             ;   in Loop: Header=BB6_8449 Depth=2
	s_and_not1_saveexec_b32 s7, s29
	s_cbranch_execz .LBB6_8757
; %bb.8752:                             ;   in Loop: Header=BB6_8449 Depth=2
	s_mov_b32 s29, exec_lo
                                        ; implicit-def: $vgpr113
	v_cmpx_ne_u64_e32 0, v[0:1]
	s_xor_b32 s29, exec_lo, s29
; %bb.8753:                             ;   in Loop: Header=BB6_8449 Depth=2
	v_or_b32_e32 v113, 0x7f, v3
                                        ; implicit-def: $vgpr2
; %bb.8754:                             ;   in Loop: Header=BB6_8449 Depth=2
	s_and_not1_saveexec_b32 s29, s29
; %bb.8755:                             ;   in Loop: Header=BB6_8449 Depth=2
	v_cmp_lt_i32_e32 vcc_lo, -1, v2
	v_mov_b32_e32 v0, 0x7c
	s_delay_alu instid0(VALU_DEP_1)
	v_cndmask_b32_e32 v113, 0xfc, v0, vcc_lo
; %bb.8756:                             ;   in Loop: Header=BB6_8449 Depth=2
	s_or_b32 exec_lo, exec_lo, s29
.LBB6_8757:                             ;   in Loop: Header=BB6_8449 Depth=2
	s_delay_alu instid0(SALU_CYCLE_1) | instskip(SKIP_2) | instid1(VALU_DEP_1)
	s_or_b32 exec_lo, exec_lo, s7
	v_dual_lshrrev_b32 v0, 16, v12 :: v_dual_mov_b32 v2, 0
	s_mov_b32 s7, exec_lo
	v_and_b32_e32 v3, 0xff, v0
	s_delay_alu instid0(VALU_DEP_1)
	v_cmpx_ne_u16_e32 0, v3
	s_cbranch_execz .LBB6_8767
; %bb.8758:                             ;   in Loop: Header=BB6_8449 Depth=2
	v_bfrev_b32_e32 v2, 1
	s_mov_b32 s29, exec_lo
	v_cmpx_ne_u16_e32 0x80, v3
	s_cbranch_execz .LBB6_8766
; %bb.8759:                             ;   in Loop: Header=BB6_8449 Depth=2
	v_and_b32_e32 v2, 0x7c0000, v12
	v_bfe_u32 v3, v12, 16, 2
	s_delay_alu instid0(VALU_DEP_2) | instskip(SKIP_1) | instid1(SALU_CYCLE_1)
	v_cmp_ne_u32_e32 vcc_lo, 0x7c0000, v2
                                        ; implicit-def: $vgpr2
	s_and_saveexec_b32 s40, vcc_lo
	s_xor_b32 s40, exec_lo, s40
	s_cbranch_execz .LBB6_8763
; %bb.8760:                             ;   in Loop: Header=BB6_8449 Depth=2
	v_bfe_u32 v2, v12, 18, 5
	s_mov_b32 s41, exec_lo
	s_delay_alu instid0(VALU_DEP_1)
	v_cmpx_eq_u32_e32 0, v2
; %bb.8761:                             ;   in Loop: Header=BB6_8449 Depth=2
	v_clz_i32_u32_e32 v2, v3
	s_delay_alu instid0(VALU_DEP_1) | instskip(NEXT) | instid1(VALU_DEP_1)
	v_min_u32_e32 v2, 32, v2
	v_subrev_nc_u32_e32 v3, 29, v2
	s_delay_alu instid0(VALU_DEP_1) | instskip(NEXT) | instid1(VALU_DEP_1)
	v_lshlrev_b64_e32 v[4:5], v3, v[0:1]
	v_dual_sub_nc_u32 v2, 30, v2 :: v_dual_bitop2_b32 v3, 3, v4 bitop3:0x40
; %bb.8762:                             ;   in Loop: Header=BB6_8449 Depth=2
	s_or_b32 exec_lo, exec_lo, s41
	v_lshlrev_b32_e32 v0, 24, v0
	s_delay_alu instid0(VALU_DEP_1) | instskip(NEXT) | instid1(VALU_DEP_1)
	v_and_b32_e32 v0, 0x80000000, v0
	v_lshl_add_u32 v0, v2, 23, v0
	s_delay_alu instid0(VALU_DEP_1) | instskip(NEXT) | instid1(VALU_DEP_1)
	v_lshl_or_b32 v0, v3, 21, v0
                                        ; implicit-def: $vgpr3
	v_add_nc_u32_e32 v2, 0x38000000, v0
                                        ; implicit-def: $vgpr0
.LBB6_8763:                             ;   in Loop: Header=BB6_8449 Depth=2
	s_and_not1_saveexec_b32 s40, s40
; %bb.8764:                             ;   in Loop: Header=BB6_8449 Depth=2
	v_bfe_i32 v0, v0, 0, 8
	s_delay_alu instid0(VALU_DEP_1) | instskip(SKIP_1) | instid1(VALU_DEP_1)
	v_cmp_lt_i16_e32 vcc_lo, -1, v0
	v_mov_b32_e32 v0, 0x7f800000
	v_cndmask_b32_e32 v0, 0xff800000, v0, vcc_lo
	v_cmp_eq_u32_e32 vcc_lo, 0, v3
	s_delay_alu instid0(VALU_DEP_2)
	v_cndmask_b32_e32 v2, 0x7f800001, v0, vcc_lo
; %bb.8765:                             ;   in Loop: Header=BB6_8449 Depth=2
	s_or_b32 exec_lo, exec_lo, s40
.LBB6_8766:                             ;   in Loop: Header=BB6_8449 Depth=2
	s_delay_alu instid0(SALU_CYCLE_1)
	s_or_b32 exec_lo, exec_lo, s29
.LBB6_8767:                             ;   in Loop: Header=BB6_8449 Depth=2
	s_delay_alu instid0(SALU_CYCLE_1) | instskip(NEXT) | instid1(VALU_DEP_1)
	s_or_b32 exec_lo, exec_lo, s7
	v_dual_mul_f32 v2, s28, v2 :: v_dual_mov_b32 v5, v1
                                        ; implicit-def: $vgpr118
	s_mov_b32 s7, exec_lo
	s_delay_alu instid0(VALU_DEP_1) | instskip(SKIP_2) | instid1(VALU_DEP_3)
	v_and_b32_e32 v4, 0x7f800000, v2
	v_and_b32_e32 v0, 0x7fffff, v2
	v_lshrrev_b32_e32 v3, 24, v2
	v_cmpx_ne_u64_e32 0x7f800000, v[4:5]
	s_xor_b32 s29, exec_lo, s7
	s_cbranch_execz .LBB6_8781
; %bb.8768:                             ;   in Loop: Header=BB6_8449 Depth=2
	v_and_b32_e32 v4, 0x7fffffff, v2
	v_mov_b32_e32 v5, v1
	v_and_b32_e32 v8, 0x80, v3
                                        ; implicit-def: $vgpr118
	s_mov_b32 s7, exec_lo
	s_delay_alu instid0(VALU_DEP_2)
	v_cmpx_gt_u64_e32 0x47600001, v[4:5]
	s_xor_b32 s40, exec_lo, s7
	s_cbranch_execz .LBB6_8778
; %bb.8769:                             ;   in Loop: Header=BB6_8449 Depth=2
	v_mov_b32_e32 v118, 0
	s_mov_b32 s41, exec_lo
	v_cmpx_ne_u32_e32 0, v2
	s_cbranch_execz .LBB6_8777
; %bb.8770:                             ;   in Loop: Header=BB6_8449 Depth=2
	v_bfe_u32 v10, v2, 23, 8
	v_or_b32_e32 v4, 0x800000, v0
	s_mov_b32 s42, exec_lo
	s_delay_alu instid0(VALU_DEP_2) | instskip(SKIP_1) | instid1(VALU_DEP_2)
	v_dual_mov_b32 v5, v1 :: v_dual_sub_nc_u32 v2, 0x71, v10
	v_cmp_gt_u32_e32 vcc_lo, 0x72, v10
	v_cndmask_b32_e32 v2, 0, v2, vcc_lo
	v_cmp_eq_u32_e32 vcc_lo, 0, v10
	s_delay_alu instid0(VALU_DEP_2) | instskip(NEXT) | instid1(VALU_DEP_1)
	v_cndmask_b32_e64 v11, v2, 0x70, vcc_lo
	v_dual_cndmask_b32 v4, v4, v0, vcc_lo :: v_dual_add_nc_u32 v2, 21, v11
	v_add_nc_u32_e32 v14, 20, v11
	s_delay_alu instid0(VALU_DEP_2) | instskip(NEXT) | instid1(VALU_DEP_2)
	v_lshlrev_b64_e64 v[2:3], v2, -1
	v_lshlrev_b64_e64 v[14:15], v14, 1
	s_delay_alu instid0(VALU_DEP_2) | instskip(NEXT) | instid1(VALU_DEP_3)
	v_bfi_b32 v17, v3, 0, 0
	v_bfi_b32 v16, v2, 0, v4
	v_lshrrev_b64 v[2:3], v11, v[4:5]
	s_delay_alu instid0(VALU_DEP_1) | instskip(NEXT) | instid1(VALU_DEP_3)
	v_mov_b64_e32 v[4:5], v[2:3]
	v_cmpx_eq_u64_e64 v[16:17], v[14:15]
; %bb.8771:                             ;   in Loop: Header=BB6_8449 Depth=2
	v_bfe_u32 v4, v2, 21, 1
	v_mov_b32_e32 v5, v1
	s_delay_alu instid0(VALU_DEP_1) | instskip(NEXT) | instid1(VALU_DEP_1)
	v_add_nc_u64_e32 v[4:5], v[2:3], v[4:5]
	v_add_nc_u64_e32 v[4:5], -1, v[4:5]
; %bb.8772:                             ;   in Loop: Header=BB6_8449 Depth=2
	s_or_b32 exec_lo, exec_lo, s42
	v_add_nc_u32_e32 v0, 0xffffff81, v10
	v_lshrrev_b32_e32 v3, 23, v2
	s_mov_b32 s7, exec_lo
	s_delay_alu instid0(VALU_DEP_2) | instskip(NEXT) | instid1(VALU_DEP_1)
	v_cndmask_b32_e64 v0, v0, 0xffffff82, vcc_lo
	v_add3_u32 v5, v11, v0, v3
	v_and_b32_e32 v0, 0x1fffff, v4
                                        ; implicit-def: $vgpr4
	s_delay_alu instid0(VALU_DEP_1) | instskip(NEXT) | instid1(VALU_DEP_1)
	v_dual_add_nc_u32 v10, 14, v5 :: v_dual_add_nc_u32 v0, v0, v2
                                        ; implicit-def: $vgpr2_vgpr3
	v_cmpx_ne_u32_e32 0, v10
	s_xor_b32 s7, exec_lo, s7
; %bb.8773:                             ;   in Loop: Header=BB6_8449 Depth=2
	s_delay_alu instid0(VALU_DEP_2) | instskip(SKIP_1) | instid1(VALU_DEP_1)
	v_cmp_lt_u64_e32 vcc_lo, 0xffffff, v[0:1]
	v_add_nc_u32_e32 v2, 15, v5
	v_cndmask_b32_e32 v4, v10, v2, vcc_lo
	v_cndmask_b32_e64 v2, 0, 1, vcc_lo
	s_delay_alu instid0(VALU_DEP_1)
	v_lshrrev_b64 v[2:3], v2, v[0:1]
; %bb.8774:                             ;   in Loop: Header=BB6_8449 Depth=2
	s_and_not1_saveexec_b32 s7, s7
; %bb.8775:                             ;   in Loop: Header=BB6_8449 Depth=2
	v_mov_b64_e32 v[2:3], v[0:1]
	v_bfe_u32 v4, v0, 23, 1
; %bb.8776:                             ;   in Loop: Header=BB6_8449 Depth=2
	s_or_b32 exec_lo, exec_lo, s7
	s_delay_alu instid0(VALU_DEP_2) | instskip(NEXT) | instid1(VALU_DEP_2)
	v_lshrrev_b64 v[2:3], 21, v[2:3]
	v_cmp_gt_i32_e32 vcc_lo, 32, v4
	v_min_i32_e32 v0, 31, v4
	v_cmp_eq_u32_e64 s7, 0, v4
	s_delay_alu instid0(VALU_DEP_2) | instskip(SKIP_1) | instid1(VALU_DEP_2)
	v_dual_cndmask_b32 v3, 0, v3 :: v_dual_lshlrev_b32 v0, 2, v0
	v_cndmask_b32_e32 v2, 3, v2, vcc_lo
	v_and_b32_e32 v0, 0xfc, v0
	s_delay_alu instid0(VALU_DEP_2) | instskip(NEXT) | instid1(VALU_DEP_2)
	v_cmp_eq_u64_e32 vcc_lo, 0, v[2:3]
	v_and_or_b32 v0, v2, 3, v0
	s_and_b32 s7, s7, vcc_lo
	s_delay_alu instid0(VALU_DEP_1) | instid1(SALU_CYCLE_1)
	v_cndmask_b32_e64 v0, v0, 0, s7
	s_delay_alu instid0(VALU_DEP_1)
	v_or_b32_e32 v118, v0, v8
.LBB6_8777:                             ;   in Loop: Header=BB6_8449 Depth=2
	s_or_b32 exec_lo, exec_lo, s41
                                        ; implicit-def: $vgpr8
.LBB6_8778:                             ;   in Loop: Header=BB6_8449 Depth=2
	s_and_not1_saveexec_b32 s7, s40
; %bb.8779:                             ;   in Loop: Header=BB6_8449 Depth=2
	v_or_b32_e32 v118, 0x7b, v8
; %bb.8780:                             ;   in Loop: Header=BB6_8449 Depth=2
	s_or_b32 exec_lo, exec_lo, s7
                                        ; implicit-def: $vgpr2
                                        ; implicit-def: $vgpr3
.LBB6_8781:                             ;   in Loop: Header=BB6_8449 Depth=2
	s_and_not1_saveexec_b32 s7, s29
	s_cbranch_execz .LBB6_8787
; %bb.8782:                             ;   in Loop: Header=BB6_8449 Depth=2
	s_mov_b32 s29, exec_lo
                                        ; implicit-def: $vgpr118
	v_cmpx_ne_u64_e32 0, v[0:1]
	s_xor_b32 s29, exec_lo, s29
; %bb.8783:                             ;   in Loop: Header=BB6_8449 Depth=2
	v_or_b32_e32 v118, 0x7f, v3
                                        ; implicit-def: $vgpr2
; %bb.8784:                             ;   in Loop: Header=BB6_8449 Depth=2
	s_and_not1_saveexec_b32 s29, s29
; %bb.8785:                             ;   in Loop: Header=BB6_8449 Depth=2
	v_cmp_lt_i32_e32 vcc_lo, -1, v2
	v_mov_b32_e32 v0, 0x7c
	s_delay_alu instid0(VALU_DEP_1)
	v_cndmask_b32_e32 v118, 0xfc, v0, vcc_lo
; %bb.8786:                             ;   in Loop: Header=BB6_8449 Depth=2
	s_or_b32 exec_lo, exec_lo, s29
.LBB6_8787:                             ;   in Loop: Header=BB6_8449 Depth=2
	s_delay_alu instid0(SALU_CYCLE_1)
	s_or_b32 exec_lo, exec_lo, s7
	v_mov_b32_e32 v2, 0
	s_mov_b32 s7, exec_lo
	v_cmpx_lt_u32_e32 0xffffff, v12
	s_cbranch_execz .LBB6_8797
; %bb.8788:                             ;   in Loop: Header=BB6_8449 Depth=2
	v_lshrrev_b32_e32 v0, 24, v12
	v_bfrev_b32_e32 v2, 1
	s_mov_b32 s29, exec_lo
	s_delay_alu instid0(VALU_DEP_2)
	v_cmpx_ne_u32_e32 0x80, v0
	s_cbranch_execz .LBB6_8796
; %bb.8789:                             ;   in Loop: Header=BB6_8449 Depth=2
	v_and_b32_e32 v2, 0x7c000000, v12
	v_bfe_u32 v3, v12, 24, 2
	s_delay_alu instid0(VALU_DEP_2) | instskip(SKIP_1) | instid1(SALU_CYCLE_1)
	v_cmp_ne_u32_e32 vcc_lo, 0x7c000000, v2
                                        ; implicit-def: $vgpr2
	s_and_saveexec_b32 s40, vcc_lo
	s_xor_b32 s40, exec_lo, s40
	s_cbranch_execz .LBB6_8793
; %bb.8790:                             ;   in Loop: Header=BB6_8449 Depth=2
	v_bfe_u32 v2, v12, 26, 5
	s_mov_b32 s41, exec_lo
	s_delay_alu instid0(VALU_DEP_1)
	v_cmpx_eq_u32_e32 0, v2
; %bb.8791:                             ;   in Loop: Header=BB6_8449 Depth=2
	v_clz_i32_u32_e32 v2, v3
	s_delay_alu instid0(VALU_DEP_1) | instskip(NEXT) | instid1(VALU_DEP_1)
	v_min_u32_e32 v2, 32, v2
	v_subrev_nc_u32_e32 v3, 29, v2
	s_delay_alu instid0(VALU_DEP_1) | instskip(NEXT) | instid1(VALU_DEP_1)
	v_lshlrev_b64_e32 v[4:5], v3, v[0:1]
	v_dual_sub_nc_u32 v2, 30, v2 :: v_dual_bitop2_b32 v3, 3, v4 bitop3:0x40
; %bb.8792:                             ;   in Loop: Header=BB6_8449 Depth=2
	s_or_b32 exec_lo, exec_lo, s41
	v_and_b32_e32 v0, 0x80000000, v12
	s_delay_alu instid0(VALU_DEP_1) | instskip(NEXT) | instid1(VALU_DEP_1)
	v_lshl_add_u32 v0, v2, 23, v0
	v_lshl_or_b32 v0, v3, 21, v0
                                        ; implicit-def: $vgpr3
	s_delay_alu instid0(VALU_DEP_1)
	v_add_nc_u32_e32 v2, 0x38000000, v0
.LBB6_8793:                             ;   in Loop: Header=BB6_8449 Depth=2
	s_and_not1_saveexec_b32 s40, s40
; %bb.8794:                             ;   in Loop: Header=BB6_8449 Depth=2
	v_cmp_lt_i32_e32 vcc_lo, -1, v12
	v_mov_b32_e32 v0, 0x7f800000
	s_delay_alu instid0(VALU_DEP_1) | instskip(SKIP_1) | instid1(VALU_DEP_2)
	v_cndmask_b32_e32 v0, 0xff800000, v0, vcc_lo
	v_cmp_eq_u32_e32 vcc_lo, 0, v3
	v_cndmask_b32_e32 v2, 0x7f800001, v0, vcc_lo
; %bb.8795:                             ;   in Loop: Header=BB6_8449 Depth=2
	s_or_b32 exec_lo, exec_lo, s40
.LBB6_8796:                             ;   in Loop: Header=BB6_8449 Depth=2
	s_delay_alu instid0(SALU_CYCLE_1)
	s_or_b32 exec_lo, exec_lo, s29
.LBB6_8797:                             ;   in Loop: Header=BB6_8449 Depth=2
	s_delay_alu instid0(SALU_CYCLE_1) | instskip(NEXT) | instid1(VALU_DEP_1)
	s_or_b32 exec_lo, exec_lo, s7
	v_dual_mul_f32 v2, s28, v2 :: v_dual_mov_b32 v5, v1
                                        ; implicit-def: $vgpr63
	s_mov_b32 s7, exec_lo
	s_delay_alu instid0(VALU_DEP_1) | instskip(SKIP_2) | instid1(VALU_DEP_3)
	v_and_b32_e32 v4, 0x7f800000, v2
	v_and_b32_e32 v0, 0x7fffff, v2
	v_lshrrev_b32_e32 v3, 24, v2
	v_cmpx_ne_u64_e32 0x7f800000, v[4:5]
	s_xor_b32 s29, exec_lo, s7
	s_cbranch_execz .LBB6_8811
; %bb.8798:                             ;   in Loop: Header=BB6_8449 Depth=2
	v_and_b32_e32 v4, 0x7fffffff, v2
	v_mov_b32_e32 v5, v1
	v_and_b32_e32 v8, 0x80, v3
                                        ; implicit-def: $vgpr63
	s_mov_b32 s7, exec_lo
	s_delay_alu instid0(VALU_DEP_2)
	v_cmpx_gt_u64_e32 0x47600001, v[4:5]
	s_xor_b32 s40, exec_lo, s7
	s_cbranch_execz .LBB6_8808
; %bb.8799:                             ;   in Loop: Header=BB6_8449 Depth=2
	v_mov_b32_e32 v63, 0
	s_mov_b32 s41, exec_lo
	v_cmpx_ne_u32_e32 0, v2
	s_cbranch_execz .LBB6_8807
; %bb.8800:                             ;   in Loop: Header=BB6_8449 Depth=2
	v_bfe_u32 v10, v2, 23, 8
	v_or_b32_e32 v4, 0x800000, v0
	s_mov_b32 s42, exec_lo
	s_delay_alu instid0(VALU_DEP_2) | instskip(SKIP_1) | instid1(VALU_DEP_2)
	v_dual_mov_b32 v5, v1 :: v_dual_sub_nc_u32 v2, 0x71, v10
	v_cmp_gt_u32_e32 vcc_lo, 0x72, v10
	v_cndmask_b32_e32 v2, 0, v2, vcc_lo
	v_cmp_eq_u32_e32 vcc_lo, 0, v10
	s_delay_alu instid0(VALU_DEP_2) | instskip(NEXT) | instid1(VALU_DEP_1)
	v_cndmask_b32_e64 v11, v2, 0x70, vcc_lo
	v_dual_cndmask_b32 v4, v4, v0, vcc_lo :: v_dual_add_nc_u32 v2, 21, v11
	v_add_nc_u32_e32 v14, 20, v11
	s_delay_alu instid0(VALU_DEP_2) | instskip(NEXT) | instid1(VALU_DEP_2)
	v_lshlrev_b64_e64 v[2:3], v2, -1
	v_lshlrev_b64_e64 v[14:15], v14, 1
	s_delay_alu instid0(VALU_DEP_2) | instskip(NEXT) | instid1(VALU_DEP_3)
	v_bfi_b32 v17, v3, 0, 0
	v_bfi_b32 v16, v2, 0, v4
	v_lshrrev_b64 v[2:3], v11, v[4:5]
	s_delay_alu instid0(VALU_DEP_1) | instskip(NEXT) | instid1(VALU_DEP_3)
	v_mov_b64_e32 v[4:5], v[2:3]
	v_cmpx_eq_u64_e64 v[16:17], v[14:15]
; %bb.8801:                             ;   in Loop: Header=BB6_8449 Depth=2
	v_bfe_u32 v4, v2, 21, 1
	v_mov_b32_e32 v5, v1
	s_delay_alu instid0(VALU_DEP_1) | instskip(NEXT) | instid1(VALU_DEP_1)
	v_add_nc_u64_e32 v[4:5], v[2:3], v[4:5]
	v_add_nc_u64_e32 v[4:5], -1, v[4:5]
; %bb.8802:                             ;   in Loop: Header=BB6_8449 Depth=2
	s_or_b32 exec_lo, exec_lo, s42
	v_add_nc_u32_e32 v0, 0xffffff81, v10
	v_lshrrev_b32_e32 v3, 23, v2
	s_mov_b32 s7, exec_lo
	s_delay_alu instid0(VALU_DEP_2) | instskip(NEXT) | instid1(VALU_DEP_1)
	v_cndmask_b32_e64 v0, v0, 0xffffff82, vcc_lo
	v_add3_u32 v5, v11, v0, v3
	v_and_b32_e32 v0, 0x1fffff, v4
                                        ; implicit-def: $vgpr4
	s_delay_alu instid0(VALU_DEP_1) | instskip(NEXT) | instid1(VALU_DEP_1)
	v_dual_add_nc_u32 v10, 14, v5 :: v_dual_add_nc_u32 v0, v0, v2
                                        ; implicit-def: $vgpr2_vgpr3
	v_cmpx_ne_u32_e32 0, v10
	s_xor_b32 s7, exec_lo, s7
; %bb.8803:                             ;   in Loop: Header=BB6_8449 Depth=2
	s_delay_alu instid0(VALU_DEP_2) | instskip(SKIP_1) | instid1(VALU_DEP_1)
	v_cmp_lt_u64_e32 vcc_lo, 0xffffff, v[0:1]
	v_add_nc_u32_e32 v2, 15, v5
	v_cndmask_b32_e32 v4, v10, v2, vcc_lo
	v_cndmask_b32_e64 v2, 0, 1, vcc_lo
	s_delay_alu instid0(VALU_DEP_1)
	v_lshrrev_b64 v[2:3], v2, v[0:1]
; %bb.8804:                             ;   in Loop: Header=BB6_8449 Depth=2
	s_and_not1_saveexec_b32 s7, s7
; %bb.8805:                             ;   in Loop: Header=BB6_8449 Depth=2
	v_mov_b64_e32 v[2:3], v[0:1]
	v_bfe_u32 v4, v0, 23, 1
; %bb.8806:                             ;   in Loop: Header=BB6_8449 Depth=2
	s_or_b32 exec_lo, exec_lo, s7
	s_delay_alu instid0(VALU_DEP_2) | instskip(NEXT) | instid1(VALU_DEP_2)
	v_lshrrev_b64 v[2:3], 21, v[2:3]
	v_cmp_gt_i32_e32 vcc_lo, 32, v4
	v_min_i32_e32 v0, 31, v4
	v_cmp_eq_u32_e64 s7, 0, v4
	s_delay_alu instid0(VALU_DEP_2) | instskip(SKIP_1) | instid1(VALU_DEP_2)
	v_dual_cndmask_b32 v3, 0, v3 :: v_dual_lshlrev_b32 v0, 2, v0
	v_cndmask_b32_e32 v2, 3, v2, vcc_lo
	v_and_b32_e32 v0, 0xfc, v0
	s_delay_alu instid0(VALU_DEP_2) | instskip(NEXT) | instid1(VALU_DEP_2)
	v_cmp_eq_u64_e32 vcc_lo, 0, v[2:3]
	v_and_or_b32 v0, v2, 3, v0
	s_and_b32 s7, s7, vcc_lo
	s_delay_alu instid0(VALU_DEP_1) | instid1(SALU_CYCLE_1)
	v_cndmask_b32_e64 v0, v0, 0, s7
	s_delay_alu instid0(VALU_DEP_1)
	v_or_b32_e32 v63, v0, v8
.LBB6_8807:                             ;   in Loop: Header=BB6_8449 Depth=2
	s_or_b32 exec_lo, exec_lo, s41
                                        ; implicit-def: $vgpr8
.LBB6_8808:                             ;   in Loop: Header=BB6_8449 Depth=2
	s_and_not1_saveexec_b32 s7, s40
; %bb.8809:                             ;   in Loop: Header=BB6_8449 Depth=2
	v_or_b32_e32 v63, 0x7b, v8
; %bb.8810:                             ;   in Loop: Header=BB6_8449 Depth=2
	s_or_b32 exec_lo, exec_lo, s7
                                        ; implicit-def: $vgpr2
                                        ; implicit-def: $vgpr3
.LBB6_8811:                             ;   in Loop: Header=BB6_8449 Depth=2
	s_and_not1_saveexec_b32 s7, s29
	s_cbranch_execz .LBB6_8817
; %bb.8812:                             ;   in Loop: Header=BB6_8449 Depth=2
	s_mov_b32 s29, exec_lo
                                        ; implicit-def: $vgpr63
	v_cmpx_ne_u64_e32 0, v[0:1]
	s_xor_b32 s29, exec_lo, s29
; %bb.8813:                             ;   in Loop: Header=BB6_8449 Depth=2
	v_or_b32_e32 v63, 0x7f, v3
                                        ; implicit-def: $vgpr2
; %bb.8814:                             ;   in Loop: Header=BB6_8449 Depth=2
	s_and_not1_saveexec_b32 s29, s29
; %bb.8815:                             ;   in Loop: Header=BB6_8449 Depth=2
	v_cmp_lt_i32_e32 vcc_lo, -1, v2
	v_mov_b32_e32 v0, 0x7c
	s_delay_alu instid0(VALU_DEP_1)
	v_cndmask_b32_e32 v63, 0xfc, v0, vcc_lo
; %bb.8816:                             ;   in Loop: Header=BB6_8449 Depth=2
	s_or_b32 exec_lo, exec_lo, s29
.LBB6_8817:                             ;   in Loop: Header=BB6_8449 Depth=2
	s_delay_alu instid0(SALU_CYCLE_1) | instskip(SKIP_3) | instid1(VALU_DEP_2)
	s_or_b32 exec_lo, exec_lo, s7
	v_and_b32_e32 v3, 0xff, v13
	v_dual_mov_b32 v0, v13 :: v_dual_mov_b32 v2, 0
	s_mov_b32 s7, exec_lo
	v_cmpx_ne_u16_e32 0, v3
	s_cbranch_execz .LBB6_8827
; %bb.8818:                             ;   in Loop: Header=BB6_8449 Depth=2
	v_bfrev_b32_e32 v2, 1
	s_mov_b32 s29, exec_lo
	v_cmpx_ne_u16_e32 0x80, v3
	s_cbranch_execz .LBB6_8826
; %bb.8819:                             ;   in Loop: Header=BB6_8449 Depth=2
	v_and_b32_e32 v2, 0x7c, v13
	v_and_b32_e32 v3, 3, v13
	s_delay_alu instid0(VALU_DEP_2) | instskip(SKIP_1) | instid1(SALU_CYCLE_1)
	v_cmp_ne_u32_e32 vcc_lo, 0x7c, v2
                                        ; implicit-def: $vgpr2
	s_and_saveexec_b32 s40, vcc_lo
	s_xor_b32 s40, exec_lo, s40
	s_cbranch_execz .LBB6_8823
; %bb.8820:                             ;   in Loop: Header=BB6_8449 Depth=2
	v_bfe_u32 v2, v13, 2, 5
	s_mov_b32 s41, exec_lo
	s_delay_alu instid0(VALU_DEP_1)
	v_cmpx_eq_u32_e32 0, v2
; %bb.8821:                             ;   in Loop: Header=BB6_8449 Depth=2
	v_clz_i32_u32_e32 v2, v3
	s_delay_alu instid0(VALU_DEP_1) | instskip(NEXT) | instid1(VALU_DEP_1)
	v_min_u32_e32 v2, 32, v2
	v_subrev_nc_u32_e32 v3, 29, v2
	s_delay_alu instid0(VALU_DEP_1) | instskip(NEXT) | instid1(VALU_DEP_1)
	v_lshlrev_b64_e32 v[4:5], v3, v[0:1]
	v_dual_sub_nc_u32 v2, 30, v2 :: v_dual_bitop2_b32 v3, 3, v4 bitop3:0x40
; %bb.8822:                             ;   in Loop: Header=BB6_8449 Depth=2
	s_or_b32 exec_lo, exec_lo, s41
	v_lshlrev_b32_e32 v4, 24, v13
	s_delay_alu instid0(VALU_DEP_1) | instskip(NEXT) | instid1(VALU_DEP_1)
	v_and_b32_e32 v4, 0x80000000, v4
	v_lshl_add_u32 v2, v2, 23, v4
	s_delay_alu instid0(VALU_DEP_1) | instskip(NEXT) | instid1(VALU_DEP_1)
	v_lshl_or_b32 v2, v3, 21, v2
                                        ; implicit-def: $vgpr3
	v_add_nc_u32_e32 v2, 0x38000000, v2
.LBB6_8823:                             ;   in Loop: Header=BB6_8449 Depth=2
	s_and_not1_saveexec_b32 s40, s40
; %bb.8824:                             ;   in Loop: Header=BB6_8449 Depth=2
	v_bfe_i32 v2, v13, 0, 8
	s_delay_alu instid0(VALU_DEP_1) | instskip(SKIP_1) | instid1(VALU_DEP_1)
	v_cmp_lt_i16_e32 vcc_lo, -1, v2
	v_mov_b32_e32 v2, 0x7f800000
	v_cndmask_b32_e32 v2, 0xff800000, v2, vcc_lo
	v_cmp_eq_u32_e32 vcc_lo, 0, v3
	s_delay_alu instid0(VALU_DEP_2)
	v_cndmask_b32_e32 v2, 0x7f800001, v2, vcc_lo
; %bb.8825:                             ;   in Loop: Header=BB6_8449 Depth=2
	s_or_b32 exec_lo, exec_lo, s40
.LBB6_8826:                             ;   in Loop: Header=BB6_8449 Depth=2
	s_delay_alu instid0(SALU_CYCLE_1)
	s_or_b32 exec_lo, exec_lo, s29
.LBB6_8827:                             ;   in Loop: Header=BB6_8449 Depth=2
	s_delay_alu instid0(SALU_CYCLE_1) | instskip(NEXT) | instid1(VALU_DEP_1)
	s_or_b32 exec_lo, exec_lo, s7
	v_dual_mul_f32 v4, s28, v2 :: v_dual_mov_b32 v11, v1
	v_mov_b32_e32 v3, v1
                                        ; implicit-def: $vgpr42
	s_mov_b32 s7, exec_lo
	s_delay_alu instid0(VALU_DEP_2) | instskip(SKIP_2) | instid1(VALU_DEP_3)
	v_and_b32_e32 v10, 0x7f800000, v4
	v_and_b32_e32 v2, 0x7fffff, v4
	v_lshrrev_b32_e32 v5, 24, v4
	v_cmpx_ne_u64_e32 0x7f800000, v[10:11]
	s_xor_b32 s29, exec_lo, s7
	s_cbranch_execz .LBB6_8841
; %bb.8828:                             ;   in Loop: Header=BB6_8449 Depth=2
	v_and_b32_e32 v10, 0x7fffffff, v4
	v_mov_b32_e32 v11, v1
	v_and_b32_e32 v8, 0x80, v5
                                        ; implicit-def: $vgpr42
	s_mov_b32 s7, exec_lo
	s_delay_alu instid0(VALU_DEP_2)
	v_cmpx_gt_u64_e32 0x47600001, v[10:11]
	s_xor_b32 s40, exec_lo, s7
	s_cbranch_execz .LBB6_8838
; %bb.8829:                             ;   in Loop: Header=BB6_8449 Depth=2
	v_mov_b32_e32 v42, 0
	s_mov_b32 s41, exec_lo
	v_cmpx_ne_u32_e32 0, v4
	s_cbranch_execz .LBB6_8837
; %bb.8830:                             ;   in Loop: Header=BB6_8449 Depth=2
	v_bfe_u32 v10, v4, 23, 8
	v_or_b32_e32 v14, 0x800000, v2
	s_delay_alu instid0(VALU_DEP_2) | instskip(SKIP_1) | instid1(VALU_DEP_2)
	v_sub_nc_u32_e32 v4, 0x71, v10
	v_cmp_gt_u32_e32 vcc_lo, 0x72, v10
	v_cndmask_b32_e32 v4, 0, v4, vcc_lo
	v_cmp_eq_u32_e32 vcc_lo, 0, v10
	s_delay_alu instid0(VALU_DEP_2) | instskip(NEXT) | instid1(VALU_DEP_1)
	v_cndmask_b32_e64 v11, v4, 0x70, vcc_lo
	v_dual_cndmask_b32 v2, v14, v2, vcc_lo :: v_dual_add_nc_u32 v4, 21, v11
	v_add_nc_u32_e32 v15, 20, v11
	s_delay_alu instid0(VALU_DEP_2) | instskip(NEXT) | instid1(VALU_DEP_2)
	v_lshlrev_b64_e64 v[4:5], v4, -1
	v_lshlrev_b64_e64 v[14:15], v15, 1
	s_delay_alu instid0(VALU_DEP_2) | instskip(SKIP_1) | instid1(VALU_DEP_4)
	v_bfi_b32 v4, v4, 0, v2
	v_lshrrev_b64 v[2:3], v11, v[2:3]
	v_bfi_b32 v5, v5, 0, 0
	s_delay_alu instid0(VALU_DEP_1) | instskip(NEXT) | instid1(VALU_DEP_3)
	v_cmp_eq_u64_e64 s7, v[4:5], v[14:15]
	v_mov_b64_e32 v[4:5], v[2:3]
	s_and_saveexec_b32 s42, s7
; %bb.8831:                             ;   in Loop: Header=BB6_8449 Depth=2
	v_bfe_u32 v4, v2, 21, 1
	v_mov_b32_e32 v5, v1
	s_delay_alu instid0(VALU_DEP_1) | instskip(NEXT) | instid1(VALU_DEP_1)
	v_add_nc_u64_e32 v[4:5], v[2:3], v[4:5]
	v_add_nc_u64_e32 v[4:5], -1, v[4:5]
; %bb.8832:                             ;   in Loop: Header=BB6_8449 Depth=2
	s_or_b32 exec_lo, exec_lo, s42
	v_add_nc_u32_e32 v3, 0xffffff81, v10
	v_lshrrev_b32_e32 v5, 23, v2
	s_mov_b32 s7, exec_lo
	s_delay_alu instid0(VALU_DEP_2) | instskip(NEXT) | instid1(VALU_DEP_1)
	v_cndmask_b32_e64 v3, v3, 0xffffff82, vcc_lo
	v_add3_u32 v5, v11, v3, v5
	v_and_b32_e32 v3, 0x1fffff, v4
                                        ; implicit-def: $vgpr4
	s_delay_alu instid0(VALU_DEP_1) | instskip(SKIP_1) | instid1(VALU_DEP_2)
	v_dual_add_nc_u32 v10, 14, v5 :: v_dual_add_nc_u32 v2, v3, v2
	v_mov_b32_e32 v3, v1
	v_cmpx_ne_u32_e32 0, v10
	s_xor_b32 s7, exec_lo, s7
; %bb.8833:                             ;   in Loop: Header=BB6_8449 Depth=2
	s_delay_alu instid0(VALU_DEP_2) | instskip(SKIP_2) | instid1(VALU_DEP_2)
	v_cmp_lt_u64_e32 vcc_lo, 0xffffff, v[2:3]
	v_add_nc_u32_e32 v4, 15, v5
	v_cndmask_b32_e64 v5, 0, 1, vcc_lo
	v_cndmask_b32_e32 v4, v10, v4, vcc_lo
	s_delay_alu instid0(VALU_DEP_2)
	v_lshrrev_b64 v[2:3], v5, v[2:3]
; %bb.8834:                             ;   in Loop: Header=BB6_8449 Depth=2
	s_and_not1_saveexec_b32 s7, s7
; %bb.8835:                             ;   in Loop: Header=BB6_8449 Depth=2
	s_delay_alu instid0(VALU_DEP_1)
	v_bfe_u32 v4, v2, 23, 1
; %bb.8836:                             ;   in Loop: Header=BB6_8449 Depth=2
	s_or_b32 exec_lo, exec_lo, s7
	s_delay_alu instid0(VALU_DEP_2) | instskip(NEXT) | instid1(VALU_DEP_2)
	v_lshrrev_b64 v[2:3], 21, v[2:3]
	v_cmp_gt_i32_e32 vcc_lo, 32, v4
	v_min_i32_e32 v5, 31, v4
	v_cmp_eq_u32_e64 s7, 0, v4
	s_delay_alu instid0(VALU_DEP_2) | instskip(SKIP_1) | instid1(VALU_DEP_2)
	v_dual_cndmask_b32 v3, 0, v3, vcc_lo :: v_dual_lshlrev_b32 v5, 2, v5
	v_cndmask_b32_e32 v2, 3, v2, vcc_lo
	v_and_b32_e32 v5, 0xfc, v5
	s_delay_alu instid0(VALU_DEP_2) | instskip(NEXT) | instid1(VALU_DEP_2)
	v_cmp_eq_u64_e32 vcc_lo, 0, v[2:3]
	v_and_or_b32 v2, v2, 3, v5
	s_and_b32 s7, s7, vcc_lo
	s_delay_alu instid0(VALU_DEP_1) | instid1(SALU_CYCLE_1)
	v_cndmask_b32_e64 v2, v2, 0, s7
	s_delay_alu instid0(VALU_DEP_1)
	v_or_b32_e32 v42, v2, v8
.LBB6_8837:                             ;   in Loop: Header=BB6_8449 Depth=2
	s_or_b32 exec_lo, exec_lo, s41
                                        ; implicit-def: $vgpr8
.LBB6_8838:                             ;   in Loop: Header=BB6_8449 Depth=2
	s_and_not1_saveexec_b32 s7, s40
; %bb.8839:                             ;   in Loop: Header=BB6_8449 Depth=2
	v_or_b32_e32 v42, 0x7b, v8
; %bb.8840:                             ;   in Loop: Header=BB6_8449 Depth=2
	s_or_b32 exec_lo, exec_lo, s7
                                        ; implicit-def: $vgpr4
                                        ; implicit-def: $vgpr2_vgpr3
                                        ; implicit-def: $vgpr5
.LBB6_8841:                             ;   in Loop: Header=BB6_8449 Depth=2
	s_and_not1_saveexec_b32 s7, s29
	s_cbranch_execz .LBB6_8847
; %bb.8842:                             ;   in Loop: Header=BB6_8449 Depth=2
	s_mov_b32 s29, exec_lo
                                        ; implicit-def: $vgpr42
	v_cmpx_ne_u64_e32 0, v[2:3]
	s_xor_b32 s29, exec_lo, s29
; %bb.8843:                             ;   in Loop: Header=BB6_8449 Depth=2
	v_or_b32_e32 v42, 0x7f, v5
                                        ; implicit-def: $vgpr4
; %bb.8844:                             ;   in Loop: Header=BB6_8449 Depth=2
	s_and_not1_saveexec_b32 s29, s29
; %bb.8845:                             ;   in Loop: Header=BB6_8449 Depth=2
	v_cmp_lt_i32_e32 vcc_lo, -1, v4
	v_mov_b32_e32 v2, 0x7c
	s_delay_alu instid0(VALU_DEP_1)
	v_cndmask_b32_e32 v42, 0xfc, v2, vcc_lo
; %bb.8846:                             ;   in Loop: Header=BB6_8449 Depth=2
	s_or_b32 exec_lo, exec_lo, s29
.LBB6_8847:                             ;   in Loop: Header=BB6_8449 Depth=2
	s_delay_alu instid0(SALU_CYCLE_1) | instskip(SKIP_3) | instid1(VALU_DEP_2)
	s_or_b32 exec_lo, exec_lo, s7
	v_lshrrev_b16 v2, 8, v0
	v_mov_b32_e32 v4, 0
	s_mov_b32 s7, exec_lo
	v_cmpx_ne_u16_e32 0, v2
	s_cbranch_execz .LBB6_8857
; %bb.8848:                             ;   in Loop: Header=BB6_8449 Depth=2
	v_bfrev_b32_e32 v4, 1
	s_mov_b32 s29, exec_lo
	v_cmpx_ne_u16_e32 0x80, v2
	s_cbranch_execz .LBB6_8856
; %bb.8849:                             ;   in Loop: Header=BB6_8449 Depth=2
	v_and_b32_e32 v5, 0xffff, v2
	s_delay_alu instid0(VALU_DEP_1) | instskip(SKIP_1) | instid1(VALU_DEP_2)
	v_and_b32_e32 v4, 0x7c, v5
	v_and_b32_e32 v3, 3, v5
	v_cmp_ne_u32_e32 vcc_lo, 0x7c, v4
                                        ; implicit-def: $vgpr4
	s_and_saveexec_b32 s40, vcc_lo
	s_delay_alu instid0(SALU_CYCLE_1)
	s_xor_b32 s40, exec_lo, s40
	s_cbranch_execz .LBB6_8853
; %bb.8850:                             ;   in Loop: Header=BB6_8449 Depth=2
	v_bfe_u32 v4, v5, 2, 5
	s_mov_b32 s41, exec_lo
	s_delay_alu instid0(VALU_DEP_1)
	v_cmpx_eq_u32_e32 0, v4
	s_cbranch_execz .LBB6_8852
; %bb.8851:                             ;   in Loop: Header=BB6_8449 Depth=2
	v_clz_i32_u32_e32 v3, v3
	s_delay_alu instid0(VALU_DEP_1) | instskip(SKIP_1) | instid1(VALU_DEP_2)
	v_min_u32_e32 v4, 32, v3
	v_mov_b32_e32 v3, v1
	v_subrev_nc_u32_e32 v5, 29, v4
	v_sub_nc_u32_e32 v4, 30, v4
	s_delay_alu instid0(VALU_DEP_2) | instskip(NEXT) | instid1(VALU_DEP_1)
	v_lshlrev_b64_e32 v[2:3], v5, v[2:3]
	v_and_b32_e32 v3, 3, v2
.LBB6_8852:                             ;   in Loop: Header=BB6_8449 Depth=2
	s_or_b32 exec_lo, exec_lo, s41
	v_lshlrev_b32_e32 v0, 16, v0
	s_delay_alu instid0(VALU_DEP_1) | instskip(NEXT) | instid1(VALU_DEP_1)
	v_and_b32_e32 v0, 0x80000000, v0
	v_lshl_add_u32 v0, v4, 23, v0
	s_delay_alu instid0(VALU_DEP_1) | instskip(NEXT) | instid1(VALU_DEP_1)
	v_lshl_or_b32 v0, v3, 21, v0
                                        ; implicit-def: $vgpr3
	v_add_nc_u32_e32 v4, 0x38000000, v0
.LBB6_8853:                             ;   in Loop: Header=BB6_8449 Depth=2
	s_and_not1_saveexec_b32 s40, s40
; %bb.8854:                             ;   in Loop: Header=BB6_8449 Depth=2
	v_cmp_lt_i16_e32 vcc_lo, -1, v0
	v_mov_b32_e32 v0, 0x7f800000
	s_delay_alu instid0(VALU_DEP_1) | instskip(SKIP_1) | instid1(VALU_DEP_2)
	v_cndmask_b32_e32 v0, 0xff800000, v0, vcc_lo
	v_cmp_eq_u32_e32 vcc_lo, 0, v3
	v_cndmask_b32_e32 v4, 0x7f800001, v0, vcc_lo
; %bb.8855:                             ;   in Loop: Header=BB6_8449 Depth=2
	s_or_b32 exec_lo, exec_lo, s40
.LBB6_8856:                             ;   in Loop: Header=BB6_8449 Depth=2
	s_delay_alu instid0(SALU_CYCLE_1)
	s_or_b32 exec_lo, exec_lo, s29
.LBB6_8857:                             ;   in Loop: Header=BB6_8449 Depth=2
	s_delay_alu instid0(SALU_CYCLE_1) | instskip(NEXT) | instid1(VALU_DEP_1)
	s_or_b32 exec_lo, exec_lo, s7
	v_dual_mul_f32 v2, s28, v4 :: v_dual_mov_b32 v5, v1
                                        ; implicit-def: $vgpr47
	s_mov_b32 s7, exec_lo
	s_delay_alu instid0(VALU_DEP_1) | instskip(SKIP_2) | instid1(VALU_DEP_3)
	v_and_b32_e32 v4, 0x7f800000, v2
	v_and_b32_e32 v0, 0x7fffff, v2
	v_lshrrev_b32_e32 v3, 24, v2
	v_cmpx_ne_u64_e32 0x7f800000, v[4:5]
	s_xor_b32 s29, exec_lo, s7
	s_cbranch_execz .LBB6_8871
; %bb.8858:                             ;   in Loop: Header=BB6_8449 Depth=2
	v_and_b32_e32 v4, 0x7fffffff, v2
	v_mov_b32_e32 v5, v1
	v_and_b32_e32 v8, 0x80, v3
                                        ; implicit-def: $vgpr47
	s_mov_b32 s7, exec_lo
	s_delay_alu instid0(VALU_DEP_2)
	v_cmpx_gt_u64_e32 0x47600001, v[4:5]
	s_xor_b32 s40, exec_lo, s7
	s_cbranch_execz .LBB6_8868
; %bb.8859:                             ;   in Loop: Header=BB6_8449 Depth=2
	v_mov_b32_e32 v47, 0
	s_mov_b32 s41, exec_lo
	v_cmpx_ne_u32_e32 0, v2
	s_cbranch_execz .LBB6_8867
; %bb.8860:                             ;   in Loop: Header=BB6_8449 Depth=2
	v_bfe_u32 v10, v2, 23, 8
	v_or_b32_e32 v4, 0x800000, v0
	s_mov_b32 s42, exec_lo
	s_delay_alu instid0(VALU_DEP_2) | instskip(SKIP_1) | instid1(VALU_DEP_2)
	v_dual_mov_b32 v5, v1 :: v_dual_sub_nc_u32 v2, 0x71, v10
	v_cmp_gt_u32_e32 vcc_lo, 0x72, v10
	v_cndmask_b32_e32 v2, 0, v2, vcc_lo
	v_cmp_eq_u32_e32 vcc_lo, 0, v10
	s_delay_alu instid0(VALU_DEP_2) | instskip(NEXT) | instid1(VALU_DEP_1)
	v_cndmask_b32_e64 v11, v2, 0x70, vcc_lo
	v_dual_cndmask_b32 v4, v4, v0, vcc_lo :: v_dual_add_nc_u32 v2, 21, v11
	v_add_nc_u32_e32 v14, 20, v11
	s_delay_alu instid0(VALU_DEP_2) | instskip(NEXT) | instid1(VALU_DEP_2)
	v_lshlrev_b64_e64 v[2:3], v2, -1
	v_lshlrev_b64_e64 v[14:15], v14, 1
	s_delay_alu instid0(VALU_DEP_2) | instskip(NEXT) | instid1(VALU_DEP_3)
	v_bfi_b32 v17, v3, 0, 0
	v_bfi_b32 v16, v2, 0, v4
	v_lshrrev_b64 v[2:3], v11, v[4:5]
	s_delay_alu instid0(VALU_DEP_1) | instskip(NEXT) | instid1(VALU_DEP_3)
	v_mov_b64_e32 v[4:5], v[2:3]
	v_cmpx_eq_u64_e64 v[16:17], v[14:15]
; %bb.8861:                             ;   in Loop: Header=BB6_8449 Depth=2
	v_bfe_u32 v4, v2, 21, 1
	v_mov_b32_e32 v5, v1
	s_delay_alu instid0(VALU_DEP_1) | instskip(NEXT) | instid1(VALU_DEP_1)
	v_add_nc_u64_e32 v[4:5], v[2:3], v[4:5]
	v_add_nc_u64_e32 v[4:5], -1, v[4:5]
; %bb.8862:                             ;   in Loop: Header=BB6_8449 Depth=2
	s_or_b32 exec_lo, exec_lo, s42
	v_add_nc_u32_e32 v0, 0xffffff81, v10
	v_lshrrev_b32_e32 v3, 23, v2
	s_mov_b32 s7, exec_lo
	s_delay_alu instid0(VALU_DEP_2) | instskip(NEXT) | instid1(VALU_DEP_1)
	v_cndmask_b32_e64 v0, v0, 0xffffff82, vcc_lo
	v_add3_u32 v5, v11, v0, v3
	v_and_b32_e32 v0, 0x1fffff, v4
                                        ; implicit-def: $vgpr4
	s_delay_alu instid0(VALU_DEP_1) | instskip(NEXT) | instid1(VALU_DEP_1)
	v_dual_add_nc_u32 v10, 14, v5 :: v_dual_add_nc_u32 v0, v0, v2
                                        ; implicit-def: $vgpr2_vgpr3
	v_cmpx_ne_u32_e32 0, v10
	s_xor_b32 s7, exec_lo, s7
; %bb.8863:                             ;   in Loop: Header=BB6_8449 Depth=2
	s_delay_alu instid0(VALU_DEP_2) | instskip(SKIP_1) | instid1(VALU_DEP_1)
	v_cmp_lt_u64_e32 vcc_lo, 0xffffff, v[0:1]
	v_add_nc_u32_e32 v2, 15, v5
	v_cndmask_b32_e32 v4, v10, v2, vcc_lo
	v_cndmask_b32_e64 v2, 0, 1, vcc_lo
	s_delay_alu instid0(VALU_DEP_1)
	v_lshrrev_b64 v[2:3], v2, v[0:1]
; %bb.8864:                             ;   in Loop: Header=BB6_8449 Depth=2
	s_and_not1_saveexec_b32 s7, s7
; %bb.8865:                             ;   in Loop: Header=BB6_8449 Depth=2
	v_mov_b64_e32 v[2:3], v[0:1]
	v_bfe_u32 v4, v0, 23, 1
; %bb.8866:                             ;   in Loop: Header=BB6_8449 Depth=2
	s_or_b32 exec_lo, exec_lo, s7
	s_delay_alu instid0(VALU_DEP_2) | instskip(NEXT) | instid1(VALU_DEP_2)
	v_lshrrev_b64 v[2:3], 21, v[2:3]
	v_cmp_gt_i32_e32 vcc_lo, 32, v4
	v_min_i32_e32 v0, 31, v4
	v_cmp_eq_u32_e64 s7, 0, v4
	s_delay_alu instid0(VALU_DEP_2) | instskip(SKIP_1) | instid1(VALU_DEP_2)
	v_dual_cndmask_b32 v3, 0, v3 :: v_dual_lshlrev_b32 v0, 2, v0
	v_cndmask_b32_e32 v2, 3, v2, vcc_lo
	v_and_b32_e32 v0, 0xfc, v0
	s_delay_alu instid0(VALU_DEP_2) | instskip(NEXT) | instid1(VALU_DEP_2)
	v_cmp_eq_u64_e32 vcc_lo, 0, v[2:3]
	v_and_or_b32 v0, v2, 3, v0
	s_and_b32 s7, s7, vcc_lo
	s_delay_alu instid0(VALU_DEP_1) | instid1(SALU_CYCLE_1)
	v_cndmask_b32_e64 v0, v0, 0, s7
	s_delay_alu instid0(VALU_DEP_1)
	v_or_b32_e32 v47, v0, v8
.LBB6_8867:                             ;   in Loop: Header=BB6_8449 Depth=2
	s_or_b32 exec_lo, exec_lo, s41
                                        ; implicit-def: $vgpr8
.LBB6_8868:                             ;   in Loop: Header=BB6_8449 Depth=2
	s_and_not1_saveexec_b32 s7, s40
; %bb.8869:                             ;   in Loop: Header=BB6_8449 Depth=2
	v_or_b32_e32 v47, 0x7b, v8
; %bb.8870:                             ;   in Loop: Header=BB6_8449 Depth=2
	s_or_b32 exec_lo, exec_lo, s7
                                        ; implicit-def: $vgpr2
                                        ; implicit-def: $vgpr3
.LBB6_8871:                             ;   in Loop: Header=BB6_8449 Depth=2
	s_and_not1_saveexec_b32 s7, s29
	s_cbranch_execz .LBB6_8877
; %bb.8872:                             ;   in Loop: Header=BB6_8449 Depth=2
	s_mov_b32 s29, exec_lo
                                        ; implicit-def: $vgpr47
	v_cmpx_ne_u64_e32 0, v[0:1]
	s_xor_b32 s29, exec_lo, s29
; %bb.8873:                             ;   in Loop: Header=BB6_8449 Depth=2
	v_or_b32_e32 v47, 0x7f, v3
                                        ; implicit-def: $vgpr2
; %bb.8874:                             ;   in Loop: Header=BB6_8449 Depth=2
	s_and_not1_saveexec_b32 s29, s29
; %bb.8875:                             ;   in Loop: Header=BB6_8449 Depth=2
	v_cmp_lt_i32_e32 vcc_lo, -1, v2
	v_mov_b32_e32 v0, 0x7c
	s_delay_alu instid0(VALU_DEP_1)
	v_cndmask_b32_e32 v47, 0xfc, v0, vcc_lo
; %bb.8876:                             ;   in Loop: Header=BB6_8449 Depth=2
	s_or_b32 exec_lo, exec_lo, s29
.LBB6_8877:                             ;   in Loop: Header=BB6_8449 Depth=2
	s_delay_alu instid0(SALU_CYCLE_1) | instskip(SKIP_2) | instid1(VALU_DEP_1)
	s_or_b32 exec_lo, exec_lo, s7
	v_dual_lshrrev_b32 v0, 16, v13 :: v_dual_mov_b32 v2, 0
	s_mov_b32 s7, exec_lo
	v_and_b32_e32 v3, 0xff, v0
	s_delay_alu instid0(VALU_DEP_1)
	v_cmpx_ne_u16_e32 0, v3
	s_cbranch_execz .LBB6_8887
; %bb.8878:                             ;   in Loop: Header=BB6_8449 Depth=2
	v_bfrev_b32_e32 v2, 1
	s_mov_b32 s29, exec_lo
	v_cmpx_ne_u16_e32 0x80, v3
	s_cbranch_execz .LBB6_8886
; %bb.8879:                             ;   in Loop: Header=BB6_8449 Depth=2
	v_and_b32_e32 v2, 0x7c0000, v13
	v_bfe_u32 v3, v13, 16, 2
	s_delay_alu instid0(VALU_DEP_2) | instskip(SKIP_1) | instid1(SALU_CYCLE_1)
	v_cmp_ne_u32_e32 vcc_lo, 0x7c0000, v2
                                        ; implicit-def: $vgpr2
	s_and_saveexec_b32 s40, vcc_lo
	s_xor_b32 s40, exec_lo, s40
	s_cbranch_execz .LBB6_8883
; %bb.8880:                             ;   in Loop: Header=BB6_8449 Depth=2
	v_bfe_u32 v2, v13, 18, 5
	s_mov_b32 s41, exec_lo
	s_delay_alu instid0(VALU_DEP_1)
	v_cmpx_eq_u32_e32 0, v2
; %bb.8881:                             ;   in Loop: Header=BB6_8449 Depth=2
	v_clz_i32_u32_e32 v2, v3
	s_delay_alu instid0(VALU_DEP_1) | instskip(NEXT) | instid1(VALU_DEP_1)
	v_min_u32_e32 v2, 32, v2
	v_subrev_nc_u32_e32 v3, 29, v2
	s_delay_alu instid0(VALU_DEP_1) | instskip(NEXT) | instid1(VALU_DEP_1)
	v_lshlrev_b64_e32 v[4:5], v3, v[0:1]
	v_dual_sub_nc_u32 v2, 30, v2 :: v_dual_bitop2_b32 v3, 3, v4 bitop3:0x40
; %bb.8882:                             ;   in Loop: Header=BB6_8449 Depth=2
	s_or_b32 exec_lo, exec_lo, s41
	v_lshlrev_b32_e32 v0, 24, v0
	s_delay_alu instid0(VALU_DEP_1) | instskip(NEXT) | instid1(VALU_DEP_1)
	v_and_b32_e32 v0, 0x80000000, v0
	v_lshl_add_u32 v0, v2, 23, v0
	s_delay_alu instid0(VALU_DEP_1) | instskip(NEXT) | instid1(VALU_DEP_1)
	v_lshl_or_b32 v0, v3, 21, v0
                                        ; implicit-def: $vgpr3
	v_add_nc_u32_e32 v2, 0x38000000, v0
                                        ; implicit-def: $vgpr0
.LBB6_8883:                             ;   in Loop: Header=BB6_8449 Depth=2
	s_and_not1_saveexec_b32 s40, s40
; %bb.8884:                             ;   in Loop: Header=BB6_8449 Depth=2
	v_bfe_i32 v0, v0, 0, 8
	s_delay_alu instid0(VALU_DEP_1) | instskip(SKIP_1) | instid1(VALU_DEP_1)
	v_cmp_lt_i16_e32 vcc_lo, -1, v0
	v_mov_b32_e32 v0, 0x7f800000
	v_cndmask_b32_e32 v0, 0xff800000, v0, vcc_lo
	v_cmp_eq_u32_e32 vcc_lo, 0, v3
	s_delay_alu instid0(VALU_DEP_2)
	v_cndmask_b32_e32 v2, 0x7f800001, v0, vcc_lo
; %bb.8885:                             ;   in Loop: Header=BB6_8449 Depth=2
	s_or_b32 exec_lo, exec_lo, s40
.LBB6_8886:                             ;   in Loop: Header=BB6_8449 Depth=2
	s_delay_alu instid0(SALU_CYCLE_1)
	s_or_b32 exec_lo, exec_lo, s29
.LBB6_8887:                             ;   in Loop: Header=BB6_8449 Depth=2
	s_delay_alu instid0(SALU_CYCLE_1) | instskip(NEXT) | instid1(VALU_DEP_1)
	s_or_b32 exec_lo, exec_lo, s7
	v_dual_mul_f32 v2, s28, v2 :: v_dual_mov_b32 v5, v1
                                        ; implicit-def: $vgpr58
	s_mov_b32 s7, exec_lo
	s_delay_alu instid0(VALU_DEP_1) | instskip(SKIP_2) | instid1(VALU_DEP_3)
	v_and_b32_e32 v4, 0x7f800000, v2
	v_and_b32_e32 v0, 0x7fffff, v2
	v_lshrrev_b32_e32 v3, 24, v2
	v_cmpx_ne_u64_e32 0x7f800000, v[4:5]
	s_xor_b32 s29, exec_lo, s7
	s_cbranch_execz .LBB6_8901
; %bb.8888:                             ;   in Loop: Header=BB6_8449 Depth=2
	v_and_b32_e32 v4, 0x7fffffff, v2
	v_mov_b32_e32 v5, v1
	v_and_b32_e32 v8, 0x80, v3
                                        ; implicit-def: $vgpr58
	s_mov_b32 s7, exec_lo
	s_delay_alu instid0(VALU_DEP_2)
	v_cmpx_gt_u64_e32 0x47600001, v[4:5]
	s_xor_b32 s40, exec_lo, s7
	s_cbranch_execz .LBB6_8898
; %bb.8889:                             ;   in Loop: Header=BB6_8449 Depth=2
	v_mov_b32_e32 v58, 0
	s_mov_b32 s41, exec_lo
	v_cmpx_ne_u32_e32 0, v2
	s_cbranch_execz .LBB6_8897
; %bb.8890:                             ;   in Loop: Header=BB6_8449 Depth=2
	v_bfe_u32 v10, v2, 23, 8
	v_or_b32_e32 v4, 0x800000, v0
	s_mov_b32 s42, exec_lo
	s_delay_alu instid0(VALU_DEP_2) | instskip(SKIP_1) | instid1(VALU_DEP_2)
	v_dual_mov_b32 v5, v1 :: v_dual_sub_nc_u32 v2, 0x71, v10
	v_cmp_gt_u32_e32 vcc_lo, 0x72, v10
	v_cndmask_b32_e32 v2, 0, v2, vcc_lo
	v_cmp_eq_u32_e32 vcc_lo, 0, v10
	s_delay_alu instid0(VALU_DEP_2) | instskip(NEXT) | instid1(VALU_DEP_1)
	v_cndmask_b32_e64 v11, v2, 0x70, vcc_lo
	v_dual_cndmask_b32 v4, v4, v0, vcc_lo :: v_dual_add_nc_u32 v2, 21, v11
	v_add_nc_u32_e32 v14, 20, v11
	s_delay_alu instid0(VALU_DEP_2) | instskip(NEXT) | instid1(VALU_DEP_2)
	v_lshlrev_b64_e64 v[2:3], v2, -1
	v_lshlrev_b64_e64 v[14:15], v14, 1
	s_delay_alu instid0(VALU_DEP_2) | instskip(NEXT) | instid1(VALU_DEP_3)
	v_bfi_b32 v17, v3, 0, 0
	v_bfi_b32 v16, v2, 0, v4
	v_lshrrev_b64 v[2:3], v11, v[4:5]
	s_delay_alu instid0(VALU_DEP_1) | instskip(NEXT) | instid1(VALU_DEP_3)
	v_mov_b64_e32 v[4:5], v[2:3]
	v_cmpx_eq_u64_e64 v[16:17], v[14:15]
; %bb.8891:                             ;   in Loop: Header=BB6_8449 Depth=2
	v_bfe_u32 v4, v2, 21, 1
	v_mov_b32_e32 v5, v1
	s_delay_alu instid0(VALU_DEP_1) | instskip(NEXT) | instid1(VALU_DEP_1)
	v_add_nc_u64_e32 v[4:5], v[2:3], v[4:5]
	v_add_nc_u64_e32 v[4:5], -1, v[4:5]
; %bb.8892:                             ;   in Loop: Header=BB6_8449 Depth=2
	s_or_b32 exec_lo, exec_lo, s42
	v_add_nc_u32_e32 v0, 0xffffff81, v10
	v_lshrrev_b32_e32 v3, 23, v2
	s_mov_b32 s7, exec_lo
	s_delay_alu instid0(VALU_DEP_2) | instskip(NEXT) | instid1(VALU_DEP_1)
	v_cndmask_b32_e64 v0, v0, 0xffffff82, vcc_lo
	v_add3_u32 v5, v11, v0, v3
	v_and_b32_e32 v0, 0x1fffff, v4
                                        ; implicit-def: $vgpr4
	s_delay_alu instid0(VALU_DEP_1) | instskip(NEXT) | instid1(VALU_DEP_1)
	v_dual_add_nc_u32 v10, 14, v5 :: v_dual_add_nc_u32 v0, v0, v2
                                        ; implicit-def: $vgpr2_vgpr3
	v_cmpx_ne_u32_e32 0, v10
	s_xor_b32 s7, exec_lo, s7
; %bb.8893:                             ;   in Loop: Header=BB6_8449 Depth=2
	s_delay_alu instid0(VALU_DEP_2) | instskip(SKIP_1) | instid1(VALU_DEP_1)
	v_cmp_lt_u64_e32 vcc_lo, 0xffffff, v[0:1]
	v_add_nc_u32_e32 v2, 15, v5
	v_cndmask_b32_e32 v4, v10, v2, vcc_lo
	v_cndmask_b32_e64 v2, 0, 1, vcc_lo
	s_delay_alu instid0(VALU_DEP_1)
	v_lshrrev_b64 v[2:3], v2, v[0:1]
; %bb.8894:                             ;   in Loop: Header=BB6_8449 Depth=2
	s_and_not1_saveexec_b32 s7, s7
; %bb.8895:                             ;   in Loop: Header=BB6_8449 Depth=2
	v_mov_b64_e32 v[2:3], v[0:1]
	v_bfe_u32 v4, v0, 23, 1
; %bb.8896:                             ;   in Loop: Header=BB6_8449 Depth=2
	s_or_b32 exec_lo, exec_lo, s7
	s_delay_alu instid0(VALU_DEP_2) | instskip(NEXT) | instid1(VALU_DEP_2)
	v_lshrrev_b64 v[2:3], 21, v[2:3]
	v_cmp_gt_i32_e32 vcc_lo, 32, v4
	v_min_i32_e32 v0, 31, v4
	v_cmp_eq_u32_e64 s7, 0, v4
	s_delay_alu instid0(VALU_DEP_2) | instskip(SKIP_1) | instid1(VALU_DEP_2)
	v_dual_cndmask_b32 v3, 0, v3 :: v_dual_lshlrev_b32 v0, 2, v0
	v_cndmask_b32_e32 v2, 3, v2, vcc_lo
	v_and_b32_e32 v0, 0xfc, v0
	s_delay_alu instid0(VALU_DEP_2) | instskip(NEXT) | instid1(VALU_DEP_2)
	v_cmp_eq_u64_e32 vcc_lo, 0, v[2:3]
	v_and_or_b32 v0, v2, 3, v0
	s_and_b32 s7, s7, vcc_lo
	s_delay_alu instid0(VALU_DEP_1) | instid1(SALU_CYCLE_1)
	v_cndmask_b32_e64 v0, v0, 0, s7
	s_delay_alu instid0(VALU_DEP_1)
	v_or_b32_e32 v58, v0, v8
.LBB6_8897:                             ;   in Loop: Header=BB6_8449 Depth=2
	s_or_b32 exec_lo, exec_lo, s41
                                        ; implicit-def: $vgpr8
.LBB6_8898:                             ;   in Loop: Header=BB6_8449 Depth=2
	s_and_not1_saveexec_b32 s7, s40
; %bb.8899:                             ;   in Loop: Header=BB6_8449 Depth=2
	v_or_b32_e32 v58, 0x7b, v8
; %bb.8900:                             ;   in Loop: Header=BB6_8449 Depth=2
	s_or_b32 exec_lo, exec_lo, s7
                                        ; implicit-def: $vgpr2
                                        ; implicit-def: $vgpr3
.LBB6_8901:                             ;   in Loop: Header=BB6_8449 Depth=2
	s_and_not1_saveexec_b32 s7, s29
	s_cbranch_execz .LBB6_8907
; %bb.8902:                             ;   in Loop: Header=BB6_8449 Depth=2
	s_mov_b32 s29, exec_lo
                                        ; implicit-def: $vgpr58
	v_cmpx_ne_u64_e32 0, v[0:1]
	s_xor_b32 s29, exec_lo, s29
; %bb.8903:                             ;   in Loop: Header=BB6_8449 Depth=2
	v_or_b32_e32 v58, 0x7f, v3
                                        ; implicit-def: $vgpr2
; %bb.8904:                             ;   in Loop: Header=BB6_8449 Depth=2
	s_and_not1_saveexec_b32 s29, s29
; %bb.8905:                             ;   in Loop: Header=BB6_8449 Depth=2
	v_cmp_lt_i32_e32 vcc_lo, -1, v2
	v_mov_b32_e32 v0, 0x7c
	s_delay_alu instid0(VALU_DEP_1)
	v_cndmask_b32_e32 v58, 0xfc, v0, vcc_lo
; %bb.8906:                             ;   in Loop: Header=BB6_8449 Depth=2
	s_or_b32 exec_lo, exec_lo, s29
.LBB6_8907:                             ;   in Loop: Header=BB6_8449 Depth=2
	s_delay_alu instid0(SALU_CYCLE_1)
	s_or_b32 exec_lo, exec_lo, s7
	v_mov_b32_e32 v2, 0
	s_mov_b32 s7, exec_lo
	v_cmpx_lt_u64_e64 s[12:13], v[12:13]
	s_cbranch_execz .LBB6_8917
; %bb.8908:                             ;   in Loop: Header=BB6_8449 Depth=2
	v_lshrrev_b32_e32 v0, 24, v13
	v_bfrev_b32_e32 v2, 1
	s_mov_b32 s29, exec_lo
	s_delay_alu instid0(VALU_DEP_2)
	v_cmpx_ne_u32_e32 0x80, v0
	s_cbranch_execz .LBB6_8916
; %bb.8909:                             ;   in Loop: Header=BB6_8449 Depth=2
	v_and_b32_e32 v2, 0x7c000000, v13
	v_bfe_u32 v3, v13, 24, 2
	s_delay_alu instid0(VALU_DEP_2) | instskip(SKIP_1) | instid1(SALU_CYCLE_1)
	v_cmp_ne_u32_e32 vcc_lo, 0x7c000000, v2
                                        ; implicit-def: $vgpr2
	s_and_saveexec_b32 s40, vcc_lo
	s_xor_b32 s40, exec_lo, s40
	s_cbranch_execz .LBB6_8913
; %bb.8910:                             ;   in Loop: Header=BB6_8449 Depth=2
	v_bfe_u32 v2, v13, 26, 5
	s_mov_b32 s41, exec_lo
	s_delay_alu instid0(VALU_DEP_1)
	v_cmpx_eq_u32_e32 0, v2
; %bb.8911:                             ;   in Loop: Header=BB6_8449 Depth=2
	v_clz_i32_u32_e32 v2, v3
	s_delay_alu instid0(VALU_DEP_1) | instskip(NEXT) | instid1(VALU_DEP_1)
	v_min_u32_e32 v2, 32, v2
	v_subrev_nc_u32_e32 v3, 29, v2
	s_delay_alu instid0(VALU_DEP_1) | instskip(NEXT) | instid1(VALU_DEP_1)
	v_lshlrev_b64_e32 v[4:5], v3, v[0:1]
	v_dual_sub_nc_u32 v2, 30, v2 :: v_dual_bitop2_b32 v3, 3, v4 bitop3:0x40
; %bb.8912:                             ;   in Loop: Header=BB6_8449 Depth=2
	s_or_b32 exec_lo, exec_lo, s41
	v_and_b32_e32 v0, 0x80000000, v13
                                        ; implicit-def: $vgpr12_vgpr13
	s_delay_alu instid0(VALU_DEP_1) | instskip(NEXT) | instid1(VALU_DEP_1)
	v_lshl_add_u32 v0, v2, 23, v0
	v_lshl_or_b32 v0, v3, 21, v0
                                        ; implicit-def: $vgpr3
	s_delay_alu instid0(VALU_DEP_1)
	v_add_nc_u32_e32 v2, 0x38000000, v0
.LBB6_8913:                             ;   in Loop: Header=BB6_8449 Depth=2
	s_and_not1_saveexec_b32 s40, s40
; %bb.8914:                             ;   in Loop: Header=BB6_8449 Depth=2
	v_cmp_lt_i64_e32 vcc_lo, -1, v[12:13]
	v_mov_b32_e32 v0, 0x7f800000
	s_delay_alu instid0(VALU_DEP_1) | instskip(SKIP_1) | instid1(VALU_DEP_2)
	v_cndmask_b32_e32 v0, 0xff800000, v0, vcc_lo
	v_cmp_eq_u32_e32 vcc_lo, 0, v3
	v_cndmask_b32_e32 v2, 0x7f800001, v0, vcc_lo
; %bb.8915:                             ;   in Loop: Header=BB6_8449 Depth=2
	s_or_b32 exec_lo, exec_lo, s40
.LBB6_8916:                             ;   in Loop: Header=BB6_8449 Depth=2
	s_delay_alu instid0(SALU_CYCLE_1)
	s_or_b32 exec_lo, exec_lo, s29
.LBB6_8917:                             ;   in Loop: Header=BB6_8449 Depth=2
	s_delay_alu instid0(SALU_CYCLE_1) | instskip(NEXT) | instid1(VALU_DEP_1)
	s_or_b32 exec_lo, exec_lo, s7
	v_dual_mul_f32 v2, s28, v2 :: v_dual_mov_b32 v5, v1
                                        ; implicit-def: $vgpr62
	s_mov_b32 s7, exec_lo
	s_delay_alu instid0(VALU_DEP_1) | instskip(SKIP_2) | instid1(VALU_DEP_3)
	v_and_b32_e32 v4, 0x7f800000, v2
	v_and_b32_e32 v0, 0x7fffff, v2
	v_lshrrev_b32_e32 v3, 24, v2
	v_cmpx_ne_u64_e32 0x7f800000, v[4:5]
	s_xor_b32 s29, exec_lo, s7
	s_cbranch_execz .LBB6_8931
; %bb.8918:                             ;   in Loop: Header=BB6_8449 Depth=2
	v_and_b32_e32 v4, 0x7fffffff, v2
	v_mov_b32_e32 v5, v1
	v_and_b32_e32 v8, 0x80, v3
                                        ; implicit-def: $vgpr62
	s_mov_b32 s7, exec_lo
	s_delay_alu instid0(VALU_DEP_2)
	v_cmpx_gt_u64_e32 0x47600001, v[4:5]
	s_xor_b32 s40, exec_lo, s7
	s_cbranch_execz .LBB6_8928
; %bb.8919:                             ;   in Loop: Header=BB6_8449 Depth=2
	v_mov_b32_e32 v62, 0
	s_mov_b32 s41, exec_lo
	v_cmpx_ne_u32_e32 0, v2
	s_cbranch_execz .LBB6_8927
; %bb.8920:                             ;   in Loop: Header=BB6_8449 Depth=2
	v_bfe_u32 v10, v2, 23, 8
	v_or_b32_e32 v4, 0x800000, v0
	s_mov_b32 s42, exec_lo
	s_delay_alu instid0(VALU_DEP_2) | instskip(SKIP_1) | instid1(VALU_DEP_2)
	v_dual_mov_b32 v5, v1 :: v_dual_sub_nc_u32 v2, 0x71, v10
	v_cmp_gt_u32_e32 vcc_lo, 0x72, v10
	v_cndmask_b32_e32 v2, 0, v2, vcc_lo
	v_cmp_eq_u32_e32 vcc_lo, 0, v10
	s_delay_alu instid0(VALU_DEP_2) | instskip(NEXT) | instid1(VALU_DEP_1)
	v_cndmask_b32_e64 v11, v2, 0x70, vcc_lo
	v_dual_cndmask_b32 v4, v4, v0, vcc_lo :: v_dual_add_nc_u32 v2, 21, v11
	v_add_nc_u32_e32 v12, 20, v11
	s_delay_alu instid0(VALU_DEP_2) | instskip(NEXT) | instid1(VALU_DEP_2)
	v_lshlrev_b64_e64 v[2:3], v2, -1
	v_lshlrev_b64_e64 v[12:13], v12, 1
	s_delay_alu instid0(VALU_DEP_2) | instskip(NEXT) | instid1(VALU_DEP_3)
	v_bfi_b32 v15, v3, 0, 0
	v_bfi_b32 v14, v2, 0, v4
	v_lshrrev_b64 v[2:3], v11, v[4:5]
	s_delay_alu instid0(VALU_DEP_1) | instskip(NEXT) | instid1(VALU_DEP_3)
	v_mov_b64_e32 v[4:5], v[2:3]
	v_cmpx_eq_u64_e64 v[14:15], v[12:13]
; %bb.8921:                             ;   in Loop: Header=BB6_8449 Depth=2
	v_bfe_u32 v4, v2, 21, 1
	v_mov_b32_e32 v5, v1
	s_delay_alu instid0(VALU_DEP_1) | instskip(NEXT) | instid1(VALU_DEP_1)
	v_add_nc_u64_e32 v[4:5], v[2:3], v[4:5]
	v_add_nc_u64_e32 v[4:5], -1, v[4:5]
; %bb.8922:                             ;   in Loop: Header=BB6_8449 Depth=2
	s_or_b32 exec_lo, exec_lo, s42
	v_add_nc_u32_e32 v0, 0xffffff81, v10
	v_lshrrev_b32_e32 v3, 23, v2
	s_mov_b32 s7, exec_lo
	s_delay_alu instid0(VALU_DEP_2) | instskip(NEXT) | instid1(VALU_DEP_1)
	v_cndmask_b32_e64 v0, v0, 0xffffff82, vcc_lo
	v_add3_u32 v5, v11, v0, v3
	v_and_b32_e32 v0, 0x1fffff, v4
                                        ; implicit-def: $vgpr4
	s_delay_alu instid0(VALU_DEP_1) | instskip(NEXT) | instid1(VALU_DEP_1)
	v_dual_add_nc_u32 v10, 14, v5 :: v_dual_add_nc_u32 v0, v0, v2
                                        ; implicit-def: $vgpr2_vgpr3
	v_cmpx_ne_u32_e32 0, v10
	s_xor_b32 s7, exec_lo, s7
; %bb.8923:                             ;   in Loop: Header=BB6_8449 Depth=2
	s_delay_alu instid0(VALU_DEP_2) | instskip(SKIP_1) | instid1(VALU_DEP_1)
	v_cmp_lt_u64_e32 vcc_lo, 0xffffff, v[0:1]
	v_add_nc_u32_e32 v2, 15, v5
	v_cndmask_b32_e32 v4, v10, v2, vcc_lo
	v_cndmask_b32_e64 v2, 0, 1, vcc_lo
	s_delay_alu instid0(VALU_DEP_1)
	v_lshrrev_b64 v[2:3], v2, v[0:1]
; %bb.8924:                             ;   in Loop: Header=BB6_8449 Depth=2
	s_and_not1_saveexec_b32 s7, s7
; %bb.8925:                             ;   in Loop: Header=BB6_8449 Depth=2
	v_mov_b64_e32 v[2:3], v[0:1]
	v_bfe_u32 v4, v0, 23, 1
; %bb.8926:                             ;   in Loop: Header=BB6_8449 Depth=2
	s_or_b32 exec_lo, exec_lo, s7
	s_delay_alu instid0(VALU_DEP_2) | instskip(NEXT) | instid1(VALU_DEP_2)
	v_lshrrev_b64 v[2:3], 21, v[2:3]
	v_cmp_gt_i32_e32 vcc_lo, 32, v4
	v_min_i32_e32 v0, 31, v4
	v_cmp_eq_u32_e64 s7, 0, v4
	s_delay_alu instid0(VALU_DEP_2) | instskip(SKIP_1) | instid1(VALU_DEP_2)
	v_dual_cndmask_b32 v3, 0, v3 :: v_dual_lshlrev_b32 v0, 2, v0
	v_cndmask_b32_e32 v2, 3, v2, vcc_lo
	v_and_b32_e32 v0, 0xfc, v0
	s_delay_alu instid0(VALU_DEP_2) | instskip(NEXT) | instid1(VALU_DEP_2)
	v_cmp_eq_u64_e32 vcc_lo, 0, v[2:3]
	v_and_or_b32 v0, v2, 3, v0
	s_and_b32 s7, s7, vcc_lo
	s_delay_alu instid0(VALU_DEP_1) | instid1(SALU_CYCLE_1)
	v_cndmask_b32_e64 v0, v0, 0, s7
	s_delay_alu instid0(VALU_DEP_1)
	v_or_b32_e32 v62, v0, v8
.LBB6_8927:                             ;   in Loop: Header=BB6_8449 Depth=2
	s_or_b32 exec_lo, exec_lo, s41
                                        ; implicit-def: $vgpr8
.LBB6_8928:                             ;   in Loop: Header=BB6_8449 Depth=2
	s_and_not1_saveexec_b32 s7, s40
; %bb.8929:                             ;   in Loop: Header=BB6_8449 Depth=2
	v_or_b32_e32 v62, 0x7b, v8
; %bb.8930:                             ;   in Loop: Header=BB6_8449 Depth=2
	s_or_b32 exec_lo, exec_lo, s7
                                        ; implicit-def: $vgpr2
                                        ; implicit-def: $vgpr3
.LBB6_8931:                             ;   in Loop: Header=BB6_8449 Depth=2
	s_and_not1_saveexec_b32 s7, s29
	s_cbranch_execz .LBB6_8937
; %bb.8932:                             ;   in Loop: Header=BB6_8449 Depth=2
	s_mov_b32 s29, exec_lo
                                        ; implicit-def: $vgpr62
	v_cmpx_ne_u64_e32 0, v[0:1]
	s_xor_b32 s29, exec_lo, s29
; %bb.8933:                             ;   in Loop: Header=BB6_8449 Depth=2
	v_or_b32_e32 v62, 0x7f, v3
                                        ; implicit-def: $vgpr2
; %bb.8934:                             ;   in Loop: Header=BB6_8449 Depth=2
	s_and_not1_saveexec_b32 s29, s29
; %bb.8935:                             ;   in Loop: Header=BB6_8449 Depth=2
	v_cmp_lt_i32_e32 vcc_lo, -1, v2
	v_mov_b32_e32 v0, 0x7c
	s_delay_alu instid0(VALU_DEP_1)
	v_cndmask_b32_e32 v62, 0xfc, v0, vcc_lo
; %bb.8936:                             ;   in Loop: Header=BB6_8449 Depth=2
	s_or_b32 exec_lo, exec_lo, s29
.LBB6_8937:                             ;   in Loop: Header=BB6_8449 Depth=2
	s_delay_alu instid0(SALU_CYCLE_1) | instskip(SKIP_3) | instid1(VALU_DEP_1)
	s_or_b32 exec_lo, exec_lo, s7
	global_load_b128 v[10:13], v[98:99], off offset:512 th:TH_LOAD_NT
	s_wait_loadcnt 0x0
	v_and_b32_e32 v0, 0xff, v10
	v_cmp_ne_u16_e32 vcc_lo, 0, v0
	v_mov_b32_e32 v0, 0
	s_wait_xcnt 0x0
	s_and_saveexec_b32 s7, vcc_lo
	s_cbranch_execz .LBB6_8947
; %bb.8938:                             ;   in Loop: Header=BB6_8449 Depth=2
	v_bfe_i32 v3, v10, 0, 8
	v_bfrev_b32_e32 v0, 1
	s_mov_b32 s29, exec_lo
	s_delay_alu instid0(VALU_DEP_2)
	v_cmpx_ne_u16_e32 0xff80, v3
	s_cbranch_execz .LBB6_8946
; %bb.8939:                             ;   in Loop: Header=BB6_8449 Depth=2
	v_and_b32_e32 v0, 0x7c, v10
	v_and_b32_e32 v2, 3, v10
	s_delay_alu instid0(VALU_DEP_2) | instskip(SKIP_1) | instid1(SALU_CYCLE_1)
	v_cmp_ne_u32_e32 vcc_lo, 0x7c, v0
                                        ; implicit-def: $vgpr0
	s_and_saveexec_b32 s40, vcc_lo
	s_xor_b32 s40, exec_lo, s40
	s_cbranch_execz .LBB6_8943
; %bb.8940:                             ;   in Loop: Header=BB6_8449 Depth=2
	v_bfe_u32 v0, v10, 2, 5
	s_mov_b32 s41, exec_lo
	s_delay_alu instid0(VALU_DEP_1)
	v_cmpx_eq_u32_e32 0, v0
; %bb.8941:                             ;   in Loop: Header=BB6_8449 Depth=2
	v_clz_i32_u32_e32 v0, v2
	s_delay_alu instid0(VALU_DEP_1) | instskip(NEXT) | instid1(VALU_DEP_1)
	v_min_u32_e32 v0, 32, v0
	v_subrev_nc_u32_e32 v2, 29, v0
	s_delay_alu instid0(VALU_DEP_1) | instskip(NEXT) | instid1(VALU_DEP_1)
	v_lshlrev_b64_e32 v[2:3], v2, v[10:11]
	v_dual_sub_nc_u32 v0, 30, v0 :: v_dual_bitop2_b32 v2, 3, v2 bitop3:0x40
; %bb.8942:                             ;   in Loop: Header=BB6_8449 Depth=2
	s_or_b32 exec_lo, exec_lo, s41
	v_lshlrev_b32_e32 v3, 24, v10
	s_delay_alu instid0(VALU_DEP_1) | instskip(NEXT) | instid1(VALU_DEP_1)
	v_and_b32_e32 v3, 0x80000000, v3
	v_lshl_add_u32 v0, v0, 23, v3
                                        ; implicit-def: $vgpr3
	s_delay_alu instid0(VALU_DEP_1) | instskip(NEXT) | instid1(VALU_DEP_1)
	v_lshl_or_b32 v0, v2, 21, v0
                                        ; implicit-def: $vgpr2
	v_add_nc_u32_e32 v0, 0x38000000, v0
.LBB6_8943:                             ;   in Loop: Header=BB6_8449 Depth=2
	s_and_not1_saveexec_b32 s40, s40
; %bb.8944:                             ;   in Loop: Header=BB6_8449 Depth=2
	v_cmp_lt_i16_e32 vcc_lo, -1, v3
	v_mov_b32_e32 v0, 0x7f800000
	s_delay_alu instid0(VALU_DEP_1) | instskip(SKIP_1) | instid1(VALU_DEP_2)
	v_cndmask_b32_e32 v0, 0xff800000, v0, vcc_lo
	v_cmp_eq_u32_e32 vcc_lo, 0, v2
	v_cndmask_b32_e32 v0, 0x7f800001, v0, vcc_lo
; %bb.8945:                             ;   in Loop: Header=BB6_8449 Depth=2
	s_or_b32 exec_lo, exec_lo, s40
.LBB6_8946:                             ;   in Loop: Header=BB6_8449 Depth=2
	s_delay_alu instid0(SALU_CYCLE_1)
	s_or_b32 exec_lo, exec_lo, s29
.LBB6_8947:                             ;   in Loop: Header=BB6_8449 Depth=2
	s_delay_alu instid0(SALU_CYCLE_1) | instskip(NEXT) | instid1(VALU_DEP_1)
	s_or_b32 exec_lo, exec_lo, s7
	v_dual_mul_f32 v2, s28, v0 :: v_dual_mov_b32 v5, v1
                                        ; implicit-def: $vgpr46
	s_mov_b32 s7, exec_lo
	s_delay_alu instid0(VALU_DEP_1) | instskip(SKIP_2) | instid1(VALU_DEP_3)
	v_and_b32_e32 v4, 0x7f800000, v2
	v_and_b32_e32 v0, 0x7fffff, v2
	v_lshrrev_b32_e32 v3, 24, v2
	v_cmpx_ne_u64_e32 0x7f800000, v[4:5]
	s_xor_b32 s29, exec_lo, s7
	s_cbranch_execz .LBB6_8961
; %bb.8948:                             ;   in Loop: Header=BB6_8449 Depth=2
	v_and_b32_e32 v4, 0x7fffffff, v2
	v_mov_b32_e32 v5, v1
	v_and_b32_e32 v8, 0x80, v3
                                        ; implicit-def: $vgpr46
	s_mov_b32 s7, exec_lo
	s_delay_alu instid0(VALU_DEP_2)
	v_cmpx_gt_u64_e32 0x47600001, v[4:5]
	s_xor_b32 s40, exec_lo, s7
	s_cbranch_execz .LBB6_8958
; %bb.8949:                             ;   in Loop: Header=BB6_8449 Depth=2
	v_mov_b32_e32 v46, 0
	s_mov_b32 s41, exec_lo
	v_cmpx_ne_u32_e32 0, v2
	s_cbranch_execz .LBB6_8957
; %bb.8950:                             ;   in Loop: Header=BB6_8449 Depth=2
	v_bfe_u32 v14, v2, 23, 8
	v_or_b32_e32 v4, 0x800000, v0
	s_mov_b32 s42, exec_lo
	s_delay_alu instid0(VALU_DEP_2) | instskip(SKIP_1) | instid1(VALU_DEP_2)
	v_dual_mov_b32 v5, v1 :: v_dual_sub_nc_u32 v2, 0x71, v14
	v_cmp_gt_u32_e32 vcc_lo, 0x72, v14
	v_cndmask_b32_e32 v2, 0, v2, vcc_lo
	v_cmp_eq_u32_e32 vcc_lo, 0, v14
	s_delay_alu instid0(VALU_DEP_2) | instskip(NEXT) | instid1(VALU_DEP_1)
	v_cndmask_b32_e64 v15, v2, 0x70, vcc_lo
	v_dual_cndmask_b32 v4, v4, v0, vcc_lo :: v_dual_add_nc_u32 v2, 21, v15
	v_add_nc_u32_e32 v16, 20, v15
	s_delay_alu instid0(VALU_DEP_2) | instskip(NEXT) | instid1(VALU_DEP_2)
	v_lshlrev_b64_e64 v[2:3], v2, -1
	v_lshlrev_b64_e64 v[16:17], v16, 1
	s_delay_alu instid0(VALU_DEP_2) | instskip(NEXT) | instid1(VALU_DEP_3)
	v_bfi_b32 v19, v3, 0, 0
	v_bfi_b32 v18, v2, 0, v4
	v_lshrrev_b64 v[2:3], v15, v[4:5]
	s_delay_alu instid0(VALU_DEP_1) | instskip(NEXT) | instid1(VALU_DEP_3)
	v_mov_b64_e32 v[4:5], v[2:3]
	v_cmpx_eq_u64_e64 v[18:19], v[16:17]
; %bb.8951:                             ;   in Loop: Header=BB6_8449 Depth=2
	v_bfe_u32 v4, v2, 21, 1
	v_mov_b32_e32 v5, v1
	s_delay_alu instid0(VALU_DEP_1) | instskip(NEXT) | instid1(VALU_DEP_1)
	v_add_nc_u64_e32 v[4:5], v[2:3], v[4:5]
	v_add_nc_u64_e32 v[4:5], -1, v[4:5]
; %bb.8952:                             ;   in Loop: Header=BB6_8449 Depth=2
	s_or_b32 exec_lo, exec_lo, s42
	v_add_nc_u32_e32 v0, 0xffffff81, v14
	v_lshrrev_b32_e32 v3, 23, v2
	s_mov_b32 s7, exec_lo
	s_delay_alu instid0(VALU_DEP_2) | instskip(NEXT) | instid1(VALU_DEP_1)
	v_cndmask_b32_e64 v0, v0, 0xffffff82, vcc_lo
	v_add3_u32 v5, v15, v0, v3
	v_and_b32_e32 v0, 0x1fffff, v4
                                        ; implicit-def: $vgpr4
	s_delay_alu instid0(VALU_DEP_1) | instskip(NEXT) | instid1(VALU_DEP_1)
	v_dual_add_nc_u32 v14, 14, v5 :: v_dual_add_nc_u32 v0, v0, v2
                                        ; implicit-def: $vgpr2_vgpr3
	v_cmpx_ne_u32_e32 0, v14
	s_xor_b32 s7, exec_lo, s7
; %bb.8953:                             ;   in Loop: Header=BB6_8449 Depth=2
	s_delay_alu instid0(VALU_DEP_2) | instskip(SKIP_1) | instid1(VALU_DEP_1)
	v_cmp_lt_u64_e32 vcc_lo, 0xffffff, v[0:1]
	v_add_nc_u32_e32 v2, 15, v5
	v_cndmask_b32_e32 v4, v14, v2, vcc_lo
	v_cndmask_b32_e64 v2, 0, 1, vcc_lo
	s_delay_alu instid0(VALU_DEP_1)
	v_lshrrev_b64 v[2:3], v2, v[0:1]
; %bb.8954:                             ;   in Loop: Header=BB6_8449 Depth=2
	s_and_not1_saveexec_b32 s7, s7
; %bb.8955:                             ;   in Loop: Header=BB6_8449 Depth=2
	v_mov_b64_e32 v[2:3], v[0:1]
	v_bfe_u32 v4, v0, 23, 1
; %bb.8956:                             ;   in Loop: Header=BB6_8449 Depth=2
	s_or_b32 exec_lo, exec_lo, s7
	s_delay_alu instid0(VALU_DEP_2) | instskip(NEXT) | instid1(VALU_DEP_2)
	v_lshrrev_b64 v[2:3], 21, v[2:3]
	v_cmp_gt_i32_e32 vcc_lo, 32, v4
	v_min_i32_e32 v0, 31, v4
	v_cmp_eq_u32_e64 s7, 0, v4
	s_delay_alu instid0(VALU_DEP_2) | instskip(SKIP_1) | instid1(VALU_DEP_2)
	v_dual_cndmask_b32 v3, 0, v3 :: v_dual_lshlrev_b32 v0, 2, v0
	v_cndmask_b32_e32 v2, 3, v2, vcc_lo
	v_and_b32_e32 v0, 0xfc, v0
	s_delay_alu instid0(VALU_DEP_2) | instskip(NEXT) | instid1(VALU_DEP_2)
	v_cmp_eq_u64_e32 vcc_lo, 0, v[2:3]
	v_and_or_b32 v0, v2, 3, v0
	s_and_b32 s7, s7, vcc_lo
	s_delay_alu instid0(VALU_DEP_1) | instid1(SALU_CYCLE_1)
	v_cndmask_b32_e64 v0, v0, 0, s7
	s_delay_alu instid0(VALU_DEP_1)
	v_or_b32_e32 v46, v0, v8
.LBB6_8957:                             ;   in Loop: Header=BB6_8449 Depth=2
	s_or_b32 exec_lo, exec_lo, s41
                                        ; implicit-def: $vgpr8
.LBB6_8958:                             ;   in Loop: Header=BB6_8449 Depth=2
	s_and_not1_saveexec_b32 s7, s40
; %bb.8959:                             ;   in Loop: Header=BB6_8449 Depth=2
	v_or_b32_e32 v46, 0x7b, v8
; %bb.8960:                             ;   in Loop: Header=BB6_8449 Depth=2
	s_or_b32 exec_lo, exec_lo, s7
                                        ; implicit-def: $vgpr2
                                        ; implicit-def: $vgpr3
.LBB6_8961:                             ;   in Loop: Header=BB6_8449 Depth=2
	s_and_not1_saveexec_b32 s7, s29
	s_cbranch_execz .LBB6_8967
; %bb.8962:                             ;   in Loop: Header=BB6_8449 Depth=2
	s_mov_b32 s29, exec_lo
                                        ; implicit-def: $vgpr46
	v_cmpx_ne_u64_e32 0, v[0:1]
	s_xor_b32 s29, exec_lo, s29
; %bb.8963:                             ;   in Loop: Header=BB6_8449 Depth=2
	v_or_b32_e32 v46, 0x7f, v3
                                        ; implicit-def: $vgpr2
; %bb.8964:                             ;   in Loop: Header=BB6_8449 Depth=2
	s_and_not1_saveexec_b32 s29, s29
; %bb.8965:                             ;   in Loop: Header=BB6_8449 Depth=2
	v_cmp_lt_i32_e32 vcc_lo, -1, v2
	v_mov_b32_e32 v0, 0x7c
	s_delay_alu instid0(VALU_DEP_1)
	v_cndmask_b32_e32 v46, 0xfc, v0, vcc_lo
; %bb.8966:                             ;   in Loop: Header=BB6_8449 Depth=2
	s_or_b32 exec_lo, exec_lo, s29
.LBB6_8967:                             ;   in Loop: Header=BB6_8449 Depth=2
	s_delay_alu instid0(SALU_CYCLE_1) | instskip(SKIP_3) | instid1(VALU_DEP_2)
	s_or_b32 exec_lo, exec_lo, s7
	v_lshrrev_b16 v2, 8, v10
	v_mov_b32_e32 v3, 0
	s_mov_b32 s7, exec_lo
	v_cmpx_ne_u16_e32 0, v2
	s_cbranch_execz .LBB6_8977
; %bb.8968:                             ;   in Loop: Header=BB6_8449 Depth=2
	v_bfrev_b32_e32 v3, 1
	s_mov_b32 s29, exec_lo
	v_cmpx_ne_u16_e32 0x80, v2
	s_cbranch_execz .LBB6_8976
; %bb.8969:                             ;   in Loop: Header=BB6_8449 Depth=2
	v_and_b32_e32 v4, 0xffff, v2
	s_delay_alu instid0(VALU_DEP_1) | instskip(SKIP_1) | instid1(VALU_DEP_2)
	v_and_b32_e32 v3, 0x7c, v4
	v_and_b32_e32 v0, 3, v4
	v_cmp_ne_u32_e32 vcc_lo, 0x7c, v3
                                        ; implicit-def: $vgpr3
	s_and_saveexec_b32 s40, vcc_lo
	s_delay_alu instid0(SALU_CYCLE_1)
	s_xor_b32 s40, exec_lo, s40
	s_cbranch_execz .LBB6_8973
; %bb.8970:                             ;   in Loop: Header=BB6_8449 Depth=2
	v_bfe_u32 v3, v4, 2, 5
	s_mov_b32 s41, exec_lo
	s_delay_alu instid0(VALU_DEP_1)
	v_cmpx_eq_u32_e32 0, v3
; %bb.8971:                             ;   in Loop: Header=BB6_8449 Depth=2
	v_clz_i32_u32_e32 v0, v0
	v_mov_b32_e32 v3, v1
	s_delay_alu instid0(VALU_DEP_2) | instskip(NEXT) | instid1(VALU_DEP_1)
	v_min_u32_e32 v0, 32, v0
	v_subrev_nc_u32_e32 v4, 29, v0
	s_delay_alu instid0(VALU_DEP_1) | instskip(NEXT) | instid1(VALU_DEP_1)
	v_lshlrev_b64_e32 v[2:3], v4, v[2:3]
	v_dual_sub_nc_u32 v3, 30, v0 :: v_dual_bitop2_b32 v0, 3, v2 bitop3:0x40
; %bb.8972:                             ;   in Loop: Header=BB6_8449 Depth=2
	s_or_b32 exec_lo, exec_lo, s41
	v_lshlrev_b32_e32 v2, 16, v10
	s_delay_alu instid0(VALU_DEP_1) | instskip(NEXT) | instid1(VALU_DEP_1)
	v_and_b32_e32 v2, 0x80000000, v2
	v_lshl_add_u32 v2, v3, 23, v2
	s_delay_alu instid0(VALU_DEP_1) | instskip(NEXT) | instid1(VALU_DEP_1)
	v_lshl_or_b32 v0, v0, 21, v2
	v_add_nc_u32_e32 v3, 0x38000000, v0
                                        ; implicit-def: $vgpr0
.LBB6_8973:                             ;   in Loop: Header=BB6_8449 Depth=2
	s_and_not1_saveexec_b32 s40, s40
; %bb.8974:                             ;   in Loop: Header=BB6_8449 Depth=2
	v_cmp_lt_i16_e32 vcc_lo, -1, v10
	v_mov_b32_e32 v2, 0x7f800000
	s_delay_alu instid0(VALU_DEP_1) | instskip(SKIP_1) | instid1(VALU_DEP_2)
	v_cndmask_b32_e32 v2, 0xff800000, v2, vcc_lo
	v_cmp_eq_u32_e32 vcc_lo, 0, v0
	v_cndmask_b32_e32 v3, 0x7f800001, v2, vcc_lo
; %bb.8975:                             ;   in Loop: Header=BB6_8449 Depth=2
	s_or_b32 exec_lo, exec_lo, s40
.LBB6_8976:                             ;   in Loop: Header=BB6_8449 Depth=2
	s_delay_alu instid0(SALU_CYCLE_1)
	s_or_b32 exec_lo, exec_lo, s29
.LBB6_8977:                             ;   in Loop: Header=BB6_8449 Depth=2
	s_delay_alu instid0(SALU_CYCLE_1) | instskip(NEXT) | instid1(VALU_DEP_1)
	s_or_b32 exec_lo, exec_lo, s7
	v_dual_mul_f32 v2, s28, v3 :: v_dual_mov_b32 v5, v1
                                        ; implicit-def: $vgpr57
	s_mov_b32 s7, exec_lo
	s_delay_alu instid0(VALU_DEP_1) | instskip(SKIP_2) | instid1(VALU_DEP_3)
	v_and_b32_e32 v4, 0x7f800000, v2
	v_and_b32_e32 v0, 0x7fffff, v2
	v_lshrrev_b32_e32 v3, 24, v2
	v_cmpx_ne_u64_e32 0x7f800000, v[4:5]
	s_xor_b32 s29, exec_lo, s7
	s_cbranch_execz .LBB6_8991
; %bb.8978:                             ;   in Loop: Header=BB6_8449 Depth=2
	v_and_b32_e32 v4, 0x7fffffff, v2
	v_mov_b32_e32 v5, v1
	v_and_b32_e32 v8, 0x80, v3
                                        ; implicit-def: $vgpr57
	s_mov_b32 s7, exec_lo
	s_delay_alu instid0(VALU_DEP_2)
	v_cmpx_gt_u64_e32 0x47600001, v[4:5]
	s_xor_b32 s40, exec_lo, s7
	s_cbranch_execz .LBB6_8988
; %bb.8979:                             ;   in Loop: Header=BB6_8449 Depth=2
	v_mov_b32_e32 v57, 0
	s_mov_b32 s41, exec_lo
	v_cmpx_ne_u32_e32 0, v2
	s_cbranch_execz .LBB6_8987
; %bb.8980:                             ;   in Loop: Header=BB6_8449 Depth=2
	v_bfe_u32 v14, v2, 23, 8
	v_or_b32_e32 v4, 0x800000, v0
	s_mov_b32 s42, exec_lo
	s_delay_alu instid0(VALU_DEP_2) | instskip(SKIP_1) | instid1(VALU_DEP_2)
	v_dual_mov_b32 v5, v1 :: v_dual_sub_nc_u32 v2, 0x71, v14
	v_cmp_gt_u32_e32 vcc_lo, 0x72, v14
	v_cndmask_b32_e32 v2, 0, v2, vcc_lo
	v_cmp_eq_u32_e32 vcc_lo, 0, v14
	s_delay_alu instid0(VALU_DEP_2) | instskip(NEXT) | instid1(VALU_DEP_1)
	v_cndmask_b32_e64 v15, v2, 0x70, vcc_lo
	v_dual_cndmask_b32 v4, v4, v0, vcc_lo :: v_dual_add_nc_u32 v2, 21, v15
	v_add_nc_u32_e32 v16, 20, v15
	s_delay_alu instid0(VALU_DEP_2) | instskip(NEXT) | instid1(VALU_DEP_2)
	v_lshlrev_b64_e64 v[2:3], v2, -1
	v_lshlrev_b64_e64 v[16:17], v16, 1
	s_delay_alu instid0(VALU_DEP_2) | instskip(NEXT) | instid1(VALU_DEP_3)
	v_bfi_b32 v19, v3, 0, 0
	v_bfi_b32 v18, v2, 0, v4
	v_lshrrev_b64 v[2:3], v15, v[4:5]
	s_delay_alu instid0(VALU_DEP_1) | instskip(NEXT) | instid1(VALU_DEP_3)
	v_mov_b64_e32 v[4:5], v[2:3]
	v_cmpx_eq_u64_e64 v[18:19], v[16:17]
; %bb.8981:                             ;   in Loop: Header=BB6_8449 Depth=2
	v_bfe_u32 v4, v2, 21, 1
	v_mov_b32_e32 v5, v1
	s_delay_alu instid0(VALU_DEP_1) | instskip(NEXT) | instid1(VALU_DEP_1)
	v_add_nc_u64_e32 v[4:5], v[2:3], v[4:5]
	v_add_nc_u64_e32 v[4:5], -1, v[4:5]
; %bb.8982:                             ;   in Loop: Header=BB6_8449 Depth=2
	s_or_b32 exec_lo, exec_lo, s42
	v_add_nc_u32_e32 v0, 0xffffff81, v14
	v_lshrrev_b32_e32 v3, 23, v2
	s_mov_b32 s7, exec_lo
	s_delay_alu instid0(VALU_DEP_2) | instskip(NEXT) | instid1(VALU_DEP_1)
	v_cndmask_b32_e64 v0, v0, 0xffffff82, vcc_lo
	v_add3_u32 v5, v15, v0, v3
	v_and_b32_e32 v0, 0x1fffff, v4
                                        ; implicit-def: $vgpr4
	s_delay_alu instid0(VALU_DEP_1) | instskip(NEXT) | instid1(VALU_DEP_1)
	v_dual_add_nc_u32 v14, 14, v5 :: v_dual_add_nc_u32 v0, v0, v2
                                        ; implicit-def: $vgpr2_vgpr3
	v_cmpx_ne_u32_e32 0, v14
	s_xor_b32 s7, exec_lo, s7
; %bb.8983:                             ;   in Loop: Header=BB6_8449 Depth=2
	s_delay_alu instid0(VALU_DEP_2) | instskip(SKIP_1) | instid1(VALU_DEP_1)
	v_cmp_lt_u64_e32 vcc_lo, 0xffffff, v[0:1]
	v_add_nc_u32_e32 v2, 15, v5
	v_cndmask_b32_e32 v4, v14, v2, vcc_lo
	v_cndmask_b32_e64 v2, 0, 1, vcc_lo
	s_delay_alu instid0(VALU_DEP_1)
	v_lshrrev_b64 v[2:3], v2, v[0:1]
; %bb.8984:                             ;   in Loop: Header=BB6_8449 Depth=2
	s_and_not1_saveexec_b32 s7, s7
; %bb.8985:                             ;   in Loop: Header=BB6_8449 Depth=2
	v_mov_b64_e32 v[2:3], v[0:1]
	v_bfe_u32 v4, v0, 23, 1
; %bb.8986:                             ;   in Loop: Header=BB6_8449 Depth=2
	s_or_b32 exec_lo, exec_lo, s7
	s_delay_alu instid0(VALU_DEP_2) | instskip(NEXT) | instid1(VALU_DEP_2)
	v_lshrrev_b64 v[2:3], 21, v[2:3]
	v_cmp_gt_i32_e32 vcc_lo, 32, v4
	v_min_i32_e32 v0, 31, v4
	v_cmp_eq_u32_e64 s7, 0, v4
	s_delay_alu instid0(VALU_DEP_2) | instskip(SKIP_1) | instid1(VALU_DEP_2)
	v_dual_cndmask_b32 v3, 0, v3 :: v_dual_lshlrev_b32 v0, 2, v0
	v_cndmask_b32_e32 v2, 3, v2, vcc_lo
	v_and_b32_e32 v0, 0xfc, v0
	s_delay_alu instid0(VALU_DEP_2) | instskip(NEXT) | instid1(VALU_DEP_2)
	v_cmp_eq_u64_e32 vcc_lo, 0, v[2:3]
	v_and_or_b32 v0, v2, 3, v0
	s_and_b32 s7, s7, vcc_lo
	s_delay_alu instid0(VALU_DEP_1) | instid1(SALU_CYCLE_1)
	v_cndmask_b32_e64 v0, v0, 0, s7
	s_delay_alu instid0(VALU_DEP_1)
	v_or_b32_e32 v57, v0, v8
.LBB6_8987:                             ;   in Loop: Header=BB6_8449 Depth=2
	s_or_b32 exec_lo, exec_lo, s41
                                        ; implicit-def: $vgpr8
.LBB6_8988:                             ;   in Loop: Header=BB6_8449 Depth=2
	s_and_not1_saveexec_b32 s7, s40
; %bb.8989:                             ;   in Loop: Header=BB6_8449 Depth=2
	v_or_b32_e32 v57, 0x7b, v8
; %bb.8990:                             ;   in Loop: Header=BB6_8449 Depth=2
	s_or_b32 exec_lo, exec_lo, s7
                                        ; implicit-def: $vgpr2
                                        ; implicit-def: $vgpr3
.LBB6_8991:                             ;   in Loop: Header=BB6_8449 Depth=2
	s_and_not1_saveexec_b32 s7, s29
	s_cbranch_execz .LBB6_8997
; %bb.8992:                             ;   in Loop: Header=BB6_8449 Depth=2
	s_mov_b32 s29, exec_lo
                                        ; implicit-def: $vgpr57
	v_cmpx_ne_u64_e32 0, v[0:1]
	s_xor_b32 s29, exec_lo, s29
; %bb.8993:                             ;   in Loop: Header=BB6_8449 Depth=2
	v_or_b32_e32 v57, 0x7f, v3
                                        ; implicit-def: $vgpr2
; %bb.8994:                             ;   in Loop: Header=BB6_8449 Depth=2
	s_and_not1_saveexec_b32 s29, s29
; %bb.8995:                             ;   in Loop: Header=BB6_8449 Depth=2
	v_cmp_lt_i32_e32 vcc_lo, -1, v2
	v_mov_b32_e32 v0, 0x7c
	s_delay_alu instid0(VALU_DEP_1)
	v_cndmask_b32_e32 v57, 0xfc, v0, vcc_lo
; %bb.8996:                             ;   in Loop: Header=BB6_8449 Depth=2
	s_or_b32 exec_lo, exec_lo, s29
.LBB6_8997:                             ;   in Loop: Header=BB6_8449 Depth=2
	s_delay_alu instid0(SALU_CYCLE_1) | instskip(SKIP_2) | instid1(VALU_DEP_1)
	s_or_b32 exec_lo, exec_lo, s7
	v_dual_mov_b32 v3, 0 :: v_dual_lshrrev_b32 v0, 16, v10
	s_mov_b32 s7, exec_lo
	v_and_b32_e32 v2, 0xff, v0
	s_delay_alu instid0(VALU_DEP_1)
	v_cmpx_ne_u16_e32 0, v2
	s_cbranch_execz .LBB6_9007
; %bb.8998:                             ;   in Loop: Header=BB6_8449 Depth=2
	v_bfrev_b32_e32 v3, 1
	s_mov_b32 s29, exec_lo
	v_cmpx_ne_u16_e32 0x80, v2
	s_cbranch_execz .LBB6_9006
; %bb.8999:                             ;   in Loop: Header=BB6_8449 Depth=2
	v_and_b32_e32 v3, 0x7c0000, v10
	v_bfe_u32 v2, v10, 16, 2
	s_delay_alu instid0(VALU_DEP_2) | instskip(SKIP_1) | instid1(SALU_CYCLE_1)
	v_cmp_ne_u32_e32 vcc_lo, 0x7c0000, v3
                                        ; implicit-def: $vgpr3
	s_and_saveexec_b32 s40, vcc_lo
	s_xor_b32 s40, exec_lo, s40
	s_cbranch_execz .LBB6_9003
; %bb.9000:                             ;   in Loop: Header=BB6_8449 Depth=2
	v_bfe_u32 v3, v10, 18, 5
	s_mov_b32 s41, exec_lo
	s_delay_alu instid0(VALU_DEP_1)
	v_cmpx_eq_u32_e32 0, v3
; %bb.9001:                             ;   in Loop: Header=BB6_8449 Depth=2
	v_clz_i32_u32_e32 v2, v2
	s_delay_alu instid0(VALU_DEP_1) | instskip(NEXT) | instid1(VALU_DEP_1)
	v_min_u32_e32 v4, 32, v2
	v_subrev_nc_u32_e32 v2, 29, v4
	s_delay_alu instid0(VALU_DEP_1) | instskip(NEXT) | instid1(VALU_DEP_1)
	v_lshlrev_b64_e32 v[2:3], v2, v[0:1]
	v_dual_sub_nc_u32 v3, 30, v4 :: v_dual_bitop2_b32 v2, 3, v2 bitop3:0x40
; %bb.9002:                             ;   in Loop: Header=BB6_8449 Depth=2
	s_or_b32 exec_lo, exec_lo, s41
	v_lshlrev_b32_e32 v0, 24, v0
	s_delay_alu instid0(VALU_DEP_1) | instskip(NEXT) | instid1(VALU_DEP_1)
	v_and_b32_e32 v0, 0x80000000, v0
	v_lshl_add_u32 v0, v3, 23, v0
	s_delay_alu instid0(VALU_DEP_1) | instskip(NEXT) | instid1(VALU_DEP_1)
	v_lshl_or_b32 v0, v2, 21, v0
                                        ; implicit-def: $vgpr2
	v_add_nc_u32_e32 v3, 0x38000000, v0
                                        ; implicit-def: $vgpr0
.LBB6_9003:                             ;   in Loop: Header=BB6_8449 Depth=2
	s_and_not1_saveexec_b32 s40, s40
; %bb.9004:                             ;   in Loop: Header=BB6_8449 Depth=2
	v_bfe_i32 v0, v0, 0, 8
	s_delay_alu instid0(VALU_DEP_1) | instskip(SKIP_1) | instid1(VALU_DEP_1)
	v_cmp_lt_i16_e32 vcc_lo, -1, v0
	v_mov_b32_e32 v0, 0x7f800000
	v_cndmask_b32_e32 v0, 0xff800000, v0, vcc_lo
	v_cmp_eq_u32_e32 vcc_lo, 0, v2
	s_delay_alu instid0(VALU_DEP_2)
	v_cndmask_b32_e32 v3, 0x7f800001, v0, vcc_lo
; %bb.9005:                             ;   in Loop: Header=BB6_8449 Depth=2
	s_or_b32 exec_lo, exec_lo, s40
.LBB6_9006:                             ;   in Loop: Header=BB6_8449 Depth=2
	s_delay_alu instid0(SALU_CYCLE_1)
	s_or_b32 exec_lo, exec_lo, s29
.LBB6_9007:                             ;   in Loop: Header=BB6_8449 Depth=2
	s_delay_alu instid0(SALU_CYCLE_1) | instskip(NEXT) | instid1(VALU_DEP_1)
	s_or_b32 exec_lo, exec_lo, s7
	v_dual_mul_f32 v2, s28, v3 :: v_dual_mov_b32 v5, v1
                                        ; implicit-def: $vgpr60
	s_mov_b32 s7, exec_lo
	s_delay_alu instid0(VALU_DEP_1) | instskip(SKIP_2) | instid1(VALU_DEP_3)
	v_and_b32_e32 v4, 0x7f800000, v2
	v_and_b32_e32 v0, 0x7fffff, v2
	v_lshrrev_b32_e32 v3, 24, v2
	v_cmpx_ne_u64_e32 0x7f800000, v[4:5]
	s_xor_b32 s29, exec_lo, s7
	s_cbranch_execz .LBB6_9021
; %bb.9008:                             ;   in Loop: Header=BB6_8449 Depth=2
	v_and_b32_e32 v4, 0x7fffffff, v2
	v_mov_b32_e32 v5, v1
	v_and_b32_e32 v8, 0x80, v3
                                        ; implicit-def: $vgpr60
	s_mov_b32 s7, exec_lo
	s_delay_alu instid0(VALU_DEP_2)
	v_cmpx_gt_u64_e32 0x47600001, v[4:5]
	s_xor_b32 s40, exec_lo, s7
	s_cbranch_execz .LBB6_9018
; %bb.9009:                             ;   in Loop: Header=BB6_8449 Depth=2
	v_mov_b32_e32 v60, 0
	s_mov_b32 s41, exec_lo
	v_cmpx_ne_u32_e32 0, v2
	s_cbranch_execz .LBB6_9017
; %bb.9010:                             ;   in Loop: Header=BB6_8449 Depth=2
	v_bfe_u32 v14, v2, 23, 8
	v_or_b32_e32 v4, 0x800000, v0
	s_mov_b32 s42, exec_lo
	s_delay_alu instid0(VALU_DEP_2) | instskip(SKIP_1) | instid1(VALU_DEP_2)
	v_dual_mov_b32 v5, v1 :: v_dual_sub_nc_u32 v2, 0x71, v14
	v_cmp_gt_u32_e32 vcc_lo, 0x72, v14
	v_cndmask_b32_e32 v2, 0, v2, vcc_lo
	v_cmp_eq_u32_e32 vcc_lo, 0, v14
	s_delay_alu instid0(VALU_DEP_2) | instskip(NEXT) | instid1(VALU_DEP_1)
	v_cndmask_b32_e64 v15, v2, 0x70, vcc_lo
	v_dual_cndmask_b32 v4, v4, v0, vcc_lo :: v_dual_add_nc_u32 v2, 21, v15
	v_add_nc_u32_e32 v16, 20, v15
	s_delay_alu instid0(VALU_DEP_2) | instskip(NEXT) | instid1(VALU_DEP_2)
	v_lshlrev_b64_e64 v[2:3], v2, -1
	v_lshlrev_b64_e64 v[16:17], v16, 1
	s_delay_alu instid0(VALU_DEP_2) | instskip(NEXT) | instid1(VALU_DEP_3)
	v_bfi_b32 v19, v3, 0, 0
	v_bfi_b32 v18, v2, 0, v4
	v_lshrrev_b64 v[2:3], v15, v[4:5]
	s_delay_alu instid0(VALU_DEP_1) | instskip(NEXT) | instid1(VALU_DEP_3)
	v_mov_b64_e32 v[4:5], v[2:3]
	v_cmpx_eq_u64_e64 v[18:19], v[16:17]
; %bb.9011:                             ;   in Loop: Header=BB6_8449 Depth=2
	v_bfe_u32 v4, v2, 21, 1
	v_mov_b32_e32 v5, v1
	s_delay_alu instid0(VALU_DEP_1) | instskip(NEXT) | instid1(VALU_DEP_1)
	v_add_nc_u64_e32 v[4:5], v[2:3], v[4:5]
	v_add_nc_u64_e32 v[4:5], -1, v[4:5]
; %bb.9012:                             ;   in Loop: Header=BB6_8449 Depth=2
	s_or_b32 exec_lo, exec_lo, s42
	v_add_nc_u32_e32 v0, 0xffffff81, v14
	v_lshrrev_b32_e32 v3, 23, v2
	s_mov_b32 s7, exec_lo
	s_delay_alu instid0(VALU_DEP_2) | instskip(NEXT) | instid1(VALU_DEP_1)
	v_cndmask_b32_e64 v0, v0, 0xffffff82, vcc_lo
	v_add3_u32 v5, v15, v0, v3
	v_and_b32_e32 v0, 0x1fffff, v4
                                        ; implicit-def: $vgpr4
	s_delay_alu instid0(VALU_DEP_1) | instskip(NEXT) | instid1(VALU_DEP_1)
	v_dual_add_nc_u32 v14, 14, v5 :: v_dual_add_nc_u32 v0, v0, v2
                                        ; implicit-def: $vgpr2_vgpr3
	v_cmpx_ne_u32_e32 0, v14
	s_xor_b32 s7, exec_lo, s7
; %bb.9013:                             ;   in Loop: Header=BB6_8449 Depth=2
	s_delay_alu instid0(VALU_DEP_2) | instskip(SKIP_1) | instid1(VALU_DEP_1)
	v_cmp_lt_u64_e32 vcc_lo, 0xffffff, v[0:1]
	v_add_nc_u32_e32 v2, 15, v5
	v_cndmask_b32_e32 v4, v14, v2, vcc_lo
	v_cndmask_b32_e64 v2, 0, 1, vcc_lo
	s_delay_alu instid0(VALU_DEP_1)
	v_lshrrev_b64 v[2:3], v2, v[0:1]
; %bb.9014:                             ;   in Loop: Header=BB6_8449 Depth=2
	s_and_not1_saveexec_b32 s7, s7
; %bb.9015:                             ;   in Loop: Header=BB6_8449 Depth=2
	v_mov_b64_e32 v[2:3], v[0:1]
	v_bfe_u32 v4, v0, 23, 1
; %bb.9016:                             ;   in Loop: Header=BB6_8449 Depth=2
	s_or_b32 exec_lo, exec_lo, s7
	s_delay_alu instid0(VALU_DEP_2) | instskip(NEXT) | instid1(VALU_DEP_2)
	v_lshrrev_b64 v[2:3], 21, v[2:3]
	v_cmp_gt_i32_e32 vcc_lo, 32, v4
	v_min_i32_e32 v0, 31, v4
	v_cmp_eq_u32_e64 s7, 0, v4
	s_delay_alu instid0(VALU_DEP_2) | instskip(SKIP_1) | instid1(VALU_DEP_2)
	v_dual_cndmask_b32 v3, 0, v3 :: v_dual_lshlrev_b32 v0, 2, v0
	v_cndmask_b32_e32 v2, 3, v2, vcc_lo
	v_and_b32_e32 v0, 0xfc, v0
	s_delay_alu instid0(VALU_DEP_2) | instskip(NEXT) | instid1(VALU_DEP_2)
	v_cmp_eq_u64_e32 vcc_lo, 0, v[2:3]
	v_and_or_b32 v0, v2, 3, v0
	s_and_b32 s7, s7, vcc_lo
	s_delay_alu instid0(VALU_DEP_1) | instid1(SALU_CYCLE_1)
	v_cndmask_b32_e64 v0, v0, 0, s7
	s_delay_alu instid0(VALU_DEP_1)
	v_or_b32_e32 v60, v0, v8
.LBB6_9017:                             ;   in Loop: Header=BB6_8449 Depth=2
	s_or_b32 exec_lo, exec_lo, s41
                                        ; implicit-def: $vgpr8
.LBB6_9018:                             ;   in Loop: Header=BB6_8449 Depth=2
	s_and_not1_saveexec_b32 s7, s40
; %bb.9019:                             ;   in Loop: Header=BB6_8449 Depth=2
	v_or_b32_e32 v60, 0x7b, v8
; %bb.9020:                             ;   in Loop: Header=BB6_8449 Depth=2
	s_or_b32 exec_lo, exec_lo, s7
                                        ; implicit-def: $vgpr2
                                        ; implicit-def: $vgpr3
.LBB6_9021:                             ;   in Loop: Header=BB6_8449 Depth=2
	s_and_not1_saveexec_b32 s7, s29
	s_cbranch_execz .LBB6_9027
; %bb.9022:                             ;   in Loop: Header=BB6_8449 Depth=2
	s_mov_b32 s29, exec_lo
                                        ; implicit-def: $vgpr60
	v_cmpx_ne_u64_e32 0, v[0:1]
	s_xor_b32 s29, exec_lo, s29
; %bb.9023:                             ;   in Loop: Header=BB6_8449 Depth=2
	v_or_b32_e32 v60, 0x7f, v3
                                        ; implicit-def: $vgpr2
; %bb.9024:                             ;   in Loop: Header=BB6_8449 Depth=2
	s_and_not1_saveexec_b32 s29, s29
; %bb.9025:                             ;   in Loop: Header=BB6_8449 Depth=2
	v_cmp_lt_i32_e32 vcc_lo, -1, v2
	v_mov_b32_e32 v0, 0x7c
	s_delay_alu instid0(VALU_DEP_1)
	v_cndmask_b32_e32 v60, 0xfc, v0, vcc_lo
; %bb.9026:                             ;   in Loop: Header=BB6_8449 Depth=2
	s_or_b32 exec_lo, exec_lo, s29
.LBB6_9027:                             ;   in Loop: Header=BB6_8449 Depth=2
	s_delay_alu instid0(SALU_CYCLE_1)
	s_or_b32 exec_lo, exec_lo, s7
	v_mov_b32_e32 v2, 0
	s_mov_b32 s7, exec_lo
	v_cmpx_lt_u32_e32 0xffffff, v10
	s_cbranch_execz .LBB6_9037
; %bb.9028:                             ;   in Loop: Header=BB6_8449 Depth=2
	v_lshrrev_b32_e32 v0, 24, v10
	v_bfrev_b32_e32 v2, 1
	s_mov_b32 s29, exec_lo
	s_delay_alu instid0(VALU_DEP_2)
	v_cmpx_ne_u32_e32 0x80, v0
	s_cbranch_execz .LBB6_9036
; %bb.9029:                             ;   in Loop: Header=BB6_8449 Depth=2
	v_and_b32_e32 v2, 0x7c000000, v10
	v_bfe_u32 v3, v10, 24, 2
	s_delay_alu instid0(VALU_DEP_2) | instskip(SKIP_1) | instid1(SALU_CYCLE_1)
	v_cmp_ne_u32_e32 vcc_lo, 0x7c000000, v2
                                        ; implicit-def: $vgpr2
	s_and_saveexec_b32 s40, vcc_lo
	s_xor_b32 s40, exec_lo, s40
	s_cbranch_execz .LBB6_9033
; %bb.9030:                             ;   in Loop: Header=BB6_8449 Depth=2
	v_bfe_u32 v2, v10, 26, 5
	s_mov_b32 s41, exec_lo
	s_delay_alu instid0(VALU_DEP_1)
	v_cmpx_eq_u32_e32 0, v2
; %bb.9031:                             ;   in Loop: Header=BB6_8449 Depth=2
	v_clz_i32_u32_e32 v2, v3
	s_delay_alu instid0(VALU_DEP_1) | instskip(NEXT) | instid1(VALU_DEP_1)
	v_min_u32_e32 v2, 32, v2
	v_subrev_nc_u32_e32 v3, 29, v2
	s_delay_alu instid0(VALU_DEP_1) | instskip(NEXT) | instid1(VALU_DEP_1)
	v_lshlrev_b64_e32 v[4:5], v3, v[0:1]
	v_dual_sub_nc_u32 v2, 30, v2 :: v_dual_bitop2_b32 v3, 3, v4 bitop3:0x40
; %bb.9032:                             ;   in Loop: Header=BB6_8449 Depth=2
	s_or_b32 exec_lo, exec_lo, s41
	v_and_b32_e32 v0, 0x80000000, v10
	s_delay_alu instid0(VALU_DEP_1) | instskip(NEXT) | instid1(VALU_DEP_1)
	v_lshl_add_u32 v0, v2, 23, v0
	v_lshl_or_b32 v0, v3, 21, v0
                                        ; implicit-def: $vgpr3
	s_delay_alu instid0(VALU_DEP_1)
	v_add_nc_u32_e32 v2, 0x38000000, v0
.LBB6_9033:                             ;   in Loop: Header=BB6_8449 Depth=2
	s_and_not1_saveexec_b32 s40, s40
; %bb.9034:                             ;   in Loop: Header=BB6_8449 Depth=2
	v_cmp_lt_i32_e32 vcc_lo, -1, v10
	v_mov_b32_e32 v0, 0x7f800000
	s_delay_alu instid0(VALU_DEP_1) | instskip(SKIP_1) | instid1(VALU_DEP_2)
	v_cndmask_b32_e32 v0, 0xff800000, v0, vcc_lo
	v_cmp_eq_u32_e32 vcc_lo, 0, v3
	v_cndmask_b32_e32 v2, 0x7f800001, v0, vcc_lo
; %bb.9035:                             ;   in Loop: Header=BB6_8449 Depth=2
	s_or_b32 exec_lo, exec_lo, s40
.LBB6_9036:                             ;   in Loop: Header=BB6_8449 Depth=2
	s_delay_alu instid0(SALU_CYCLE_1)
	s_or_b32 exec_lo, exec_lo, s29
.LBB6_9037:                             ;   in Loop: Header=BB6_8449 Depth=2
	s_delay_alu instid0(SALU_CYCLE_1) | instskip(NEXT) | instid1(VALU_DEP_1)
	s_or_b32 exec_lo, exec_lo, s7
	v_dual_mul_f32 v2, s28, v2 :: v_dual_mov_b32 v5, v1
                                        ; implicit-def: $vgpr61
	s_mov_b32 s7, exec_lo
	s_delay_alu instid0(VALU_DEP_1) | instskip(SKIP_2) | instid1(VALU_DEP_3)
	v_and_b32_e32 v4, 0x7f800000, v2
	v_and_b32_e32 v0, 0x7fffff, v2
	v_lshrrev_b32_e32 v3, 24, v2
	v_cmpx_ne_u64_e32 0x7f800000, v[4:5]
	s_xor_b32 s29, exec_lo, s7
	s_cbranch_execz .LBB6_9051
; %bb.9038:                             ;   in Loop: Header=BB6_8449 Depth=2
	v_and_b32_e32 v4, 0x7fffffff, v2
	v_mov_b32_e32 v5, v1
	v_and_b32_e32 v8, 0x80, v3
                                        ; implicit-def: $vgpr61
	s_mov_b32 s7, exec_lo
	s_delay_alu instid0(VALU_DEP_2)
	v_cmpx_gt_u64_e32 0x47600001, v[4:5]
	s_xor_b32 s40, exec_lo, s7
	s_cbranch_execz .LBB6_9048
; %bb.9039:                             ;   in Loop: Header=BB6_8449 Depth=2
	v_mov_b32_e32 v61, 0
	s_mov_b32 s41, exec_lo
	v_cmpx_ne_u32_e32 0, v2
	s_cbranch_execz .LBB6_9047
; %bb.9040:                             ;   in Loop: Header=BB6_8449 Depth=2
	v_bfe_u32 v14, v2, 23, 8
	v_or_b32_e32 v4, 0x800000, v0
	s_mov_b32 s42, exec_lo
	s_delay_alu instid0(VALU_DEP_2) | instskip(SKIP_1) | instid1(VALU_DEP_2)
	v_dual_mov_b32 v5, v1 :: v_dual_sub_nc_u32 v2, 0x71, v14
	v_cmp_gt_u32_e32 vcc_lo, 0x72, v14
	v_cndmask_b32_e32 v2, 0, v2, vcc_lo
	v_cmp_eq_u32_e32 vcc_lo, 0, v14
	s_delay_alu instid0(VALU_DEP_2) | instskip(NEXT) | instid1(VALU_DEP_1)
	v_cndmask_b32_e64 v15, v2, 0x70, vcc_lo
	v_dual_cndmask_b32 v4, v4, v0, vcc_lo :: v_dual_add_nc_u32 v2, 21, v15
	v_add_nc_u32_e32 v16, 20, v15
	s_delay_alu instid0(VALU_DEP_2) | instskip(NEXT) | instid1(VALU_DEP_2)
	v_lshlrev_b64_e64 v[2:3], v2, -1
	v_lshlrev_b64_e64 v[16:17], v16, 1
	s_delay_alu instid0(VALU_DEP_2) | instskip(NEXT) | instid1(VALU_DEP_3)
	v_bfi_b32 v19, v3, 0, 0
	v_bfi_b32 v18, v2, 0, v4
	v_lshrrev_b64 v[2:3], v15, v[4:5]
	s_delay_alu instid0(VALU_DEP_1) | instskip(NEXT) | instid1(VALU_DEP_3)
	v_mov_b64_e32 v[4:5], v[2:3]
	v_cmpx_eq_u64_e64 v[18:19], v[16:17]
; %bb.9041:                             ;   in Loop: Header=BB6_8449 Depth=2
	v_bfe_u32 v4, v2, 21, 1
	v_mov_b32_e32 v5, v1
	s_delay_alu instid0(VALU_DEP_1) | instskip(NEXT) | instid1(VALU_DEP_1)
	v_add_nc_u64_e32 v[4:5], v[2:3], v[4:5]
	v_add_nc_u64_e32 v[4:5], -1, v[4:5]
; %bb.9042:                             ;   in Loop: Header=BB6_8449 Depth=2
	s_or_b32 exec_lo, exec_lo, s42
	v_add_nc_u32_e32 v0, 0xffffff81, v14
	v_lshrrev_b32_e32 v3, 23, v2
	s_mov_b32 s7, exec_lo
	s_delay_alu instid0(VALU_DEP_2) | instskip(NEXT) | instid1(VALU_DEP_1)
	v_cndmask_b32_e64 v0, v0, 0xffffff82, vcc_lo
	v_add3_u32 v5, v15, v0, v3
	v_and_b32_e32 v0, 0x1fffff, v4
                                        ; implicit-def: $vgpr4
	s_delay_alu instid0(VALU_DEP_1) | instskip(NEXT) | instid1(VALU_DEP_1)
	v_dual_add_nc_u32 v14, 14, v5 :: v_dual_add_nc_u32 v0, v0, v2
                                        ; implicit-def: $vgpr2_vgpr3
	v_cmpx_ne_u32_e32 0, v14
	s_xor_b32 s7, exec_lo, s7
; %bb.9043:                             ;   in Loop: Header=BB6_8449 Depth=2
	s_delay_alu instid0(VALU_DEP_2) | instskip(SKIP_1) | instid1(VALU_DEP_1)
	v_cmp_lt_u64_e32 vcc_lo, 0xffffff, v[0:1]
	v_add_nc_u32_e32 v2, 15, v5
	v_cndmask_b32_e32 v4, v14, v2, vcc_lo
	v_cndmask_b32_e64 v2, 0, 1, vcc_lo
	s_delay_alu instid0(VALU_DEP_1)
	v_lshrrev_b64 v[2:3], v2, v[0:1]
; %bb.9044:                             ;   in Loop: Header=BB6_8449 Depth=2
	s_and_not1_saveexec_b32 s7, s7
; %bb.9045:                             ;   in Loop: Header=BB6_8449 Depth=2
	v_mov_b64_e32 v[2:3], v[0:1]
	v_bfe_u32 v4, v0, 23, 1
; %bb.9046:                             ;   in Loop: Header=BB6_8449 Depth=2
	s_or_b32 exec_lo, exec_lo, s7
	s_delay_alu instid0(VALU_DEP_2) | instskip(NEXT) | instid1(VALU_DEP_2)
	v_lshrrev_b64 v[2:3], 21, v[2:3]
	v_cmp_gt_i32_e32 vcc_lo, 32, v4
	v_min_i32_e32 v0, 31, v4
	v_cmp_eq_u32_e64 s7, 0, v4
	s_delay_alu instid0(VALU_DEP_2) | instskip(SKIP_1) | instid1(VALU_DEP_2)
	v_dual_cndmask_b32 v3, 0, v3 :: v_dual_lshlrev_b32 v0, 2, v0
	v_cndmask_b32_e32 v2, 3, v2, vcc_lo
	v_and_b32_e32 v0, 0xfc, v0
	s_delay_alu instid0(VALU_DEP_2) | instskip(NEXT) | instid1(VALU_DEP_2)
	v_cmp_eq_u64_e32 vcc_lo, 0, v[2:3]
	v_and_or_b32 v0, v2, 3, v0
	s_and_b32 s7, s7, vcc_lo
	s_delay_alu instid0(VALU_DEP_1) | instid1(SALU_CYCLE_1)
	v_cndmask_b32_e64 v0, v0, 0, s7
	s_delay_alu instid0(VALU_DEP_1)
	v_or_b32_e32 v61, v0, v8
.LBB6_9047:                             ;   in Loop: Header=BB6_8449 Depth=2
	s_or_b32 exec_lo, exec_lo, s41
                                        ; implicit-def: $vgpr8
.LBB6_9048:                             ;   in Loop: Header=BB6_8449 Depth=2
	s_and_not1_saveexec_b32 s7, s40
; %bb.9049:                             ;   in Loop: Header=BB6_8449 Depth=2
	v_or_b32_e32 v61, 0x7b, v8
; %bb.9050:                             ;   in Loop: Header=BB6_8449 Depth=2
	s_or_b32 exec_lo, exec_lo, s7
                                        ; implicit-def: $vgpr2
                                        ; implicit-def: $vgpr3
.LBB6_9051:                             ;   in Loop: Header=BB6_8449 Depth=2
	s_and_not1_saveexec_b32 s7, s29
	s_cbranch_execz .LBB6_9057
; %bb.9052:                             ;   in Loop: Header=BB6_8449 Depth=2
	s_mov_b32 s29, exec_lo
                                        ; implicit-def: $vgpr61
	v_cmpx_ne_u64_e32 0, v[0:1]
	s_xor_b32 s29, exec_lo, s29
; %bb.9053:                             ;   in Loop: Header=BB6_8449 Depth=2
	v_or_b32_e32 v61, 0x7f, v3
                                        ; implicit-def: $vgpr2
; %bb.9054:                             ;   in Loop: Header=BB6_8449 Depth=2
	s_and_not1_saveexec_b32 s29, s29
; %bb.9055:                             ;   in Loop: Header=BB6_8449 Depth=2
	v_cmp_lt_i32_e32 vcc_lo, -1, v2
	v_mov_b32_e32 v0, 0x7c
	s_delay_alu instid0(VALU_DEP_1)
	v_cndmask_b32_e32 v61, 0xfc, v0, vcc_lo
; %bb.9056:                             ;   in Loop: Header=BB6_8449 Depth=2
	s_or_b32 exec_lo, exec_lo, s29
.LBB6_9057:                             ;   in Loop: Header=BB6_8449 Depth=2
	s_delay_alu instid0(SALU_CYCLE_1) | instskip(SKIP_3) | instid1(VALU_DEP_2)
	s_or_b32 exec_lo, exec_lo, s7
	v_and_b32_e32 v2, 0xff, v11
	v_dual_mov_b32 v0, v11 :: v_dual_mov_b32 v3, 0
	s_mov_b32 s7, exec_lo
	v_cmpx_ne_u16_e32 0, v2
	s_cbranch_execz .LBB6_9067
; %bb.9058:                             ;   in Loop: Header=BB6_8449 Depth=2
	v_bfrev_b32_e32 v3, 1
	s_mov_b32 s29, exec_lo
	v_cmpx_ne_u16_e32 0x80, v2
	s_cbranch_execz .LBB6_9066
; %bb.9059:                             ;   in Loop: Header=BB6_8449 Depth=2
	v_and_b32_e32 v3, 0x7c, v11
	v_and_b32_e32 v2, 3, v11
	s_delay_alu instid0(VALU_DEP_2) | instskip(SKIP_1) | instid1(SALU_CYCLE_1)
	v_cmp_ne_u32_e32 vcc_lo, 0x7c, v3
                                        ; implicit-def: $vgpr3
	s_and_saveexec_b32 s40, vcc_lo
	s_xor_b32 s40, exec_lo, s40
	s_cbranch_execz .LBB6_9063
; %bb.9060:                             ;   in Loop: Header=BB6_8449 Depth=2
	v_bfe_u32 v3, v11, 2, 5
	s_mov_b32 s41, exec_lo
	s_delay_alu instid0(VALU_DEP_1)
	v_cmpx_eq_u32_e32 0, v3
; %bb.9061:                             ;   in Loop: Header=BB6_8449 Depth=2
	v_clz_i32_u32_e32 v2, v2
	s_delay_alu instid0(VALU_DEP_1) | instskip(NEXT) | instid1(VALU_DEP_1)
	v_min_u32_e32 v4, 32, v2
	v_subrev_nc_u32_e32 v2, 29, v4
	s_delay_alu instid0(VALU_DEP_1) | instskip(NEXT) | instid1(VALU_DEP_1)
	v_lshlrev_b64_e32 v[2:3], v2, v[0:1]
	v_dual_sub_nc_u32 v3, 30, v4 :: v_dual_bitop2_b32 v2, 3, v2 bitop3:0x40
; %bb.9062:                             ;   in Loop: Header=BB6_8449 Depth=2
	s_or_b32 exec_lo, exec_lo, s41
	v_lshlrev_b32_e32 v4, 24, v11
	s_delay_alu instid0(VALU_DEP_1) | instskip(NEXT) | instid1(VALU_DEP_1)
	v_and_b32_e32 v4, 0x80000000, v4
	v_lshl_add_u32 v3, v3, 23, v4
	s_delay_alu instid0(VALU_DEP_1) | instskip(NEXT) | instid1(VALU_DEP_1)
	v_lshl_or_b32 v2, v2, 21, v3
	v_add_nc_u32_e32 v3, 0x38000000, v2
                                        ; implicit-def: $vgpr2
.LBB6_9063:                             ;   in Loop: Header=BB6_8449 Depth=2
	s_and_not1_saveexec_b32 s40, s40
; %bb.9064:                             ;   in Loop: Header=BB6_8449 Depth=2
	v_bfe_i32 v3, v11, 0, 8
	s_delay_alu instid0(VALU_DEP_1) | instskip(SKIP_1) | instid1(VALU_DEP_1)
	v_cmp_lt_i16_e32 vcc_lo, -1, v3
	v_mov_b32_e32 v3, 0x7f800000
	v_cndmask_b32_e32 v3, 0xff800000, v3, vcc_lo
	v_cmp_eq_u32_e32 vcc_lo, 0, v2
	s_delay_alu instid0(VALU_DEP_2)
	v_cndmask_b32_e32 v3, 0x7f800001, v3, vcc_lo
; %bb.9065:                             ;   in Loop: Header=BB6_8449 Depth=2
	s_or_b32 exec_lo, exec_lo, s40
.LBB6_9066:                             ;   in Loop: Header=BB6_8449 Depth=2
	s_delay_alu instid0(SALU_CYCLE_1)
	s_or_b32 exec_lo, exec_lo, s29
.LBB6_9067:                             ;   in Loop: Header=BB6_8449 Depth=2
	s_delay_alu instid0(SALU_CYCLE_1) | instskip(NEXT) | instid1(VALU_DEP_1)
	s_or_b32 exec_lo, exec_lo, s7
	v_dual_mul_f32 v4, s28, v3 :: v_dual_mov_b32 v15, v1
	v_mov_b32_e32 v3, v1
                                        ; implicit-def: $vgpr41
	s_mov_b32 s7, exec_lo
	s_delay_alu instid0(VALU_DEP_2) | instskip(SKIP_2) | instid1(VALU_DEP_3)
	v_and_b32_e32 v14, 0x7f800000, v4
	v_and_b32_e32 v2, 0x7fffff, v4
	v_lshrrev_b32_e32 v5, 24, v4
	v_cmpx_ne_u64_e32 0x7f800000, v[14:15]
	s_xor_b32 s29, exec_lo, s7
	s_cbranch_execz .LBB6_9081
; %bb.9068:                             ;   in Loop: Header=BB6_8449 Depth=2
	v_and_b32_e32 v14, 0x7fffffff, v4
	v_mov_b32_e32 v15, v1
	v_and_b32_e32 v8, 0x80, v5
                                        ; implicit-def: $vgpr41
	s_mov_b32 s7, exec_lo
	s_delay_alu instid0(VALU_DEP_2)
	v_cmpx_gt_u64_e32 0x47600001, v[14:15]
	s_xor_b32 s40, exec_lo, s7
	s_cbranch_execz .LBB6_9078
; %bb.9069:                             ;   in Loop: Header=BB6_8449 Depth=2
	v_mov_b32_e32 v41, 0
	s_mov_b32 s41, exec_lo
	v_cmpx_ne_u32_e32 0, v4
	s_cbranch_execz .LBB6_9077
; %bb.9070:                             ;   in Loop: Header=BB6_8449 Depth=2
	v_bfe_u32 v14, v4, 23, 8
	v_or_b32_e32 v16, 0x800000, v2
	s_delay_alu instid0(VALU_DEP_2) | instskip(SKIP_1) | instid1(VALU_DEP_2)
	v_sub_nc_u32_e32 v4, 0x71, v14
	v_cmp_gt_u32_e32 vcc_lo, 0x72, v14
	v_cndmask_b32_e32 v4, 0, v4, vcc_lo
	v_cmp_eq_u32_e32 vcc_lo, 0, v14
	s_delay_alu instid0(VALU_DEP_2) | instskip(NEXT) | instid1(VALU_DEP_1)
	v_cndmask_b32_e64 v15, v4, 0x70, vcc_lo
	v_dual_cndmask_b32 v2, v16, v2, vcc_lo :: v_dual_add_nc_u32 v4, 21, v15
	v_add_nc_u32_e32 v17, 20, v15
	s_delay_alu instid0(VALU_DEP_2) | instskip(NEXT) | instid1(VALU_DEP_2)
	v_lshlrev_b64_e64 v[4:5], v4, -1
	v_lshlrev_b64_e64 v[16:17], v17, 1
	s_delay_alu instid0(VALU_DEP_2) | instskip(SKIP_1) | instid1(VALU_DEP_4)
	v_bfi_b32 v4, v4, 0, v2
	v_lshrrev_b64 v[2:3], v15, v[2:3]
	v_bfi_b32 v5, v5, 0, 0
	s_delay_alu instid0(VALU_DEP_1) | instskip(NEXT) | instid1(VALU_DEP_3)
	v_cmp_eq_u64_e64 s7, v[4:5], v[16:17]
	v_mov_b64_e32 v[4:5], v[2:3]
	s_and_saveexec_b32 s42, s7
; %bb.9071:                             ;   in Loop: Header=BB6_8449 Depth=2
	v_bfe_u32 v4, v2, 21, 1
	v_mov_b32_e32 v5, v1
	s_delay_alu instid0(VALU_DEP_1) | instskip(NEXT) | instid1(VALU_DEP_1)
	v_add_nc_u64_e32 v[4:5], v[2:3], v[4:5]
	v_add_nc_u64_e32 v[4:5], -1, v[4:5]
; %bb.9072:                             ;   in Loop: Header=BB6_8449 Depth=2
	s_or_b32 exec_lo, exec_lo, s42
	v_add_nc_u32_e32 v3, 0xffffff81, v14
	v_lshrrev_b32_e32 v5, 23, v2
	s_mov_b32 s7, exec_lo
	s_delay_alu instid0(VALU_DEP_2) | instskip(NEXT) | instid1(VALU_DEP_1)
	v_cndmask_b32_e64 v3, v3, 0xffffff82, vcc_lo
	v_add3_u32 v5, v15, v3, v5
	v_and_b32_e32 v3, 0x1fffff, v4
                                        ; implicit-def: $vgpr4
	s_delay_alu instid0(VALU_DEP_1) | instskip(SKIP_1) | instid1(VALU_DEP_2)
	v_dual_add_nc_u32 v14, 14, v5 :: v_dual_add_nc_u32 v2, v3, v2
	v_mov_b32_e32 v3, v1
	v_cmpx_ne_u32_e32 0, v14
	s_xor_b32 s7, exec_lo, s7
; %bb.9073:                             ;   in Loop: Header=BB6_8449 Depth=2
	s_delay_alu instid0(VALU_DEP_2) | instskip(SKIP_2) | instid1(VALU_DEP_2)
	v_cmp_lt_u64_e32 vcc_lo, 0xffffff, v[2:3]
	v_add_nc_u32_e32 v4, 15, v5
	v_cndmask_b32_e64 v5, 0, 1, vcc_lo
	v_cndmask_b32_e32 v4, v14, v4, vcc_lo
	s_delay_alu instid0(VALU_DEP_2)
	v_lshrrev_b64 v[2:3], v5, v[2:3]
; %bb.9074:                             ;   in Loop: Header=BB6_8449 Depth=2
	s_and_not1_saveexec_b32 s7, s7
; %bb.9075:                             ;   in Loop: Header=BB6_8449 Depth=2
	s_delay_alu instid0(VALU_DEP_1)
	v_bfe_u32 v4, v2, 23, 1
; %bb.9076:                             ;   in Loop: Header=BB6_8449 Depth=2
	s_or_b32 exec_lo, exec_lo, s7
	s_delay_alu instid0(VALU_DEP_2) | instskip(NEXT) | instid1(VALU_DEP_2)
	v_lshrrev_b64 v[2:3], 21, v[2:3]
	v_cmp_gt_i32_e32 vcc_lo, 32, v4
	v_min_i32_e32 v5, 31, v4
	v_cmp_eq_u32_e64 s7, 0, v4
	s_delay_alu instid0(VALU_DEP_2) | instskip(SKIP_1) | instid1(VALU_DEP_2)
	v_dual_cndmask_b32 v3, 0, v3, vcc_lo :: v_dual_lshlrev_b32 v5, 2, v5
	v_cndmask_b32_e32 v2, 3, v2, vcc_lo
	v_and_b32_e32 v5, 0xfc, v5
	s_delay_alu instid0(VALU_DEP_2) | instskip(NEXT) | instid1(VALU_DEP_2)
	v_cmp_eq_u64_e32 vcc_lo, 0, v[2:3]
	v_and_or_b32 v2, v2, 3, v5
	s_and_b32 s7, s7, vcc_lo
	s_delay_alu instid0(VALU_DEP_1) | instid1(SALU_CYCLE_1)
	v_cndmask_b32_e64 v2, v2, 0, s7
	s_delay_alu instid0(VALU_DEP_1)
	v_or_b32_e32 v41, v2, v8
.LBB6_9077:                             ;   in Loop: Header=BB6_8449 Depth=2
	s_or_b32 exec_lo, exec_lo, s41
                                        ; implicit-def: $vgpr8
.LBB6_9078:                             ;   in Loop: Header=BB6_8449 Depth=2
	s_and_not1_saveexec_b32 s7, s40
; %bb.9079:                             ;   in Loop: Header=BB6_8449 Depth=2
	v_or_b32_e32 v41, 0x7b, v8
; %bb.9080:                             ;   in Loop: Header=BB6_8449 Depth=2
	s_or_b32 exec_lo, exec_lo, s7
                                        ; implicit-def: $vgpr4
                                        ; implicit-def: $vgpr2_vgpr3
                                        ; implicit-def: $vgpr5
.LBB6_9081:                             ;   in Loop: Header=BB6_8449 Depth=2
	s_and_not1_saveexec_b32 s7, s29
	s_cbranch_execz .LBB6_9087
; %bb.9082:                             ;   in Loop: Header=BB6_8449 Depth=2
	s_mov_b32 s29, exec_lo
                                        ; implicit-def: $vgpr41
	v_cmpx_ne_u64_e32 0, v[2:3]
	s_xor_b32 s29, exec_lo, s29
; %bb.9083:                             ;   in Loop: Header=BB6_8449 Depth=2
	v_or_b32_e32 v41, 0x7f, v5
                                        ; implicit-def: $vgpr4
; %bb.9084:                             ;   in Loop: Header=BB6_8449 Depth=2
	s_and_not1_saveexec_b32 s29, s29
; %bb.9085:                             ;   in Loop: Header=BB6_8449 Depth=2
	v_cmp_lt_i32_e32 vcc_lo, -1, v4
	v_mov_b32_e32 v2, 0x7c
	s_delay_alu instid0(VALU_DEP_1)
	v_cndmask_b32_e32 v41, 0xfc, v2, vcc_lo
; %bb.9086:                             ;   in Loop: Header=BB6_8449 Depth=2
	s_or_b32 exec_lo, exec_lo, s29
.LBB6_9087:                             ;   in Loop: Header=BB6_8449 Depth=2
	s_delay_alu instid0(SALU_CYCLE_1) | instskip(SKIP_3) | instid1(VALU_DEP_2)
	s_or_b32 exec_lo, exec_lo, s7
	v_lshrrev_b16 v2, 8, v0
	v_mov_b32_e32 v4, 0
	s_mov_b32 s7, exec_lo
	v_cmpx_ne_u16_e32 0, v2
	s_cbranch_execz .LBB6_9097
; %bb.9088:                             ;   in Loop: Header=BB6_8449 Depth=2
	v_bfrev_b32_e32 v4, 1
	s_mov_b32 s29, exec_lo
	v_cmpx_ne_u16_e32 0x80, v2
	s_cbranch_execz .LBB6_9096
; %bb.9089:                             ;   in Loop: Header=BB6_8449 Depth=2
	v_and_b32_e32 v5, 0xffff, v2
	s_delay_alu instid0(VALU_DEP_1) | instskip(SKIP_1) | instid1(VALU_DEP_2)
	v_and_b32_e32 v4, 0x7c, v5
	v_and_b32_e32 v3, 3, v5
	v_cmp_ne_u32_e32 vcc_lo, 0x7c, v4
                                        ; implicit-def: $vgpr4
	s_and_saveexec_b32 s40, vcc_lo
	s_delay_alu instid0(SALU_CYCLE_1)
	s_xor_b32 s40, exec_lo, s40
	s_cbranch_execz .LBB6_9093
; %bb.9090:                             ;   in Loop: Header=BB6_8449 Depth=2
	v_bfe_u32 v4, v5, 2, 5
	s_mov_b32 s41, exec_lo
	s_delay_alu instid0(VALU_DEP_1)
	v_cmpx_eq_u32_e32 0, v4
	s_cbranch_execz .LBB6_9092
; %bb.9091:                             ;   in Loop: Header=BB6_8449 Depth=2
	v_clz_i32_u32_e32 v3, v3
	s_delay_alu instid0(VALU_DEP_1) | instskip(SKIP_1) | instid1(VALU_DEP_2)
	v_min_u32_e32 v4, 32, v3
	v_mov_b32_e32 v3, v1
	v_subrev_nc_u32_e32 v5, 29, v4
	v_sub_nc_u32_e32 v4, 30, v4
	s_delay_alu instid0(VALU_DEP_2) | instskip(NEXT) | instid1(VALU_DEP_1)
	v_lshlrev_b64_e32 v[2:3], v5, v[2:3]
	v_and_b32_e32 v3, 3, v2
.LBB6_9092:                             ;   in Loop: Header=BB6_8449 Depth=2
	s_or_b32 exec_lo, exec_lo, s41
	v_lshlrev_b32_e32 v0, 16, v0
	s_delay_alu instid0(VALU_DEP_1) | instskip(NEXT) | instid1(VALU_DEP_1)
	v_and_b32_e32 v0, 0x80000000, v0
	v_lshl_add_u32 v0, v4, 23, v0
	s_delay_alu instid0(VALU_DEP_1) | instskip(NEXT) | instid1(VALU_DEP_1)
	v_lshl_or_b32 v0, v3, 21, v0
                                        ; implicit-def: $vgpr3
	v_add_nc_u32_e32 v4, 0x38000000, v0
.LBB6_9093:                             ;   in Loop: Header=BB6_8449 Depth=2
	s_and_not1_saveexec_b32 s40, s40
; %bb.9094:                             ;   in Loop: Header=BB6_8449 Depth=2
	v_cmp_lt_i16_e32 vcc_lo, -1, v0
	v_mov_b32_e32 v0, 0x7f800000
	s_delay_alu instid0(VALU_DEP_1) | instskip(SKIP_1) | instid1(VALU_DEP_2)
	v_cndmask_b32_e32 v0, 0xff800000, v0, vcc_lo
	v_cmp_eq_u32_e32 vcc_lo, 0, v3
	v_cndmask_b32_e32 v4, 0x7f800001, v0, vcc_lo
; %bb.9095:                             ;   in Loop: Header=BB6_8449 Depth=2
	s_or_b32 exec_lo, exec_lo, s40
.LBB6_9096:                             ;   in Loop: Header=BB6_8449 Depth=2
	s_delay_alu instid0(SALU_CYCLE_1)
	s_or_b32 exec_lo, exec_lo, s29
.LBB6_9097:                             ;   in Loop: Header=BB6_8449 Depth=2
	s_delay_alu instid0(SALU_CYCLE_1) | instskip(NEXT) | instid1(VALU_DEP_1)
	s_or_b32 exec_lo, exec_lo, s7
	v_dual_mul_f32 v2, s28, v4 :: v_dual_mov_b32 v5, v1
                                        ; implicit-def: $vgpr44
	s_mov_b32 s7, exec_lo
	s_delay_alu instid0(VALU_DEP_1) | instskip(SKIP_2) | instid1(VALU_DEP_3)
	v_and_b32_e32 v4, 0x7f800000, v2
	v_and_b32_e32 v0, 0x7fffff, v2
	v_lshrrev_b32_e32 v3, 24, v2
	v_cmpx_ne_u64_e32 0x7f800000, v[4:5]
	s_xor_b32 s29, exec_lo, s7
	s_cbranch_execz .LBB6_9111
; %bb.9098:                             ;   in Loop: Header=BB6_8449 Depth=2
	v_and_b32_e32 v4, 0x7fffffff, v2
	v_mov_b32_e32 v5, v1
	v_and_b32_e32 v8, 0x80, v3
                                        ; implicit-def: $vgpr44
	s_mov_b32 s7, exec_lo
	s_delay_alu instid0(VALU_DEP_2)
	v_cmpx_gt_u64_e32 0x47600001, v[4:5]
	s_xor_b32 s40, exec_lo, s7
	s_cbranch_execz .LBB6_9108
; %bb.9099:                             ;   in Loop: Header=BB6_8449 Depth=2
	v_mov_b32_e32 v44, 0
	s_mov_b32 s41, exec_lo
	v_cmpx_ne_u32_e32 0, v2
	s_cbranch_execz .LBB6_9107
; %bb.9100:                             ;   in Loop: Header=BB6_8449 Depth=2
	v_bfe_u32 v14, v2, 23, 8
	v_or_b32_e32 v4, 0x800000, v0
	s_mov_b32 s42, exec_lo
	s_delay_alu instid0(VALU_DEP_2) | instskip(SKIP_1) | instid1(VALU_DEP_2)
	v_dual_mov_b32 v5, v1 :: v_dual_sub_nc_u32 v2, 0x71, v14
	v_cmp_gt_u32_e32 vcc_lo, 0x72, v14
	v_cndmask_b32_e32 v2, 0, v2, vcc_lo
	v_cmp_eq_u32_e32 vcc_lo, 0, v14
	s_delay_alu instid0(VALU_DEP_2) | instskip(NEXT) | instid1(VALU_DEP_1)
	v_cndmask_b32_e64 v15, v2, 0x70, vcc_lo
	v_dual_cndmask_b32 v4, v4, v0, vcc_lo :: v_dual_add_nc_u32 v2, 21, v15
	v_add_nc_u32_e32 v16, 20, v15
	s_delay_alu instid0(VALU_DEP_2) | instskip(NEXT) | instid1(VALU_DEP_2)
	v_lshlrev_b64_e64 v[2:3], v2, -1
	v_lshlrev_b64_e64 v[16:17], v16, 1
	s_delay_alu instid0(VALU_DEP_2) | instskip(NEXT) | instid1(VALU_DEP_3)
	v_bfi_b32 v19, v3, 0, 0
	v_bfi_b32 v18, v2, 0, v4
	v_lshrrev_b64 v[2:3], v15, v[4:5]
	s_delay_alu instid0(VALU_DEP_1) | instskip(NEXT) | instid1(VALU_DEP_3)
	v_mov_b64_e32 v[4:5], v[2:3]
	v_cmpx_eq_u64_e64 v[18:19], v[16:17]
; %bb.9101:                             ;   in Loop: Header=BB6_8449 Depth=2
	v_bfe_u32 v4, v2, 21, 1
	v_mov_b32_e32 v5, v1
	s_delay_alu instid0(VALU_DEP_1) | instskip(NEXT) | instid1(VALU_DEP_1)
	v_add_nc_u64_e32 v[4:5], v[2:3], v[4:5]
	v_add_nc_u64_e32 v[4:5], -1, v[4:5]
; %bb.9102:                             ;   in Loop: Header=BB6_8449 Depth=2
	s_or_b32 exec_lo, exec_lo, s42
	v_add_nc_u32_e32 v0, 0xffffff81, v14
	v_lshrrev_b32_e32 v3, 23, v2
	s_mov_b32 s7, exec_lo
	s_delay_alu instid0(VALU_DEP_2) | instskip(NEXT) | instid1(VALU_DEP_1)
	v_cndmask_b32_e64 v0, v0, 0xffffff82, vcc_lo
	v_add3_u32 v5, v15, v0, v3
	v_and_b32_e32 v0, 0x1fffff, v4
                                        ; implicit-def: $vgpr4
	s_delay_alu instid0(VALU_DEP_1) | instskip(NEXT) | instid1(VALU_DEP_1)
	v_dual_add_nc_u32 v14, 14, v5 :: v_dual_add_nc_u32 v0, v0, v2
                                        ; implicit-def: $vgpr2_vgpr3
	v_cmpx_ne_u32_e32 0, v14
	s_xor_b32 s7, exec_lo, s7
; %bb.9103:                             ;   in Loop: Header=BB6_8449 Depth=2
	s_delay_alu instid0(VALU_DEP_2) | instskip(SKIP_1) | instid1(VALU_DEP_1)
	v_cmp_lt_u64_e32 vcc_lo, 0xffffff, v[0:1]
	v_add_nc_u32_e32 v2, 15, v5
	v_cndmask_b32_e32 v4, v14, v2, vcc_lo
	v_cndmask_b32_e64 v2, 0, 1, vcc_lo
	s_delay_alu instid0(VALU_DEP_1)
	v_lshrrev_b64 v[2:3], v2, v[0:1]
; %bb.9104:                             ;   in Loop: Header=BB6_8449 Depth=2
	s_and_not1_saveexec_b32 s7, s7
; %bb.9105:                             ;   in Loop: Header=BB6_8449 Depth=2
	v_mov_b64_e32 v[2:3], v[0:1]
	v_bfe_u32 v4, v0, 23, 1
; %bb.9106:                             ;   in Loop: Header=BB6_8449 Depth=2
	s_or_b32 exec_lo, exec_lo, s7
	s_delay_alu instid0(VALU_DEP_2) | instskip(NEXT) | instid1(VALU_DEP_2)
	v_lshrrev_b64 v[2:3], 21, v[2:3]
	v_cmp_gt_i32_e32 vcc_lo, 32, v4
	v_min_i32_e32 v0, 31, v4
	v_cmp_eq_u32_e64 s7, 0, v4
	s_delay_alu instid0(VALU_DEP_2) | instskip(SKIP_1) | instid1(VALU_DEP_2)
	v_dual_cndmask_b32 v3, 0, v3 :: v_dual_lshlrev_b32 v0, 2, v0
	v_cndmask_b32_e32 v2, 3, v2, vcc_lo
	v_and_b32_e32 v0, 0xfc, v0
	s_delay_alu instid0(VALU_DEP_2) | instskip(NEXT) | instid1(VALU_DEP_2)
	v_cmp_eq_u64_e32 vcc_lo, 0, v[2:3]
	v_and_or_b32 v0, v2, 3, v0
	s_and_b32 s7, s7, vcc_lo
	s_delay_alu instid0(VALU_DEP_1) | instid1(SALU_CYCLE_1)
	v_cndmask_b32_e64 v0, v0, 0, s7
	s_delay_alu instid0(VALU_DEP_1)
	v_or_b32_e32 v44, v0, v8
.LBB6_9107:                             ;   in Loop: Header=BB6_8449 Depth=2
	s_or_b32 exec_lo, exec_lo, s41
                                        ; implicit-def: $vgpr8
.LBB6_9108:                             ;   in Loop: Header=BB6_8449 Depth=2
	s_and_not1_saveexec_b32 s7, s40
; %bb.9109:                             ;   in Loop: Header=BB6_8449 Depth=2
	v_or_b32_e32 v44, 0x7b, v8
; %bb.9110:                             ;   in Loop: Header=BB6_8449 Depth=2
	s_or_b32 exec_lo, exec_lo, s7
                                        ; implicit-def: $vgpr2
                                        ; implicit-def: $vgpr3
.LBB6_9111:                             ;   in Loop: Header=BB6_8449 Depth=2
	s_and_not1_saveexec_b32 s7, s29
	s_cbranch_execz .LBB6_9117
; %bb.9112:                             ;   in Loop: Header=BB6_8449 Depth=2
	s_mov_b32 s29, exec_lo
                                        ; implicit-def: $vgpr44
	v_cmpx_ne_u64_e32 0, v[0:1]
	s_xor_b32 s29, exec_lo, s29
; %bb.9113:                             ;   in Loop: Header=BB6_8449 Depth=2
	v_or_b32_e32 v44, 0x7f, v3
                                        ; implicit-def: $vgpr2
; %bb.9114:                             ;   in Loop: Header=BB6_8449 Depth=2
	s_and_not1_saveexec_b32 s29, s29
; %bb.9115:                             ;   in Loop: Header=BB6_8449 Depth=2
	v_cmp_lt_i32_e32 vcc_lo, -1, v2
	v_mov_b32_e32 v0, 0x7c
	s_delay_alu instid0(VALU_DEP_1)
	v_cndmask_b32_e32 v44, 0xfc, v0, vcc_lo
; %bb.9116:                             ;   in Loop: Header=BB6_8449 Depth=2
	s_or_b32 exec_lo, exec_lo, s29
.LBB6_9117:                             ;   in Loop: Header=BB6_8449 Depth=2
	s_delay_alu instid0(SALU_CYCLE_1) | instskip(SKIP_2) | instid1(VALU_DEP_1)
	s_or_b32 exec_lo, exec_lo, s7
	v_dual_mov_b32 v3, 0 :: v_dual_lshrrev_b32 v0, 16, v11
	s_mov_b32 s7, exec_lo
	v_and_b32_e32 v2, 0xff, v0
	s_delay_alu instid0(VALU_DEP_1)
	v_cmpx_ne_u16_e32 0, v2
	s_cbranch_execz .LBB6_9127
; %bb.9118:                             ;   in Loop: Header=BB6_8449 Depth=2
	v_bfrev_b32_e32 v3, 1
	s_mov_b32 s29, exec_lo
	v_cmpx_ne_u16_e32 0x80, v2
	s_cbranch_execz .LBB6_9126
; %bb.9119:                             ;   in Loop: Header=BB6_8449 Depth=2
	v_and_b32_e32 v3, 0x7c0000, v11
	v_bfe_u32 v2, v11, 16, 2
	s_delay_alu instid0(VALU_DEP_2) | instskip(SKIP_1) | instid1(SALU_CYCLE_1)
	v_cmp_ne_u32_e32 vcc_lo, 0x7c0000, v3
                                        ; implicit-def: $vgpr3
	s_and_saveexec_b32 s40, vcc_lo
	s_xor_b32 s40, exec_lo, s40
	s_cbranch_execz .LBB6_9123
; %bb.9120:                             ;   in Loop: Header=BB6_8449 Depth=2
	v_bfe_u32 v3, v11, 18, 5
	s_mov_b32 s41, exec_lo
	s_delay_alu instid0(VALU_DEP_1)
	v_cmpx_eq_u32_e32 0, v3
; %bb.9121:                             ;   in Loop: Header=BB6_8449 Depth=2
	v_clz_i32_u32_e32 v2, v2
	s_delay_alu instid0(VALU_DEP_1) | instskip(NEXT) | instid1(VALU_DEP_1)
	v_min_u32_e32 v4, 32, v2
	v_subrev_nc_u32_e32 v2, 29, v4
	s_delay_alu instid0(VALU_DEP_1) | instskip(NEXT) | instid1(VALU_DEP_1)
	v_lshlrev_b64_e32 v[2:3], v2, v[0:1]
	v_dual_sub_nc_u32 v3, 30, v4 :: v_dual_bitop2_b32 v2, 3, v2 bitop3:0x40
; %bb.9122:                             ;   in Loop: Header=BB6_8449 Depth=2
	s_or_b32 exec_lo, exec_lo, s41
	v_lshlrev_b32_e32 v0, 24, v0
	s_delay_alu instid0(VALU_DEP_1) | instskip(NEXT) | instid1(VALU_DEP_1)
	v_and_b32_e32 v0, 0x80000000, v0
	v_lshl_add_u32 v0, v3, 23, v0
	s_delay_alu instid0(VALU_DEP_1) | instskip(NEXT) | instid1(VALU_DEP_1)
	v_lshl_or_b32 v0, v2, 21, v0
                                        ; implicit-def: $vgpr2
	v_add_nc_u32_e32 v3, 0x38000000, v0
                                        ; implicit-def: $vgpr0
.LBB6_9123:                             ;   in Loop: Header=BB6_8449 Depth=2
	s_and_not1_saveexec_b32 s40, s40
; %bb.9124:                             ;   in Loop: Header=BB6_8449 Depth=2
	v_bfe_i32 v0, v0, 0, 8
	s_delay_alu instid0(VALU_DEP_1) | instskip(SKIP_1) | instid1(VALU_DEP_1)
	v_cmp_lt_i16_e32 vcc_lo, -1, v0
	v_mov_b32_e32 v0, 0x7f800000
	v_cndmask_b32_e32 v0, 0xff800000, v0, vcc_lo
	v_cmp_eq_u32_e32 vcc_lo, 0, v2
	s_delay_alu instid0(VALU_DEP_2)
	v_cndmask_b32_e32 v3, 0x7f800001, v0, vcc_lo
; %bb.9125:                             ;   in Loop: Header=BB6_8449 Depth=2
	s_or_b32 exec_lo, exec_lo, s40
.LBB6_9126:                             ;   in Loop: Header=BB6_8449 Depth=2
	s_delay_alu instid0(SALU_CYCLE_1)
	s_or_b32 exec_lo, exec_lo, s29
.LBB6_9127:                             ;   in Loop: Header=BB6_8449 Depth=2
	s_delay_alu instid0(SALU_CYCLE_1) | instskip(NEXT) | instid1(VALU_DEP_1)
	s_or_b32 exec_lo, exec_lo, s7
	v_dual_mul_f32 v2, s28, v3 :: v_dual_mov_b32 v5, v1
                                        ; implicit-def: $vgpr56
	s_mov_b32 s7, exec_lo
	s_delay_alu instid0(VALU_DEP_1) | instskip(SKIP_2) | instid1(VALU_DEP_3)
	v_and_b32_e32 v4, 0x7f800000, v2
	v_and_b32_e32 v0, 0x7fffff, v2
	v_lshrrev_b32_e32 v3, 24, v2
	v_cmpx_ne_u64_e32 0x7f800000, v[4:5]
	s_xor_b32 s29, exec_lo, s7
	s_cbranch_execz .LBB6_9141
; %bb.9128:                             ;   in Loop: Header=BB6_8449 Depth=2
	v_and_b32_e32 v4, 0x7fffffff, v2
	v_mov_b32_e32 v5, v1
	v_and_b32_e32 v8, 0x80, v3
                                        ; implicit-def: $vgpr56
	s_mov_b32 s7, exec_lo
	s_delay_alu instid0(VALU_DEP_2)
	v_cmpx_gt_u64_e32 0x47600001, v[4:5]
	s_xor_b32 s40, exec_lo, s7
	s_cbranch_execz .LBB6_9138
; %bb.9129:                             ;   in Loop: Header=BB6_8449 Depth=2
	v_mov_b32_e32 v56, 0
	s_mov_b32 s41, exec_lo
	v_cmpx_ne_u32_e32 0, v2
	s_cbranch_execz .LBB6_9137
; %bb.9130:                             ;   in Loop: Header=BB6_8449 Depth=2
	v_bfe_u32 v14, v2, 23, 8
	v_or_b32_e32 v4, 0x800000, v0
	s_mov_b32 s42, exec_lo
	s_delay_alu instid0(VALU_DEP_2) | instskip(SKIP_1) | instid1(VALU_DEP_2)
	v_dual_mov_b32 v5, v1 :: v_dual_sub_nc_u32 v2, 0x71, v14
	v_cmp_gt_u32_e32 vcc_lo, 0x72, v14
	v_cndmask_b32_e32 v2, 0, v2, vcc_lo
	v_cmp_eq_u32_e32 vcc_lo, 0, v14
	s_delay_alu instid0(VALU_DEP_2) | instskip(NEXT) | instid1(VALU_DEP_1)
	v_cndmask_b32_e64 v15, v2, 0x70, vcc_lo
	v_dual_cndmask_b32 v4, v4, v0, vcc_lo :: v_dual_add_nc_u32 v2, 21, v15
	v_add_nc_u32_e32 v16, 20, v15
	s_delay_alu instid0(VALU_DEP_2) | instskip(NEXT) | instid1(VALU_DEP_2)
	v_lshlrev_b64_e64 v[2:3], v2, -1
	v_lshlrev_b64_e64 v[16:17], v16, 1
	s_delay_alu instid0(VALU_DEP_2) | instskip(NEXT) | instid1(VALU_DEP_3)
	v_bfi_b32 v19, v3, 0, 0
	v_bfi_b32 v18, v2, 0, v4
	v_lshrrev_b64 v[2:3], v15, v[4:5]
	s_delay_alu instid0(VALU_DEP_1) | instskip(NEXT) | instid1(VALU_DEP_3)
	v_mov_b64_e32 v[4:5], v[2:3]
	v_cmpx_eq_u64_e64 v[18:19], v[16:17]
; %bb.9131:                             ;   in Loop: Header=BB6_8449 Depth=2
	v_bfe_u32 v4, v2, 21, 1
	v_mov_b32_e32 v5, v1
	s_delay_alu instid0(VALU_DEP_1) | instskip(NEXT) | instid1(VALU_DEP_1)
	v_add_nc_u64_e32 v[4:5], v[2:3], v[4:5]
	v_add_nc_u64_e32 v[4:5], -1, v[4:5]
; %bb.9132:                             ;   in Loop: Header=BB6_8449 Depth=2
	s_or_b32 exec_lo, exec_lo, s42
	v_add_nc_u32_e32 v0, 0xffffff81, v14
	v_lshrrev_b32_e32 v3, 23, v2
	s_mov_b32 s7, exec_lo
	s_delay_alu instid0(VALU_DEP_2) | instskip(NEXT) | instid1(VALU_DEP_1)
	v_cndmask_b32_e64 v0, v0, 0xffffff82, vcc_lo
	v_add3_u32 v5, v15, v0, v3
	v_and_b32_e32 v0, 0x1fffff, v4
                                        ; implicit-def: $vgpr4
	s_delay_alu instid0(VALU_DEP_1) | instskip(NEXT) | instid1(VALU_DEP_1)
	v_dual_add_nc_u32 v14, 14, v5 :: v_dual_add_nc_u32 v0, v0, v2
                                        ; implicit-def: $vgpr2_vgpr3
	v_cmpx_ne_u32_e32 0, v14
	s_xor_b32 s7, exec_lo, s7
; %bb.9133:                             ;   in Loop: Header=BB6_8449 Depth=2
	s_delay_alu instid0(VALU_DEP_2) | instskip(SKIP_1) | instid1(VALU_DEP_1)
	v_cmp_lt_u64_e32 vcc_lo, 0xffffff, v[0:1]
	v_add_nc_u32_e32 v2, 15, v5
	v_cndmask_b32_e32 v4, v14, v2, vcc_lo
	v_cndmask_b32_e64 v2, 0, 1, vcc_lo
	s_delay_alu instid0(VALU_DEP_1)
	v_lshrrev_b64 v[2:3], v2, v[0:1]
; %bb.9134:                             ;   in Loop: Header=BB6_8449 Depth=2
	s_and_not1_saveexec_b32 s7, s7
; %bb.9135:                             ;   in Loop: Header=BB6_8449 Depth=2
	v_mov_b64_e32 v[2:3], v[0:1]
	v_bfe_u32 v4, v0, 23, 1
; %bb.9136:                             ;   in Loop: Header=BB6_8449 Depth=2
	s_or_b32 exec_lo, exec_lo, s7
	s_delay_alu instid0(VALU_DEP_2) | instskip(NEXT) | instid1(VALU_DEP_2)
	v_lshrrev_b64 v[2:3], 21, v[2:3]
	v_cmp_gt_i32_e32 vcc_lo, 32, v4
	v_min_i32_e32 v0, 31, v4
	v_cmp_eq_u32_e64 s7, 0, v4
	s_delay_alu instid0(VALU_DEP_2) | instskip(SKIP_1) | instid1(VALU_DEP_2)
	v_dual_cndmask_b32 v3, 0, v3 :: v_dual_lshlrev_b32 v0, 2, v0
	v_cndmask_b32_e32 v2, 3, v2, vcc_lo
	v_and_b32_e32 v0, 0xfc, v0
	s_delay_alu instid0(VALU_DEP_2) | instskip(NEXT) | instid1(VALU_DEP_2)
	v_cmp_eq_u64_e32 vcc_lo, 0, v[2:3]
	v_and_or_b32 v0, v2, 3, v0
	s_and_b32 s7, s7, vcc_lo
	s_delay_alu instid0(VALU_DEP_1) | instid1(SALU_CYCLE_1)
	v_cndmask_b32_e64 v0, v0, 0, s7
	s_delay_alu instid0(VALU_DEP_1)
	v_or_b32_e32 v56, v0, v8
.LBB6_9137:                             ;   in Loop: Header=BB6_8449 Depth=2
	s_or_b32 exec_lo, exec_lo, s41
                                        ; implicit-def: $vgpr8
.LBB6_9138:                             ;   in Loop: Header=BB6_8449 Depth=2
	s_and_not1_saveexec_b32 s7, s40
; %bb.9139:                             ;   in Loop: Header=BB6_8449 Depth=2
	v_or_b32_e32 v56, 0x7b, v8
; %bb.9140:                             ;   in Loop: Header=BB6_8449 Depth=2
	s_or_b32 exec_lo, exec_lo, s7
                                        ; implicit-def: $vgpr2
                                        ; implicit-def: $vgpr3
.LBB6_9141:                             ;   in Loop: Header=BB6_8449 Depth=2
	s_and_not1_saveexec_b32 s7, s29
	s_cbranch_execz .LBB6_9147
; %bb.9142:                             ;   in Loop: Header=BB6_8449 Depth=2
	s_mov_b32 s29, exec_lo
                                        ; implicit-def: $vgpr56
	v_cmpx_ne_u64_e32 0, v[0:1]
	s_xor_b32 s29, exec_lo, s29
; %bb.9143:                             ;   in Loop: Header=BB6_8449 Depth=2
	v_or_b32_e32 v56, 0x7f, v3
                                        ; implicit-def: $vgpr2
; %bb.9144:                             ;   in Loop: Header=BB6_8449 Depth=2
	s_and_not1_saveexec_b32 s29, s29
; %bb.9145:                             ;   in Loop: Header=BB6_8449 Depth=2
	v_cmp_lt_i32_e32 vcc_lo, -1, v2
	v_mov_b32_e32 v0, 0x7c
	s_delay_alu instid0(VALU_DEP_1)
	v_cndmask_b32_e32 v56, 0xfc, v0, vcc_lo
; %bb.9146:                             ;   in Loop: Header=BB6_8449 Depth=2
	s_or_b32 exec_lo, exec_lo, s29
.LBB6_9147:                             ;   in Loop: Header=BB6_8449 Depth=2
	s_delay_alu instid0(SALU_CYCLE_1)
	s_or_b32 exec_lo, exec_lo, s7
	v_mov_b32_e32 v2, 0
	s_mov_b32 s7, exec_lo
	v_cmpx_lt_u64_e64 s[12:13], v[10:11]
	s_cbranch_execz .LBB6_9157
; %bb.9148:                             ;   in Loop: Header=BB6_8449 Depth=2
	v_lshrrev_b32_e32 v0, 24, v11
	v_bfrev_b32_e32 v2, 1
	s_mov_b32 s29, exec_lo
	s_delay_alu instid0(VALU_DEP_2)
	v_cmpx_ne_u32_e32 0x80, v0
	s_cbranch_execz .LBB6_9156
; %bb.9149:                             ;   in Loop: Header=BB6_8449 Depth=2
	v_and_b32_e32 v2, 0x7c000000, v11
	v_bfe_u32 v3, v11, 24, 2
	s_delay_alu instid0(VALU_DEP_2) | instskip(SKIP_1) | instid1(SALU_CYCLE_1)
	v_cmp_ne_u32_e32 vcc_lo, 0x7c000000, v2
                                        ; implicit-def: $vgpr2
	s_and_saveexec_b32 s40, vcc_lo
	s_xor_b32 s40, exec_lo, s40
	s_cbranch_execz .LBB6_9153
; %bb.9150:                             ;   in Loop: Header=BB6_8449 Depth=2
	v_bfe_u32 v2, v11, 26, 5
	s_mov_b32 s41, exec_lo
	s_delay_alu instid0(VALU_DEP_1)
	v_cmpx_eq_u32_e32 0, v2
; %bb.9151:                             ;   in Loop: Header=BB6_8449 Depth=2
	v_clz_i32_u32_e32 v2, v3
	s_delay_alu instid0(VALU_DEP_1) | instskip(NEXT) | instid1(VALU_DEP_1)
	v_min_u32_e32 v2, 32, v2
	v_subrev_nc_u32_e32 v3, 29, v2
	s_delay_alu instid0(VALU_DEP_1) | instskip(NEXT) | instid1(VALU_DEP_1)
	v_lshlrev_b64_e32 v[4:5], v3, v[0:1]
	v_dual_sub_nc_u32 v2, 30, v2 :: v_dual_bitop2_b32 v3, 3, v4 bitop3:0x40
; %bb.9152:                             ;   in Loop: Header=BB6_8449 Depth=2
	s_or_b32 exec_lo, exec_lo, s41
	v_and_b32_e32 v0, 0x80000000, v11
	s_delay_alu instid0(VALU_DEP_1) | instskip(NEXT) | instid1(VALU_DEP_1)
	v_lshl_add_u32 v0, v2, 23, v0
	v_lshl_or_b32 v0, v3, 21, v0
                                        ; implicit-def: $vgpr3
	s_delay_alu instid0(VALU_DEP_1)
	v_add_nc_u32_e32 v2, 0x38000000, v0
.LBB6_9153:                             ;   in Loop: Header=BB6_8449 Depth=2
	s_and_not1_saveexec_b32 s40, s40
; %bb.9154:                             ;   in Loop: Header=BB6_8449 Depth=2
	v_cmp_lt_i64_e32 vcc_lo, -1, v[10:11]
	v_mov_b32_e32 v0, 0x7f800000
	s_delay_alu instid0(VALU_DEP_1) | instskip(SKIP_1) | instid1(VALU_DEP_2)
	v_cndmask_b32_e32 v0, 0xff800000, v0, vcc_lo
	v_cmp_eq_u32_e32 vcc_lo, 0, v3
	v_cndmask_b32_e32 v2, 0x7f800001, v0, vcc_lo
; %bb.9155:                             ;   in Loop: Header=BB6_8449 Depth=2
	s_or_b32 exec_lo, exec_lo, s40
.LBB6_9156:                             ;   in Loop: Header=BB6_8449 Depth=2
	s_delay_alu instid0(SALU_CYCLE_1)
	s_or_b32 exec_lo, exec_lo, s29
.LBB6_9157:                             ;   in Loop: Header=BB6_8449 Depth=2
	s_delay_alu instid0(SALU_CYCLE_1) | instskip(NEXT) | instid1(VALU_DEP_1)
	s_or_b32 exec_lo, exec_lo, s7
	v_dual_mul_f32 v2, s28, v2 :: v_dual_mov_b32 v5, v1
                                        ; implicit-def: $vgpr59
	s_mov_b32 s7, exec_lo
	s_delay_alu instid0(VALU_DEP_1) | instskip(SKIP_2) | instid1(VALU_DEP_3)
	v_and_b32_e32 v4, 0x7f800000, v2
	v_and_b32_e32 v0, 0x7fffff, v2
	v_lshrrev_b32_e32 v3, 24, v2
	v_cmpx_ne_u64_e32 0x7f800000, v[4:5]
	s_xor_b32 s29, exec_lo, s7
	s_cbranch_execz .LBB6_9171
; %bb.9158:                             ;   in Loop: Header=BB6_8449 Depth=2
	v_and_b32_e32 v4, 0x7fffffff, v2
	v_mov_b32_e32 v5, v1
	v_and_b32_e32 v8, 0x80, v3
                                        ; implicit-def: $vgpr59
	s_mov_b32 s7, exec_lo
	s_delay_alu instid0(VALU_DEP_2)
	v_cmpx_gt_u64_e32 0x47600001, v[4:5]
	s_xor_b32 s40, exec_lo, s7
	s_cbranch_execz .LBB6_9168
; %bb.9159:                             ;   in Loop: Header=BB6_8449 Depth=2
	v_mov_b32_e32 v59, 0
	s_mov_b32 s41, exec_lo
	v_cmpx_ne_u32_e32 0, v2
	s_cbranch_execz .LBB6_9167
; %bb.9160:                             ;   in Loop: Header=BB6_8449 Depth=2
	v_bfe_u32 v10, v2, 23, 8
	v_or_b32_e32 v4, 0x800000, v0
	s_mov_b32 s42, exec_lo
	s_delay_alu instid0(VALU_DEP_2) | instskip(SKIP_1) | instid1(VALU_DEP_2)
	v_dual_mov_b32 v5, v1 :: v_dual_sub_nc_u32 v2, 0x71, v10
	v_cmp_gt_u32_e32 vcc_lo, 0x72, v10
	v_cndmask_b32_e32 v2, 0, v2, vcc_lo
	v_cmp_eq_u32_e32 vcc_lo, 0, v10
	s_delay_alu instid0(VALU_DEP_2) | instskip(NEXT) | instid1(VALU_DEP_1)
	v_cndmask_b32_e64 v11, v2, 0x70, vcc_lo
	v_dual_cndmask_b32 v4, v4, v0, vcc_lo :: v_dual_add_nc_u32 v2, 21, v11
	v_add_nc_u32_e32 v14, 20, v11
	s_delay_alu instid0(VALU_DEP_2) | instskip(NEXT) | instid1(VALU_DEP_2)
	v_lshlrev_b64_e64 v[2:3], v2, -1
	v_lshlrev_b64_e64 v[14:15], v14, 1
	s_delay_alu instid0(VALU_DEP_2) | instskip(NEXT) | instid1(VALU_DEP_3)
	v_bfi_b32 v17, v3, 0, 0
	v_bfi_b32 v16, v2, 0, v4
	v_lshrrev_b64 v[2:3], v11, v[4:5]
	s_delay_alu instid0(VALU_DEP_1) | instskip(NEXT) | instid1(VALU_DEP_3)
	v_mov_b64_e32 v[4:5], v[2:3]
	v_cmpx_eq_u64_e64 v[16:17], v[14:15]
; %bb.9161:                             ;   in Loop: Header=BB6_8449 Depth=2
	v_bfe_u32 v4, v2, 21, 1
	v_mov_b32_e32 v5, v1
	s_delay_alu instid0(VALU_DEP_1) | instskip(NEXT) | instid1(VALU_DEP_1)
	v_add_nc_u64_e32 v[4:5], v[2:3], v[4:5]
	v_add_nc_u64_e32 v[4:5], -1, v[4:5]
; %bb.9162:                             ;   in Loop: Header=BB6_8449 Depth=2
	s_or_b32 exec_lo, exec_lo, s42
	v_add_nc_u32_e32 v0, 0xffffff81, v10
	v_lshrrev_b32_e32 v3, 23, v2
	s_mov_b32 s7, exec_lo
	s_delay_alu instid0(VALU_DEP_2) | instskip(NEXT) | instid1(VALU_DEP_1)
	v_cndmask_b32_e64 v0, v0, 0xffffff82, vcc_lo
	v_add3_u32 v5, v11, v0, v3
	v_and_b32_e32 v0, 0x1fffff, v4
                                        ; implicit-def: $vgpr4
	s_delay_alu instid0(VALU_DEP_1) | instskip(NEXT) | instid1(VALU_DEP_1)
	v_dual_add_nc_u32 v10, 14, v5 :: v_dual_add_nc_u32 v0, v0, v2
                                        ; implicit-def: $vgpr2_vgpr3
	v_cmpx_ne_u32_e32 0, v10
	s_xor_b32 s7, exec_lo, s7
; %bb.9163:                             ;   in Loop: Header=BB6_8449 Depth=2
	s_delay_alu instid0(VALU_DEP_2) | instskip(SKIP_1) | instid1(VALU_DEP_1)
	v_cmp_lt_u64_e32 vcc_lo, 0xffffff, v[0:1]
	v_add_nc_u32_e32 v2, 15, v5
	v_cndmask_b32_e32 v4, v10, v2, vcc_lo
	v_cndmask_b32_e64 v2, 0, 1, vcc_lo
	s_delay_alu instid0(VALU_DEP_1)
	v_lshrrev_b64 v[2:3], v2, v[0:1]
; %bb.9164:                             ;   in Loop: Header=BB6_8449 Depth=2
	s_and_not1_saveexec_b32 s7, s7
; %bb.9165:                             ;   in Loop: Header=BB6_8449 Depth=2
	v_mov_b64_e32 v[2:3], v[0:1]
	v_bfe_u32 v4, v0, 23, 1
; %bb.9166:                             ;   in Loop: Header=BB6_8449 Depth=2
	s_or_b32 exec_lo, exec_lo, s7
	s_delay_alu instid0(VALU_DEP_2) | instskip(NEXT) | instid1(VALU_DEP_2)
	v_lshrrev_b64 v[2:3], 21, v[2:3]
	v_cmp_gt_i32_e32 vcc_lo, 32, v4
	v_min_i32_e32 v0, 31, v4
	v_cmp_eq_u32_e64 s7, 0, v4
	s_delay_alu instid0(VALU_DEP_2) | instskip(SKIP_1) | instid1(VALU_DEP_2)
	v_dual_cndmask_b32 v3, 0, v3 :: v_dual_lshlrev_b32 v0, 2, v0
	v_cndmask_b32_e32 v2, 3, v2, vcc_lo
	v_and_b32_e32 v0, 0xfc, v0
	s_delay_alu instid0(VALU_DEP_2) | instskip(NEXT) | instid1(VALU_DEP_2)
	v_cmp_eq_u64_e32 vcc_lo, 0, v[2:3]
	v_and_or_b32 v0, v2, 3, v0
	s_and_b32 s7, s7, vcc_lo
	s_delay_alu instid0(VALU_DEP_1) | instid1(SALU_CYCLE_1)
	v_cndmask_b32_e64 v0, v0, 0, s7
	s_delay_alu instid0(VALU_DEP_1)
	v_or_b32_e32 v59, v0, v8
.LBB6_9167:                             ;   in Loop: Header=BB6_8449 Depth=2
	s_or_b32 exec_lo, exec_lo, s41
                                        ; implicit-def: $vgpr8
.LBB6_9168:                             ;   in Loop: Header=BB6_8449 Depth=2
	s_and_not1_saveexec_b32 s7, s40
; %bb.9169:                             ;   in Loop: Header=BB6_8449 Depth=2
	v_or_b32_e32 v59, 0x7b, v8
; %bb.9170:                             ;   in Loop: Header=BB6_8449 Depth=2
	s_or_b32 exec_lo, exec_lo, s7
                                        ; implicit-def: $vgpr2
                                        ; implicit-def: $vgpr3
.LBB6_9171:                             ;   in Loop: Header=BB6_8449 Depth=2
	s_and_not1_saveexec_b32 s7, s29
	s_cbranch_execz .LBB6_9177
; %bb.9172:                             ;   in Loop: Header=BB6_8449 Depth=2
	s_mov_b32 s29, exec_lo
                                        ; implicit-def: $vgpr59
	v_cmpx_ne_u64_e32 0, v[0:1]
	s_xor_b32 s29, exec_lo, s29
; %bb.9173:                             ;   in Loop: Header=BB6_8449 Depth=2
	v_or_b32_e32 v59, 0x7f, v3
                                        ; implicit-def: $vgpr2
; %bb.9174:                             ;   in Loop: Header=BB6_8449 Depth=2
	s_and_not1_saveexec_b32 s29, s29
; %bb.9175:                             ;   in Loop: Header=BB6_8449 Depth=2
	v_cmp_lt_i32_e32 vcc_lo, -1, v2
	v_mov_b32_e32 v0, 0x7c
	s_delay_alu instid0(VALU_DEP_1)
	v_cndmask_b32_e32 v59, 0xfc, v0, vcc_lo
; %bb.9176:                             ;   in Loop: Header=BB6_8449 Depth=2
	s_or_b32 exec_lo, exec_lo, s29
.LBB6_9177:                             ;   in Loop: Header=BB6_8449 Depth=2
	s_delay_alu instid0(SALU_CYCLE_1) | instskip(SKIP_1) | instid1(VALU_DEP_1)
	s_or_b32 exec_lo, exec_lo, s7
	v_and_b32_e32 v0, 0xff, v12
	v_cmp_ne_u16_e32 vcc_lo, 0, v0
	v_mov_b32_e32 v0, 0
	s_and_saveexec_b32 s7, vcc_lo
	s_cbranch_execz .LBB6_9187
; %bb.9178:                             ;   in Loop: Header=BB6_8449 Depth=2
	v_bfe_i32 v3, v12, 0, 8
	v_bfrev_b32_e32 v0, 1
	s_mov_b32 s29, exec_lo
	s_delay_alu instid0(VALU_DEP_2)
	v_cmpx_ne_u16_e32 0xff80, v3
	s_cbranch_execz .LBB6_9186
; %bb.9179:                             ;   in Loop: Header=BB6_8449 Depth=2
	v_and_b32_e32 v0, 0x7c, v12
	v_and_b32_e32 v2, 3, v12
	s_delay_alu instid0(VALU_DEP_2) | instskip(SKIP_1) | instid1(SALU_CYCLE_1)
	v_cmp_ne_u32_e32 vcc_lo, 0x7c, v0
                                        ; implicit-def: $vgpr0
	s_and_saveexec_b32 s40, vcc_lo
	s_xor_b32 s40, exec_lo, s40
	s_cbranch_execz .LBB6_9183
; %bb.9180:                             ;   in Loop: Header=BB6_8449 Depth=2
	v_bfe_u32 v0, v12, 2, 5
	s_mov_b32 s41, exec_lo
	s_delay_alu instid0(VALU_DEP_1)
	v_cmpx_eq_u32_e32 0, v0
; %bb.9181:                             ;   in Loop: Header=BB6_8449 Depth=2
	v_clz_i32_u32_e32 v0, v2
	s_delay_alu instid0(VALU_DEP_1) | instskip(NEXT) | instid1(VALU_DEP_1)
	v_min_u32_e32 v0, 32, v0
	v_subrev_nc_u32_e32 v2, 29, v0
	s_delay_alu instid0(VALU_DEP_1) | instskip(NEXT) | instid1(VALU_DEP_1)
	v_lshlrev_b64_e32 v[2:3], v2, v[12:13]
	v_dual_sub_nc_u32 v0, 30, v0 :: v_dual_bitop2_b32 v2, 3, v2 bitop3:0x40
; %bb.9182:                             ;   in Loop: Header=BB6_8449 Depth=2
	s_or_b32 exec_lo, exec_lo, s41
	v_lshlrev_b32_e32 v3, 24, v12
	s_delay_alu instid0(VALU_DEP_1) | instskip(NEXT) | instid1(VALU_DEP_1)
	v_and_b32_e32 v3, 0x80000000, v3
	v_lshl_add_u32 v0, v0, 23, v3
                                        ; implicit-def: $vgpr3
	s_delay_alu instid0(VALU_DEP_1) | instskip(NEXT) | instid1(VALU_DEP_1)
	v_lshl_or_b32 v0, v2, 21, v0
                                        ; implicit-def: $vgpr2
	v_add_nc_u32_e32 v0, 0x38000000, v0
.LBB6_9183:                             ;   in Loop: Header=BB6_8449 Depth=2
	s_and_not1_saveexec_b32 s40, s40
; %bb.9184:                             ;   in Loop: Header=BB6_8449 Depth=2
	v_cmp_lt_i16_e32 vcc_lo, -1, v3
	v_mov_b32_e32 v0, 0x7f800000
	s_delay_alu instid0(VALU_DEP_1) | instskip(SKIP_1) | instid1(VALU_DEP_2)
	v_cndmask_b32_e32 v0, 0xff800000, v0, vcc_lo
	v_cmp_eq_u32_e32 vcc_lo, 0, v2
	v_cndmask_b32_e32 v0, 0x7f800001, v0, vcc_lo
; %bb.9185:                             ;   in Loop: Header=BB6_8449 Depth=2
	s_or_b32 exec_lo, exec_lo, s40
.LBB6_9186:                             ;   in Loop: Header=BB6_8449 Depth=2
	s_delay_alu instid0(SALU_CYCLE_1)
	s_or_b32 exec_lo, exec_lo, s29
.LBB6_9187:                             ;   in Loop: Header=BB6_8449 Depth=2
	s_delay_alu instid0(SALU_CYCLE_1) | instskip(NEXT) | instid1(VALU_DEP_1)
	s_or_b32 exec_lo, exec_lo, s7
	v_dual_mul_f32 v2, s28, v0 :: v_dual_mov_b32 v5, v1
                                        ; implicit-def: $vgpr116
	s_mov_b32 s7, exec_lo
	s_delay_alu instid0(VALU_DEP_1) | instskip(SKIP_2) | instid1(VALU_DEP_3)
	v_and_b32_e32 v4, 0x7f800000, v2
	v_and_b32_e32 v0, 0x7fffff, v2
	v_lshrrev_b32_e32 v3, 24, v2
	v_cmpx_ne_u64_e32 0x7f800000, v[4:5]
	s_xor_b32 s29, exec_lo, s7
	s_cbranch_execz .LBB6_9201
; %bb.9188:                             ;   in Loop: Header=BB6_8449 Depth=2
	v_and_b32_e32 v4, 0x7fffffff, v2
	v_mov_b32_e32 v5, v1
	v_and_b32_e32 v8, 0x80, v3
                                        ; implicit-def: $vgpr116
	s_mov_b32 s7, exec_lo
	s_delay_alu instid0(VALU_DEP_2)
	v_cmpx_gt_u64_e32 0x47600001, v[4:5]
	s_xor_b32 s40, exec_lo, s7
	s_cbranch_execz .LBB6_9198
; %bb.9189:                             ;   in Loop: Header=BB6_8449 Depth=2
	v_mov_b32_e32 v116, 0
	s_mov_b32 s41, exec_lo
	v_cmpx_ne_u32_e32 0, v2
	s_cbranch_execz .LBB6_9197
; %bb.9190:                             ;   in Loop: Header=BB6_8449 Depth=2
	v_bfe_u32 v10, v2, 23, 8
	v_or_b32_e32 v4, 0x800000, v0
	s_mov_b32 s42, exec_lo
	s_delay_alu instid0(VALU_DEP_2) | instskip(SKIP_1) | instid1(VALU_DEP_2)
	v_dual_mov_b32 v5, v1 :: v_dual_sub_nc_u32 v2, 0x71, v10
	v_cmp_gt_u32_e32 vcc_lo, 0x72, v10
	v_cndmask_b32_e32 v2, 0, v2, vcc_lo
	v_cmp_eq_u32_e32 vcc_lo, 0, v10
	s_delay_alu instid0(VALU_DEP_2) | instskip(NEXT) | instid1(VALU_DEP_1)
	v_cndmask_b32_e64 v11, v2, 0x70, vcc_lo
	v_dual_cndmask_b32 v4, v4, v0, vcc_lo :: v_dual_add_nc_u32 v2, 21, v11
	v_add_nc_u32_e32 v14, 20, v11
	s_delay_alu instid0(VALU_DEP_2) | instskip(NEXT) | instid1(VALU_DEP_2)
	v_lshlrev_b64_e64 v[2:3], v2, -1
	v_lshlrev_b64_e64 v[14:15], v14, 1
	s_delay_alu instid0(VALU_DEP_2) | instskip(NEXT) | instid1(VALU_DEP_3)
	v_bfi_b32 v17, v3, 0, 0
	v_bfi_b32 v16, v2, 0, v4
	v_lshrrev_b64 v[2:3], v11, v[4:5]
	s_delay_alu instid0(VALU_DEP_1) | instskip(NEXT) | instid1(VALU_DEP_3)
	v_mov_b64_e32 v[4:5], v[2:3]
	v_cmpx_eq_u64_e64 v[16:17], v[14:15]
; %bb.9191:                             ;   in Loop: Header=BB6_8449 Depth=2
	v_bfe_u32 v4, v2, 21, 1
	v_mov_b32_e32 v5, v1
	s_delay_alu instid0(VALU_DEP_1) | instskip(NEXT) | instid1(VALU_DEP_1)
	v_add_nc_u64_e32 v[4:5], v[2:3], v[4:5]
	v_add_nc_u64_e32 v[4:5], -1, v[4:5]
; %bb.9192:                             ;   in Loop: Header=BB6_8449 Depth=2
	s_or_b32 exec_lo, exec_lo, s42
	v_add_nc_u32_e32 v0, 0xffffff81, v10
	v_lshrrev_b32_e32 v3, 23, v2
	s_mov_b32 s7, exec_lo
	s_delay_alu instid0(VALU_DEP_2) | instskip(NEXT) | instid1(VALU_DEP_1)
	v_cndmask_b32_e64 v0, v0, 0xffffff82, vcc_lo
	v_add3_u32 v5, v11, v0, v3
	v_and_b32_e32 v0, 0x1fffff, v4
                                        ; implicit-def: $vgpr4
	s_delay_alu instid0(VALU_DEP_1) | instskip(NEXT) | instid1(VALU_DEP_1)
	v_dual_add_nc_u32 v10, 14, v5 :: v_dual_add_nc_u32 v0, v0, v2
                                        ; implicit-def: $vgpr2_vgpr3
	v_cmpx_ne_u32_e32 0, v10
	s_xor_b32 s7, exec_lo, s7
; %bb.9193:                             ;   in Loop: Header=BB6_8449 Depth=2
	s_delay_alu instid0(VALU_DEP_2) | instskip(SKIP_1) | instid1(VALU_DEP_1)
	v_cmp_lt_u64_e32 vcc_lo, 0xffffff, v[0:1]
	v_add_nc_u32_e32 v2, 15, v5
	v_cndmask_b32_e32 v4, v10, v2, vcc_lo
	v_cndmask_b32_e64 v2, 0, 1, vcc_lo
	s_delay_alu instid0(VALU_DEP_1)
	v_lshrrev_b64 v[2:3], v2, v[0:1]
; %bb.9194:                             ;   in Loop: Header=BB6_8449 Depth=2
	s_and_not1_saveexec_b32 s7, s7
; %bb.9195:                             ;   in Loop: Header=BB6_8449 Depth=2
	v_mov_b64_e32 v[2:3], v[0:1]
	v_bfe_u32 v4, v0, 23, 1
; %bb.9196:                             ;   in Loop: Header=BB6_8449 Depth=2
	s_or_b32 exec_lo, exec_lo, s7
	s_delay_alu instid0(VALU_DEP_2) | instskip(NEXT) | instid1(VALU_DEP_2)
	v_lshrrev_b64 v[2:3], 21, v[2:3]
	v_cmp_gt_i32_e32 vcc_lo, 32, v4
	v_min_i32_e32 v0, 31, v4
	v_cmp_eq_u32_e64 s7, 0, v4
	s_delay_alu instid0(VALU_DEP_2) | instskip(SKIP_1) | instid1(VALU_DEP_2)
	v_dual_cndmask_b32 v3, 0, v3 :: v_dual_lshlrev_b32 v0, 2, v0
	v_cndmask_b32_e32 v2, 3, v2, vcc_lo
	v_and_b32_e32 v0, 0xfc, v0
	s_delay_alu instid0(VALU_DEP_2) | instskip(NEXT) | instid1(VALU_DEP_2)
	v_cmp_eq_u64_e32 vcc_lo, 0, v[2:3]
	v_and_or_b32 v0, v2, 3, v0
	s_and_b32 s7, s7, vcc_lo
	s_delay_alu instid0(VALU_DEP_1) | instid1(SALU_CYCLE_1)
	v_cndmask_b32_e64 v0, v0, 0, s7
	s_delay_alu instid0(VALU_DEP_1)
	v_or_b32_e32 v116, v0, v8
.LBB6_9197:                             ;   in Loop: Header=BB6_8449 Depth=2
	s_or_b32 exec_lo, exec_lo, s41
                                        ; implicit-def: $vgpr8
.LBB6_9198:                             ;   in Loop: Header=BB6_8449 Depth=2
	s_and_not1_saveexec_b32 s7, s40
; %bb.9199:                             ;   in Loop: Header=BB6_8449 Depth=2
	v_or_b32_e32 v116, 0x7b, v8
; %bb.9200:                             ;   in Loop: Header=BB6_8449 Depth=2
	s_or_b32 exec_lo, exec_lo, s7
                                        ; implicit-def: $vgpr2
                                        ; implicit-def: $vgpr3
.LBB6_9201:                             ;   in Loop: Header=BB6_8449 Depth=2
	s_and_not1_saveexec_b32 s7, s29
	s_cbranch_execz .LBB6_9207
; %bb.9202:                             ;   in Loop: Header=BB6_8449 Depth=2
	s_mov_b32 s29, exec_lo
                                        ; implicit-def: $vgpr116
	v_cmpx_ne_u64_e32 0, v[0:1]
	s_xor_b32 s29, exec_lo, s29
; %bb.9203:                             ;   in Loop: Header=BB6_8449 Depth=2
	v_or_b32_e32 v116, 0x7f, v3
                                        ; implicit-def: $vgpr2
; %bb.9204:                             ;   in Loop: Header=BB6_8449 Depth=2
	s_and_not1_saveexec_b32 s29, s29
; %bb.9205:                             ;   in Loop: Header=BB6_8449 Depth=2
	v_cmp_lt_i32_e32 vcc_lo, -1, v2
	v_mov_b32_e32 v0, 0x7c
	s_delay_alu instid0(VALU_DEP_1)
	v_cndmask_b32_e32 v116, 0xfc, v0, vcc_lo
; %bb.9206:                             ;   in Loop: Header=BB6_8449 Depth=2
	s_or_b32 exec_lo, exec_lo, s29
.LBB6_9207:                             ;   in Loop: Header=BB6_8449 Depth=2
	s_delay_alu instid0(SALU_CYCLE_1) | instskip(SKIP_3) | instid1(VALU_DEP_2)
	s_or_b32 exec_lo, exec_lo, s7
	v_lshrrev_b16 v2, 8, v12
	v_mov_b32_e32 v3, 0
	s_mov_b32 s7, exec_lo
	v_cmpx_ne_u16_e32 0, v2
	s_cbranch_execz .LBB6_9217
; %bb.9208:                             ;   in Loop: Header=BB6_8449 Depth=2
	v_bfrev_b32_e32 v3, 1
	s_mov_b32 s29, exec_lo
	v_cmpx_ne_u16_e32 0x80, v2
	s_cbranch_execz .LBB6_9216
; %bb.9209:                             ;   in Loop: Header=BB6_8449 Depth=2
	v_and_b32_e32 v4, 0xffff, v2
	s_delay_alu instid0(VALU_DEP_1) | instskip(SKIP_1) | instid1(VALU_DEP_2)
	v_and_b32_e32 v3, 0x7c, v4
	v_and_b32_e32 v0, 3, v4
	v_cmp_ne_u32_e32 vcc_lo, 0x7c, v3
                                        ; implicit-def: $vgpr3
	s_and_saveexec_b32 s40, vcc_lo
	s_delay_alu instid0(SALU_CYCLE_1)
	s_xor_b32 s40, exec_lo, s40
	s_cbranch_execz .LBB6_9213
; %bb.9210:                             ;   in Loop: Header=BB6_8449 Depth=2
	v_bfe_u32 v3, v4, 2, 5
	s_mov_b32 s41, exec_lo
	s_delay_alu instid0(VALU_DEP_1)
	v_cmpx_eq_u32_e32 0, v3
; %bb.9211:                             ;   in Loop: Header=BB6_8449 Depth=2
	v_clz_i32_u32_e32 v0, v0
	v_mov_b32_e32 v3, v1
	s_delay_alu instid0(VALU_DEP_2) | instskip(NEXT) | instid1(VALU_DEP_1)
	v_min_u32_e32 v0, 32, v0
	v_subrev_nc_u32_e32 v4, 29, v0
	s_delay_alu instid0(VALU_DEP_1) | instskip(NEXT) | instid1(VALU_DEP_1)
	v_lshlrev_b64_e32 v[2:3], v4, v[2:3]
	v_dual_sub_nc_u32 v3, 30, v0 :: v_dual_bitop2_b32 v0, 3, v2 bitop3:0x40
; %bb.9212:                             ;   in Loop: Header=BB6_8449 Depth=2
	s_or_b32 exec_lo, exec_lo, s41
	v_lshlrev_b32_e32 v2, 16, v12
	s_delay_alu instid0(VALU_DEP_1) | instskip(NEXT) | instid1(VALU_DEP_1)
	v_and_b32_e32 v2, 0x80000000, v2
	v_lshl_add_u32 v2, v3, 23, v2
	s_delay_alu instid0(VALU_DEP_1) | instskip(NEXT) | instid1(VALU_DEP_1)
	v_lshl_or_b32 v0, v0, 21, v2
	v_add_nc_u32_e32 v3, 0x38000000, v0
                                        ; implicit-def: $vgpr0
.LBB6_9213:                             ;   in Loop: Header=BB6_8449 Depth=2
	s_and_not1_saveexec_b32 s40, s40
; %bb.9214:                             ;   in Loop: Header=BB6_8449 Depth=2
	v_cmp_lt_i16_e32 vcc_lo, -1, v12
	v_mov_b32_e32 v2, 0x7f800000
	s_delay_alu instid0(VALU_DEP_1) | instskip(SKIP_1) | instid1(VALU_DEP_2)
	v_cndmask_b32_e32 v2, 0xff800000, v2, vcc_lo
	v_cmp_eq_u32_e32 vcc_lo, 0, v0
	v_cndmask_b32_e32 v3, 0x7f800001, v2, vcc_lo
; %bb.9215:                             ;   in Loop: Header=BB6_8449 Depth=2
	s_or_b32 exec_lo, exec_lo, s40
.LBB6_9216:                             ;   in Loop: Header=BB6_8449 Depth=2
	s_delay_alu instid0(SALU_CYCLE_1)
	s_or_b32 exec_lo, exec_lo, s29
.LBB6_9217:                             ;   in Loop: Header=BB6_8449 Depth=2
	s_delay_alu instid0(SALU_CYCLE_1) | instskip(NEXT) | instid1(VALU_DEP_1)
	s_or_b32 exec_lo, exec_lo, s7
	v_dual_mul_f32 v2, s28, v3 :: v_dual_mov_b32 v5, v1
                                        ; implicit-def: $vgpr119
	s_mov_b32 s7, exec_lo
	s_delay_alu instid0(VALU_DEP_1) | instskip(SKIP_2) | instid1(VALU_DEP_3)
	v_and_b32_e32 v4, 0x7f800000, v2
	v_and_b32_e32 v0, 0x7fffff, v2
	v_lshrrev_b32_e32 v3, 24, v2
	v_cmpx_ne_u64_e32 0x7f800000, v[4:5]
	s_xor_b32 s29, exec_lo, s7
	s_cbranch_execz .LBB6_9231
; %bb.9218:                             ;   in Loop: Header=BB6_8449 Depth=2
	v_and_b32_e32 v4, 0x7fffffff, v2
	v_mov_b32_e32 v5, v1
	v_and_b32_e32 v8, 0x80, v3
                                        ; implicit-def: $vgpr119
	s_mov_b32 s7, exec_lo
	s_delay_alu instid0(VALU_DEP_2)
	v_cmpx_gt_u64_e32 0x47600001, v[4:5]
	s_xor_b32 s40, exec_lo, s7
	s_cbranch_execz .LBB6_9228
; %bb.9219:                             ;   in Loop: Header=BB6_8449 Depth=2
	v_mov_b32_e32 v119, 0
	s_mov_b32 s41, exec_lo
	v_cmpx_ne_u32_e32 0, v2
	s_cbranch_execz .LBB6_9227
; %bb.9220:                             ;   in Loop: Header=BB6_8449 Depth=2
	v_bfe_u32 v10, v2, 23, 8
	v_or_b32_e32 v4, 0x800000, v0
	s_mov_b32 s42, exec_lo
	s_delay_alu instid0(VALU_DEP_2) | instskip(SKIP_1) | instid1(VALU_DEP_2)
	v_dual_mov_b32 v5, v1 :: v_dual_sub_nc_u32 v2, 0x71, v10
	v_cmp_gt_u32_e32 vcc_lo, 0x72, v10
	v_cndmask_b32_e32 v2, 0, v2, vcc_lo
	v_cmp_eq_u32_e32 vcc_lo, 0, v10
	s_delay_alu instid0(VALU_DEP_2) | instskip(NEXT) | instid1(VALU_DEP_1)
	v_cndmask_b32_e64 v11, v2, 0x70, vcc_lo
	v_dual_cndmask_b32 v4, v4, v0, vcc_lo :: v_dual_add_nc_u32 v2, 21, v11
	v_add_nc_u32_e32 v14, 20, v11
	s_delay_alu instid0(VALU_DEP_2) | instskip(NEXT) | instid1(VALU_DEP_2)
	v_lshlrev_b64_e64 v[2:3], v2, -1
	v_lshlrev_b64_e64 v[14:15], v14, 1
	s_delay_alu instid0(VALU_DEP_2) | instskip(NEXT) | instid1(VALU_DEP_3)
	v_bfi_b32 v17, v3, 0, 0
	v_bfi_b32 v16, v2, 0, v4
	v_lshrrev_b64 v[2:3], v11, v[4:5]
	s_delay_alu instid0(VALU_DEP_1) | instskip(NEXT) | instid1(VALU_DEP_3)
	v_mov_b64_e32 v[4:5], v[2:3]
	v_cmpx_eq_u64_e64 v[16:17], v[14:15]
; %bb.9221:                             ;   in Loop: Header=BB6_8449 Depth=2
	v_bfe_u32 v4, v2, 21, 1
	v_mov_b32_e32 v5, v1
	s_delay_alu instid0(VALU_DEP_1) | instskip(NEXT) | instid1(VALU_DEP_1)
	v_add_nc_u64_e32 v[4:5], v[2:3], v[4:5]
	v_add_nc_u64_e32 v[4:5], -1, v[4:5]
; %bb.9222:                             ;   in Loop: Header=BB6_8449 Depth=2
	s_or_b32 exec_lo, exec_lo, s42
	v_add_nc_u32_e32 v0, 0xffffff81, v10
	v_lshrrev_b32_e32 v3, 23, v2
	s_mov_b32 s7, exec_lo
	s_delay_alu instid0(VALU_DEP_2) | instskip(NEXT) | instid1(VALU_DEP_1)
	v_cndmask_b32_e64 v0, v0, 0xffffff82, vcc_lo
	v_add3_u32 v5, v11, v0, v3
	v_and_b32_e32 v0, 0x1fffff, v4
                                        ; implicit-def: $vgpr4
	s_delay_alu instid0(VALU_DEP_1) | instskip(NEXT) | instid1(VALU_DEP_1)
	v_dual_add_nc_u32 v10, 14, v5 :: v_dual_add_nc_u32 v0, v0, v2
                                        ; implicit-def: $vgpr2_vgpr3
	v_cmpx_ne_u32_e32 0, v10
	s_xor_b32 s7, exec_lo, s7
; %bb.9223:                             ;   in Loop: Header=BB6_8449 Depth=2
	s_delay_alu instid0(VALU_DEP_2) | instskip(SKIP_1) | instid1(VALU_DEP_1)
	v_cmp_lt_u64_e32 vcc_lo, 0xffffff, v[0:1]
	v_add_nc_u32_e32 v2, 15, v5
	v_cndmask_b32_e32 v4, v10, v2, vcc_lo
	v_cndmask_b32_e64 v2, 0, 1, vcc_lo
	s_delay_alu instid0(VALU_DEP_1)
	v_lshrrev_b64 v[2:3], v2, v[0:1]
; %bb.9224:                             ;   in Loop: Header=BB6_8449 Depth=2
	s_and_not1_saveexec_b32 s7, s7
; %bb.9225:                             ;   in Loop: Header=BB6_8449 Depth=2
	v_mov_b64_e32 v[2:3], v[0:1]
	v_bfe_u32 v4, v0, 23, 1
; %bb.9226:                             ;   in Loop: Header=BB6_8449 Depth=2
	s_or_b32 exec_lo, exec_lo, s7
	s_delay_alu instid0(VALU_DEP_2) | instskip(NEXT) | instid1(VALU_DEP_2)
	v_lshrrev_b64 v[2:3], 21, v[2:3]
	v_cmp_gt_i32_e32 vcc_lo, 32, v4
	v_min_i32_e32 v0, 31, v4
	v_cmp_eq_u32_e64 s7, 0, v4
	s_delay_alu instid0(VALU_DEP_2) | instskip(SKIP_1) | instid1(VALU_DEP_2)
	v_dual_cndmask_b32 v3, 0, v3 :: v_dual_lshlrev_b32 v0, 2, v0
	v_cndmask_b32_e32 v2, 3, v2, vcc_lo
	v_and_b32_e32 v0, 0xfc, v0
	s_delay_alu instid0(VALU_DEP_2) | instskip(NEXT) | instid1(VALU_DEP_2)
	v_cmp_eq_u64_e32 vcc_lo, 0, v[2:3]
	v_and_or_b32 v0, v2, 3, v0
	s_and_b32 s7, s7, vcc_lo
	s_delay_alu instid0(VALU_DEP_1) | instid1(SALU_CYCLE_1)
	v_cndmask_b32_e64 v0, v0, 0, s7
	s_delay_alu instid0(VALU_DEP_1)
	v_or_b32_e32 v119, v0, v8
.LBB6_9227:                             ;   in Loop: Header=BB6_8449 Depth=2
	s_or_b32 exec_lo, exec_lo, s41
                                        ; implicit-def: $vgpr8
.LBB6_9228:                             ;   in Loop: Header=BB6_8449 Depth=2
	s_and_not1_saveexec_b32 s7, s40
; %bb.9229:                             ;   in Loop: Header=BB6_8449 Depth=2
	v_or_b32_e32 v119, 0x7b, v8
; %bb.9230:                             ;   in Loop: Header=BB6_8449 Depth=2
	s_or_b32 exec_lo, exec_lo, s7
                                        ; implicit-def: $vgpr2
                                        ; implicit-def: $vgpr3
.LBB6_9231:                             ;   in Loop: Header=BB6_8449 Depth=2
	s_and_not1_saveexec_b32 s7, s29
	s_cbranch_execz .LBB6_9237
; %bb.9232:                             ;   in Loop: Header=BB6_8449 Depth=2
	s_mov_b32 s29, exec_lo
                                        ; implicit-def: $vgpr119
	v_cmpx_ne_u64_e32 0, v[0:1]
	s_xor_b32 s29, exec_lo, s29
; %bb.9233:                             ;   in Loop: Header=BB6_8449 Depth=2
	v_or_b32_e32 v119, 0x7f, v3
                                        ; implicit-def: $vgpr2
; %bb.9234:                             ;   in Loop: Header=BB6_8449 Depth=2
	s_and_not1_saveexec_b32 s29, s29
; %bb.9235:                             ;   in Loop: Header=BB6_8449 Depth=2
	v_cmp_lt_i32_e32 vcc_lo, -1, v2
	v_mov_b32_e32 v0, 0x7c
	s_delay_alu instid0(VALU_DEP_1)
	v_cndmask_b32_e32 v119, 0xfc, v0, vcc_lo
; %bb.9236:                             ;   in Loop: Header=BB6_8449 Depth=2
	s_or_b32 exec_lo, exec_lo, s29
.LBB6_9237:                             ;   in Loop: Header=BB6_8449 Depth=2
	s_delay_alu instid0(SALU_CYCLE_1) | instskip(SKIP_2) | instid1(VALU_DEP_1)
	s_or_b32 exec_lo, exec_lo, s7
	v_dual_mov_b32 v3, 0 :: v_dual_lshrrev_b32 v0, 16, v12
	s_mov_b32 s7, exec_lo
	v_and_b32_e32 v2, 0xff, v0
	s_delay_alu instid0(VALU_DEP_1)
	v_cmpx_ne_u16_e32 0, v2
	s_cbranch_execz .LBB6_9247
; %bb.9238:                             ;   in Loop: Header=BB6_8449 Depth=2
	v_bfrev_b32_e32 v3, 1
	s_mov_b32 s29, exec_lo
	v_cmpx_ne_u16_e32 0x80, v2
	s_cbranch_execz .LBB6_9246
; %bb.9239:                             ;   in Loop: Header=BB6_8449 Depth=2
	v_and_b32_e32 v3, 0x7c0000, v12
	v_bfe_u32 v2, v12, 16, 2
	s_delay_alu instid0(VALU_DEP_2) | instskip(SKIP_1) | instid1(SALU_CYCLE_1)
	v_cmp_ne_u32_e32 vcc_lo, 0x7c0000, v3
                                        ; implicit-def: $vgpr3
	s_and_saveexec_b32 s40, vcc_lo
	s_xor_b32 s40, exec_lo, s40
	s_cbranch_execz .LBB6_9243
; %bb.9240:                             ;   in Loop: Header=BB6_8449 Depth=2
	v_bfe_u32 v3, v12, 18, 5
	s_mov_b32 s41, exec_lo
	s_delay_alu instid0(VALU_DEP_1)
	v_cmpx_eq_u32_e32 0, v3
; %bb.9241:                             ;   in Loop: Header=BB6_8449 Depth=2
	v_clz_i32_u32_e32 v2, v2
	s_delay_alu instid0(VALU_DEP_1) | instskip(NEXT) | instid1(VALU_DEP_1)
	v_min_u32_e32 v4, 32, v2
	v_subrev_nc_u32_e32 v2, 29, v4
	s_delay_alu instid0(VALU_DEP_1) | instskip(NEXT) | instid1(VALU_DEP_1)
	v_lshlrev_b64_e32 v[2:3], v2, v[0:1]
	v_dual_sub_nc_u32 v3, 30, v4 :: v_dual_bitop2_b32 v2, 3, v2 bitop3:0x40
; %bb.9242:                             ;   in Loop: Header=BB6_8449 Depth=2
	s_or_b32 exec_lo, exec_lo, s41
	v_lshlrev_b32_e32 v0, 24, v0
	s_delay_alu instid0(VALU_DEP_1) | instskip(NEXT) | instid1(VALU_DEP_1)
	v_and_b32_e32 v0, 0x80000000, v0
	v_lshl_add_u32 v0, v3, 23, v0
	s_delay_alu instid0(VALU_DEP_1) | instskip(NEXT) | instid1(VALU_DEP_1)
	v_lshl_or_b32 v0, v2, 21, v0
                                        ; implicit-def: $vgpr2
	v_add_nc_u32_e32 v3, 0x38000000, v0
                                        ; implicit-def: $vgpr0
.LBB6_9243:                             ;   in Loop: Header=BB6_8449 Depth=2
	s_and_not1_saveexec_b32 s40, s40
; %bb.9244:                             ;   in Loop: Header=BB6_8449 Depth=2
	v_bfe_i32 v0, v0, 0, 8
	s_delay_alu instid0(VALU_DEP_1) | instskip(SKIP_1) | instid1(VALU_DEP_1)
	v_cmp_lt_i16_e32 vcc_lo, -1, v0
	v_mov_b32_e32 v0, 0x7f800000
	v_cndmask_b32_e32 v0, 0xff800000, v0, vcc_lo
	v_cmp_eq_u32_e32 vcc_lo, 0, v2
	s_delay_alu instid0(VALU_DEP_2)
	v_cndmask_b32_e32 v3, 0x7f800001, v0, vcc_lo
; %bb.9245:                             ;   in Loop: Header=BB6_8449 Depth=2
	s_or_b32 exec_lo, exec_lo, s40
.LBB6_9246:                             ;   in Loop: Header=BB6_8449 Depth=2
	s_delay_alu instid0(SALU_CYCLE_1)
	s_or_b32 exec_lo, exec_lo, s29
.LBB6_9247:                             ;   in Loop: Header=BB6_8449 Depth=2
	s_delay_alu instid0(SALU_CYCLE_1) | instskip(NEXT) | instid1(VALU_DEP_1)
	s_or_b32 exec_lo, exec_lo, s7
	v_dual_mul_f32 v2, s28, v3 :: v_dual_mov_b32 v5, v1
                                        ; implicit-def: $vgpr43
	s_mov_b32 s7, exec_lo
	s_delay_alu instid0(VALU_DEP_1) | instskip(SKIP_2) | instid1(VALU_DEP_3)
	v_and_b32_e32 v4, 0x7f800000, v2
	v_and_b32_e32 v0, 0x7fffff, v2
	v_lshrrev_b32_e32 v3, 24, v2
	v_cmpx_ne_u64_e32 0x7f800000, v[4:5]
	s_xor_b32 s29, exec_lo, s7
	s_cbranch_execz .LBB6_9261
; %bb.9248:                             ;   in Loop: Header=BB6_8449 Depth=2
	v_and_b32_e32 v4, 0x7fffffff, v2
	v_mov_b32_e32 v5, v1
	v_and_b32_e32 v8, 0x80, v3
                                        ; implicit-def: $vgpr43
	s_mov_b32 s7, exec_lo
	s_delay_alu instid0(VALU_DEP_2)
	v_cmpx_gt_u64_e32 0x47600001, v[4:5]
	s_xor_b32 s40, exec_lo, s7
	s_cbranch_execz .LBB6_9258
; %bb.9249:                             ;   in Loop: Header=BB6_8449 Depth=2
	v_mov_b32_e32 v43, 0
	s_mov_b32 s41, exec_lo
	v_cmpx_ne_u32_e32 0, v2
	s_cbranch_execz .LBB6_9257
; %bb.9250:                             ;   in Loop: Header=BB6_8449 Depth=2
	v_bfe_u32 v10, v2, 23, 8
	v_or_b32_e32 v4, 0x800000, v0
	s_mov_b32 s42, exec_lo
	s_delay_alu instid0(VALU_DEP_2) | instskip(SKIP_1) | instid1(VALU_DEP_2)
	v_dual_mov_b32 v5, v1 :: v_dual_sub_nc_u32 v2, 0x71, v10
	v_cmp_gt_u32_e32 vcc_lo, 0x72, v10
	v_cndmask_b32_e32 v2, 0, v2, vcc_lo
	v_cmp_eq_u32_e32 vcc_lo, 0, v10
	s_delay_alu instid0(VALU_DEP_2) | instskip(NEXT) | instid1(VALU_DEP_1)
	v_cndmask_b32_e64 v11, v2, 0x70, vcc_lo
	v_dual_cndmask_b32 v4, v4, v0, vcc_lo :: v_dual_add_nc_u32 v2, 21, v11
	v_add_nc_u32_e32 v14, 20, v11
	s_delay_alu instid0(VALU_DEP_2) | instskip(NEXT) | instid1(VALU_DEP_2)
	v_lshlrev_b64_e64 v[2:3], v2, -1
	v_lshlrev_b64_e64 v[14:15], v14, 1
	s_delay_alu instid0(VALU_DEP_2) | instskip(NEXT) | instid1(VALU_DEP_3)
	v_bfi_b32 v17, v3, 0, 0
	v_bfi_b32 v16, v2, 0, v4
	v_lshrrev_b64 v[2:3], v11, v[4:5]
	s_delay_alu instid0(VALU_DEP_1) | instskip(NEXT) | instid1(VALU_DEP_3)
	v_mov_b64_e32 v[4:5], v[2:3]
	v_cmpx_eq_u64_e64 v[16:17], v[14:15]
; %bb.9251:                             ;   in Loop: Header=BB6_8449 Depth=2
	v_bfe_u32 v4, v2, 21, 1
	v_mov_b32_e32 v5, v1
	s_delay_alu instid0(VALU_DEP_1) | instskip(NEXT) | instid1(VALU_DEP_1)
	v_add_nc_u64_e32 v[4:5], v[2:3], v[4:5]
	v_add_nc_u64_e32 v[4:5], -1, v[4:5]
; %bb.9252:                             ;   in Loop: Header=BB6_8449 Depth=2
	s_or_b32 exec_lo, exec_lo, s42
	v_add_nc_u32_e32 v0, 0xffffff81, v10
	v_lshrrev_b32_e32 v3, 23, v2
	s_mov_b32 s7, exec_lo
	s_delay_alu instid0(VALU_DEP_2) | instskip(NEXT) | instid1(VALU_DEP_1)
	v_cndmask_b32_e64 v0, v0, 0xffffff82, vcc_lo
	v_add3_u32 v5, v11, v0, v3
	v_and_b32_e32 v0, 0x1fffff, v4
                                        ; implicit-def: $vgpr4
	s_delay_alu instid0(VALU_DEP_1) | instskip(NEXT) | instid1(VALU_DEP_1)
	v_dual_add_nc_u32 v10, 14, v5 :: v_dual_add_nc_u32 v0, v0, v2
                                        ; implicit-def: $vgpr2_vgpr3
	v_cmpx_ne_u32_e32 0, v10
	s_xor_b32 s7, exec_lo, s7
; %bb.9253:                             ;   in Loop: Header=BB6_8449 Depth=2
	s_delay_alu instid0(VALU_DEP_2) | instskip(SKIP_1) | instid1(VALU_DEP_1)
	v_cmp_lt_u64_e32 vcc_lo, 0xffffff, v[0:1]
	v_add_nc_u32_e32 v2, 15, v5
	v_cndmask_b32_e32 v4, v10, v2, vcc_lo
	v_cndmask_b32_e64 v2, 0, 1, vcc_lo
	s_delay_alu instid0(VALU_DEP_1)
	v_lshrrev_b64 v[2:3], v2, v[0:1]
; %bb.9254:                             ;   in Loop: Header=BB6_8449 Depth=2
	s_and_not1_saveexec_b32 s7, s7
; %bb.9255:                             ;   in Loop: Header=BB6_8449 Depth=2
	v_mov_b64_e32 v[2:3], v[0:1]
	v_bfe_u32 v4, v0, 23, 1
; %bb.9256:                             ;   in Loop: Header=BB6_8449 Depth=2
	s_or_b32 exec_lo, exec_lo, s7
	s_delay_alu instid0(VALU_DEP_2) | instskip(NEXT) | instid1(VALU_DEP_2)
	v_lshrrev_b64 v[2:3], 21, v[2:3]
	v_cmp_gt_i32_e32 vcc_lo, 32, v4
	v_min_i32_e32 v0, 31, v4
	v_cmp_eq_u32_e64 s7, 0, v4
	s_delay_alu instid0(VALU_DEP_2) | instskip(SKIP_1) | instid1(VALU_DEP_2)
	v_dual_cndmask_b32 v3, 0, v3 :: v_dual_lshlrev_b32 v0, 2, v0
	v_cndmask_b32_e32 v2, 3, v2, vcc_lo
	v_and_b32_e32 v0, 0xfc, v0
	s_delay_alu instid0(VALU_DEP_2) | instskip(NEXT) | instid1(VALU_DEP_2)
	v_cmp_eq_u64_e32 vcc_lo, 0, v[2:3]
	v_and_or_b32 v0, v2, 3, v0
	s_and_b32 s7, s7, vcc_lo
	s_delay_alu instid0(VALU_DEP_1) | instid1(SALU_CYCLE_1)
	v_cndmask_b32_e64 v0, v0, 0, s7
	s_delay_alu instid0(VALU_DEP_1)
	v_or_b32_e32 v43, v0, v8
.LBB6_9257:                             ;   in Loop: Header=BB6_8449 Depth=2
	s_or_b32 exec_lo, exec_lo, s41
                                        ; implicit-def: $vgpr8
.LBB6_9258:                             ;   in Loop: Header=BB6_8449 Depth=2
	s_and_not1_saveexec_b32 s7, s40
; %bb.9259:                             ;   in Loop: Header=BB6_8449 Depth=2
	v_or_b32_e32 v43, 0x7b, v8
; %bb.9260:                             ;   in Loop: Header=BB6_8449 Depth=2
	s_or_b32 exec_lo, exec_lo, s7
                                        ; implicit-def: $vgpr2
                                        ; implicit-def: $vgpr3
.LBB6_9261:                             ;   in Loop: Header=BB6_8449 Depth=2
	s_and_not1_saveexec_b32 s7, s29
	s_cbranch_execz .LBB6_9267
; %bb.9262:                             ;   in Loop: Header=BB6_8449 Depth=2
	s_mov_b32 s29, exec_lo
                                        ; implicit-def: $vgpr43
	v_cmpx_ne_u64_e32 0, v[0:1]
	s_xor_b32 s29, exec_lo, s29
; %bb.9263:                             ;   in Loop: Header=BB6_8449 Depth=2
	v_or_b32_e32 v43, 0x7f, v3
                                        ; implicit-def: $vgpr2
; %bb.9264:                             ;   in Loop: Header=BB6_8449 Depth=2
	s_and_not1_saveexec_b32 s29, s29
; %bb.9265:                             ;   in Loop: Header=BB6_8449 Depth=2
	v_cmp_lt_i32_e32 vcc_lo, -1, v2
	v_mov_b32_e32 v0, 0x7c
	s_delay_alu instid0(VALU_DEP_1)
	v_cndmask_b32_e32 v43, 0xfc, v0, vcc_lo
; %bb.9266:                             ;   in Loop: Header=BB6_8449 Depth=2
	s_or_b32 exec_lo, exec_lo, s29
.LBB6_9267:                             ;   in Loop: Header=BB6_8449 Depth=2
	s_delay_alu instid0(SALU_CYCLE_1)
	s_or_b32 exec_lo, exec_lo, s7
	v_mov_b32_e32 v2, 0
	s_mov_b32 s7, exec_lo
	v_cmpx_lt_u32_e32 0xffffff, v12
	s_cbranch_execz .LBB6_9277
; %bb.9268:                             ;   in Loop: Header=BB6_8449 Depth=2
	v_lshrrev_b32_e32 v0, 24, v12
	v_bfrev_b32_e32 v2, 1
	s_mov_b32 s29, exec_lo
	s_delay_alu instid0(VALU_DEP_2)
	v_cmpx_ne_u32_e32 0x80, v0
	s_cbranch_execz .LBB6_9276
; %bb.9269:                             ;   in Loop: Header=BB6_8449 Depth=2
	v_and_b32_e32 v2, 0x7c000000, v12
	v_bfe_u32 v3, v12, 24, 2
	s_delay_alu instid0(VALU_DEP_2) | instskip(SKIP_1) | instid1(SALU_CYCLE_1)
	v_cmp_ne_u32_e32 vcc_lo, 0x7c000000, v2
                                        ; implicit-def: $vgpr2
	s_and_saveexec_b32 s40, vcc_lo
	s_xor_b32 s40, exec_lo, s40
	s_cbranch_execz .LBB6_9273
; %bb.9270:                             ;   in Loop: Header=BB6_8449 Depth=2
	v_bfe_u32 v2, v12, 26, 5
	s_mov_b32 s41, exec_lo
	s_delay_alu instid0(VALU_DEP_1)
	v_cmpx_eq_u32_e32 0, v2
; %bb.9271:                             ;   in Loop: Header=BB6_8449 Depth=2
	v_clz_i32_u32_e32 v2, v3
	s_delay_alu instid0(VALU_DEP_1) | instskip(NEXT) | instid1(VALU_DEP_1)
	v_min_u32_e32 v2, 32, v2
	v_subrev_nc_u32_e32 v3, 29, v2
	s_delay_alu instid0(VALU_DEP_1) | instskip(NEXT) | instid1(VALU_DEP_1)
	v_lshlrev_b64_e32 v[4:5], v3, v[0:1]
	v_dual_sub_nc_u32 v2, 30, v2 :: v_dual_bitop2_b32 v3, 3, v4 bitop3:0x40
; %bb.9272:                             ;   in Loop: Header=BB6_8449 Depth=2
	s_or_b32 exec_lo, exec_lo, s41
	v_and_b32_e32 v0, 0x80000000, v12
	s_delay_alu instid0(VALU_DEP_1) | instskip(NEXT) | instid1(VALU_DEP_1)
	v_lshl_add_u32 v0, v2, 23, v0
	v_lshl_or_b32 v0, v3, 21, v0
                                        ; implicit-def: $vgpr3
	s_delay_alu instid0(VALU_DEP_1)
	v_add_nc_u32_e32 v2, 0x38000000, v0
.LBB6_9273:                             ;   in Loop: Header=BB6_8449 Depth=2
	s_and_not1_saveexec_b32 s40, s40
; %bb.9274:                             ;   in Loop: Header=BB6_8449 Depth=2
	v_cmp_lt_i32_e32 vcc_lo, -1, v12
	v_mov_b32_e32 v0, 0x7f800000
	s_delay_alu instid0(VALU_DEP_1) | instskip(SKIP_1) | instid1(VALU_DEP_2)
	v_cndmask_b32_e32 v0, 0xff800000, v0, vcc_lo
	v_cmp_eq_u32_e32 vcc_lo, 0, v3
	v_cndmask_b32_e32 v2, 0x7f800001, v0, vcc_lo
; %bb.9275:                             ;   in Loop: Header=BB6_8449 Depth=2
	s_or_b32 exec_lo, exec_lo, s40
.LBB6_9276:                             ;   in Loop: Header=BB6_8449 Depth=2
	s_delay_alu instid0(SALU_CYCLE_1)
	s_or_b32 exec_lo, exec_lo, s29
.LBB6_9277:                             ;   in Loop: Header=BB6_8449 Depth=2
	s_delay_alu instid0(SALU_CYCLE_1) | instskip(NEXT) | instid1(VALU_DEP_1)
	s_or_b32 exec_lo, exec_lo, s7
	v_dual_mul_f32 v2, s28, v2 :: v_dual_mov_b32 v5, v1
                                        ; implicit-def: $vgpr45
	s_mov_b32 s7, exec_lo
	s_delay_alu instid0(VALU_DEP_1) | instskip(SKIP_2) | instid1(VALU_DEP_3)
	v_and_b32_e32 v4, 0x7f800000, v2
	v_and_b32_e32 v0, 0x7fffff, v2
	v_lshrrev_b32_e32 v3, 24, v2
	v_cmpx_ne_u64_e32 0x7f800000, v[4:5]
	s_xor_b32 s29, exec_lo, s7
	s_cbranch_execz .LBB6_9291
; %bb.9278:                             ;   in Loop: Header=BB6_8449 Depth=2
	v_and_b32_e32 v4, 0x7fffffff, v2
	v_mov_b32_e32 v5, v1
	v_and_b32_e32 v8, 0x80, v3
                                        ; implicit-def: $vgpr45
	s_mov_b32 s7, exec_lo
	s_delay_alu instid0(VALU_DEP_2)
	v_cmpx_gt_u64_e32 0x47600001, v[4:5]
	s_xor_b32 s40, exec_lo, s7
	s_cbranch_execz .LBB6_9288
; %bb.9279:                             ;   in Loop: Header=BB6_8449 Depth=2
	v_mov_b32_e32 v45, 0
	s_mov_b32 s41, exec_lo
	v_cmpx_ne_u32_e32 0, v2
	s_cbranch_execz .LBB6_9287
; %bb.9280:                             ;   in Loop: Header=BB6_8449 Depth=2
	v_bfe_u32 v10, v2, 23, 8
	v_or_b32_e32 v4, 0x800000, v0
	s_mov_b32 s42, exec_lo
	s_delay_alu instid0(VALU_DEP_2) | instskip(SKIP_1) | instid1(VALU_DEP_2)
	v_dual_mov_b32 v5, v1 :: v_dual_sub_nc_u32 v2, 0x71, v10
	v_cmp_gt_u32_e32 vcc_lo, 0x72, v10
	v_cndmask_b32_e32 v2, 0, v2, vcc_lo
	v_cmp_eq_u32_e32 vcc_lo, 0, v10
	s_delay_alu instid0(VALU_DEP_2) | instskip(NEXT) | instid1(VALU_DEP_1)
	v_cndmask_b32_e64 v11, v2, 0x70, vcc_lo
	v_dual_cndmask_b32 v4, v4, v0, vcc_lo :: v_dual_add_nc_u32 v2, 21, v11
	v_add_nc_u32_e32 v14, 20, v11
	s_delay_alu instid0(VALU_DEP_2) | instskip(NEXT) | instid1(VALU_DEP_2)
	v_lshlrev_b64_e64 v[2:3], v2, -1
	v_lshlrev_b64_e64 v[14:15], v14, 1
	s_delay_alu instid0(VALU_DEP_2) | instskip(NEXT) | instid1(VALU_DEP_3)
	v_bfi_b32 v17, v3, 0, 0
	v_bfi_b32 v16, v2, 0, v4
	v_lshrrev_b64 v[2:3], v11, v[4:5]
	s_delay_alu instid0(VALU_DEP_1) | instskip(NEXT) | instid1(VALU_DEP_3)
	v_mov_b64_e32 v[4:5], v[2:3]
	v_cmpx_eq_u64_e64 v[16:17], v[14:15]
; %bb.9281:                             ;   in Loop: Header=BB6_8449 Depth=2
	v_bfe_u32 v4, v2, 21, 1
	v_mov_b32_e32 v5, v1
	s_delay_alu instid0(VALU_DEP_1) | instskip(NEXT) | instid1(VALU_DEP_1)
	v_add_nc_u64_e32 v[4:5], v[2:3], v[4:5]
	v_add_nc_u64_e32 v[4:5], -1, v[4:5]
; %bb.9282:                             ;   in Loop: Header=BB6_8449 Depth=2
	s_or_b32 exec_lo, exec_lo, s42
	v_add_nc_u32_e32 v0, 0xffffff81, v10
	v_lshrrev_b32_e32 v3, 23, v2
	s_mov_b32 s7, exec_lo
	s_delay_alu instid0(VALU_DEP_2) | instskip(NEXT) | instid1(VALU_DEP_1)
	v_cndmask_b32_e64 v0, v0, 0xffffff82, vcc_lo
	v_add3_u32 v5, v11, v0, v3
	v_and_b32_e32 v0, 0x1fffff, v4
                                        ; implicit-def: $vgpr4
	s_delay_alu instid0(VALU_DEP_1) | instskip(NEXT) | instid1(VALU_DEP_1)
	v_dual_add_nc_u32 v10, 14, v5 :: v_dual_add_nc_u32 v0, v0, v2
                                        ; implicit-def: $vgpr2_vgpr3
	v_cmpx_ne_u32_e32 0, v10
	s_xor_b32 s7, exec_lo, s7
; %bb.9283:                             ;   in Loop: Header=BB6_8449 Depth=2
	s_delay_alu instid0(VALU_DEP_2) | instskip(SKIP_1) | instid1(VALU_DEP_1)
	v_cmp_lt_u64_e32 vcc_lo, 0xffffff, v[0:1]
	v_add_nc_u32_e32 v2, 15, v5
	v_cndmask_b32_e32 v4, v10, v2, vcc_lo
	v_cndmask_b32_e64 v2, 0, 1, vcc_lo
	s_delay_alu instid0(VALU_DEP_1)
	v_lshrrev_b64 v[2:3], v2, v[0:1]
; %bb.9284:                             ;   in Loop: Header=BB6_8449 Depth=2
	s_and_not1_saveexec_b32 s7, s7
; %bb.9285:                             ;   in Loop: Header=BB6_8449 Depth=2
	v_mov_b64_e32 v[2:3], v[0:1]
	v_bfe_u32 v4, v0, 23, 1
; %bb.9286:                             ;   in Loop: Header=BB6_8449 Depth=2
	s_or_b32 exec_lo, exec_lo, s7
	s_delay_alu instid0(VALU_DEP_2) | instskip(NEXT) | instid1(VALU_DEP_2)
	v_lshrrev_b64 v[2:3], 21, v[2:3]
	v_cmp_gt_i32_e32 vcc_lo, 32, v4
	v_min_i32_e32 v0, 31, v4
	v_cmp_eq_u32_e64 s7, 0, v4
	s_delay_alu instid0(VALU_DEP_2) | instskip(SKIP_1) | instid1(VALU_DEP_2)
	v_dual_cndmask_b32 v3, 0, v3 :: v_dual_lshlrev_b32 v0, 2, v0
	v_cndmask_b32_e32 v2, 3, v2, vcc_lo
	v_and_b32_e32 v0, 0xfc, v0
	s_delay_alu instid0(VALU_DEP_2) | instskip(NEXT) | instid1(VALU_DEP_2)
	v_cmp_eq_u64_e32 vcc_lo, 0, v[2:3]
	v_and_or_b32 v0, v2, 3, v0
	s_and_b32 s7, s7, vcc_lo
	s_delay_alu instid0(VALU_DEP_1) | instid1(SALU_CYCLE_1)
	v_cndmask_b32_e64 v0, v0, 0, s7
	s_delay_alu instid0(VALU_DEP_1)
	v_or_b32_e32 v45, v0, v8
.LBB6_9287:                             ;   in Loop: Header=BB6_8449 Depth=2
	s_or_b32 exec_lo, exec_lo, s41
                                        ; implicit-def: $vgpr8
.LBB6_9288:                             ;   in Loop: Header=BB6_8449 Depth=2
	s_and_not1_saveexec_b32 s7, s40
; %bb.9289:                             ;   in Loop: Header=BB6_8449 Depth=2
	v_or_b32_e32 v45, 0x7b, v8
; %bb.9290:                             ;   in Loop: Header=BB6_8449 Depth=2
	s_or_b32 exec_lo, exec_lo, s7
                                        ; implicit-def: $vgpr2
                                        ; implicit-def: $vgpr3
.LBB6_9291:                             ;   in Loop: Header=BB6_8449 Depth=2
	s_and_not1_saveexec_b32 s7, s29
	s_cbranch_execz .LBB6_9297
; %bb.9292:                             ;   in Loop: Header=BB6_8449 Depth=2
	s_mov_b32 s29, exec_lo
                                        ; implicit-def: $vgpr45
	v_cmpx_ne_u64_e32 0, v[0:1]
	s_xor_b32 s29, exec_lo, s29
; %bb.9293:                             ;   in Loop: Header=BB6_8449 Depth=2
	v_or_b32_e32 v45, 0x7f, v3
                                        ; implicit-def: $vgpr2
; %bb.9294:                             ;   in Loop: Header=BB6_8449 Depth=2
	s_and_not1_saveexec_b32 s29, s29
; %bb.9295:                             ;   in Loop: Header=BB6_8449 Depth=2
	v_cmp_lt_i32_e32 vcc_lo, -1, v2
	v_mov_b32_e32 v0, 0x7c
	s_delay_alu instid0(VALU_DEP_1)
	v_cndmask_b32_e32 v45, 0xfc, v0, vcc_lo
; %bb.9296:                             ;   in Loop: Header=BB6_8449 Depth=2
	s_or_b32 exec_lo, exec_lo, s29
.LBB6_9297:                             ;   in Loop: Header=BB6_8449 Depth=2
	s_delay_alu instid0(SALU_CYCLE_1) | instskip(SKIP_3) | instid1(VALU_DEP_2)
	s_or_b32 exec_lo, exec_lo, s7
	v_and_b32_e32 v2, 0xff, v13
	v_dual_mov_b32 v0, v13 :: v_dual_mov_b32 v3, 0
	s_mov_b32 s7, exec_lo
	v_cmpx_ne_u16_e32 0, v2
	s_cbranch_execz .LBB6_9307
; %bb.9298:                             ;   in Loop: Header=BB6_8449 Depth=2
	v_bfrev_b32_e32 v3, 1
	s_mov_b32 s29, exec_lo
	v_cmpx_ne_u16_e32 0x80, v2
	s_cbranch_execz .LBB6_9306
; %bb.9299:                             ;   in Loop: Header=BB6_8449 Depth=2
	v_and_b32_e32 v3, 0x7c, v13
	v_and_b32_e32 v2, 3, v13
	s_delay_alu instid0(VALU_DEP_2) | instskip(SKIP_1) | instid1(SALU_CYCLE_1)
	v_cmp_ne_u32_e32 vcc_lo, 0x7c, v3
                                        ; implicit-def: $vgpr3
	s_and_saveexec_b32 s40, vcc_lo
	s_xor_b32 s40, exec_lo, s40
	s_cbranch_execz .LBB6_9303
; %bb.9300:                             ;   in Loop: Header=BB6_8449 Depth=2
	v_bfe_u32 v3, v13, 2, 5
	s_mov_b32 s41, exec_lo
	s_delay_alu instid0(VALU_DEP_1)
	v_cmpx_eq_u32_e32 0, v3
; %bb.9301:                             ;   in Loop: Header=BB6_8449 Depth=2
	v_clz_i32_u32_e32 v2, v2
	s_delay_alu instid0(VALU_DEP_1) | instskip(NEXT) | instid1(VALU_DEP_1)
	v_min_u32_e32 v4, 32, v2
	v_subrev_nc_u32_e32 v2, 29, v4
	s_delay_alu instid0(VALU_DEP_1) | instskip(NEXT) | instid1(VALU_DEP_1)
	v_lshlrev_b64_e32 v[2:3], v2, v[0:1]
	v_dual_sub_nc_u32 v3, 30, v4 :: v_dual_bitop2_b32 v2, 3, v2 bitop3:0x40
; %bb.9302:                             ;   in Loop: Header=BB6_8449 Depth=2
	s_or_b32 exec_lo, exec_lo, s41
	v_lshlrev_b32_e32 v4, 24, v13
	s_delay_alu instid0(VALU_DEP_1) | instskip(NEXT) | instid1(VALU_DEP_1)
	v_and_b32_e32 v4, 0x80000000, v4
	v_lshl_add_u32 v3, v3, 23, v4
	s_delay_alu instid0(VALU_DEP_1) | instskip(NEXT) | instid1(VALU_DEP_1)
	v_lshl_or_b32 v2, v2, 21, v3
	v_add_nc_u32_e32 v3, 0x38000000, v2
                                        ; implicit-def: $vgpr2
.LBB6_9303:                             ;   in Loop: Header=BB6_8449 Depth=2
	s_and_not1_saveexec_b32 s40, s40
; %bb.9304:                             ;   in Loop: Header=BB6_8449 Depth=2
	v_bfe_i32 v3, v13, 0, 8
	s_delay_alu instid0(VALU_DEP_1) | instskip(SKIP_1) | instid1(VALU_DEP_1)
	v_cmp_lt_i16_e32 vcc_lo, -1, v3
	v_mov_b32_e32 v3, 0x7f800000
	v_cndmask_b32_e32 v3, 0xff800000, v3, vcc_lo
	v_cmp_eq_u32_e32 vcc_lo, 0, v2
	s_delay_alu instid0(VALU_DEP_2)
	v_cndmask_b32_e32 v3, 0x7f800001, v3, vcc_lo
; %bb.9305:                             ;   in Loop: Header=BB6_8449 Depth=2
	s_or_b32 exec_lo, exec_lo, s40
.LBB6_9306:                             ;   in Loop: Header=BB6_8449 Depth=2
	s_delay_alu instid0(SALU_CYCLE_1)
	s_or_b32 exec_lo, exec_lo, s29
.LBB6_9307:                             ;   in Loop: Header=BB6_8449 Depth=2
	s_delay_alu instid0(SALU_CYCLE_1) | instskip(NEXT) | instid1(VALU_DEP_1)
	s_or_b32 exec_lo, exec_lo, s7
	v_dual_mul_f32 v4, s28, v3 :: v_dual_mov_b32 v11, v1
	v_mov_b32_e32 v3, v1
                                        ; implicit-def: $vgpr85
	s_mov_b32 s7, exec_lo
	s_delay_alu instid0(VALU_DEP_2) | instskip(SKIP_2) | instid1(VALU_DEP_3)
	v_and_b32_e32 v10, 0x7f800000, v4
	v_and_b32_e32 v2, 0x7fffff, v4
	v_lshrrev_b32_e32 v5, 24, v4
	v_cmpx_ne_u64_e32 0x7f800000, v[10:11]
	s_xor_b32 s29, exec_lo, s7
	s_cbranch_execz .LBB6_9321
; %bb.9308:                             ;   in Loop: Header=BB6_8449 Depth=2
	v_and_b32_e32 v10, 0x7fffffff, v4
	v_mov_b32_e32 v11, v1
	v_and_b32_e32 v8, 0x80, v5
                                        ; implicit-def: $vgpr85
	s_mov_b32 s7, exec_lo
	s_delay_alu instid0(VALU_DEP_2)
	v_cmpx_gt_u64_e32 0x47600001, v[10:11]
	s_xor_b32 s40, exec_lo, s7
	s_cbranch_execz .LBB6_9318
; %bb.9309:                             ;   in Loop: Header=BB6_8449 Depth=2
	v_mov_b32_e32 v85, 0
	s_mov_b32 s41, exec_lo
	v_cmpx_ne_u32_e32 0, v4
	s_cbranch_execz .LBB6_9317
; %bb.9310:                             ;   in Loop: Header=BB6_8449 Depth=2
	v_bfe_u32 v10, v4, 23, 8
	v_or_b32_e32 v14, 0x800000, v2
	s_delay_alu instid0(VALU_DEP_2) | instskip(SKIP_1) | instid1(VALU_DEP_2)
	v_sub_nc_u32_e32 v4, 0x71, v10
	v_cmp_gt_u32_e32 vcc_lo, 0x72, v10
	v_cndmask_b32_e32 v4, 0, v4, vcc_lo
	v_cmp_eq_u32_e32 vcc_lo, 0, v10
	s_delay_alu instid0(VALU_DEP_2) | instskip(NEXT) | instid1(VALU_DEP_1)
	v_cndmask_b32_e64 v11, v4, 0x70, vcc_lo
	v_dual_cndmask_b32 v2, v14, v2, vcc_lo :: v_dual_add_nc_u32 v4, 21, v11
	v_add_nc_u32_e32 v15, 20, v11
	s_delay_alu instid0(VALU_DEP_2) | instskip(NEXT) | instid1(VALU_DEP_2)
	v_lshlrev_b64_e64 v[4:5], v4, -1
	v_lshlrev_b64_e64 v[14:15], v15, 1
	s_delay_alu instid0(VALU_DEP_2) | instskip(SKIP_1) | instid1(VALU_DEP_4)
	v_bfi_b32 v4, v4, 0, v2
	v_lshrrev_b64 v[2:3], v11, v[2:3]
	v_bfi_b32 v5, v5, 0, 0
	s_delay_alu instid0(VALU_DEP_1) | instskip(NEXT) | instid1(VALU_DEP_3)
	v_cmp_eq_u64_e64 s7, v[4:5], v[14:15]
	v_mov_b64_e32 v[4:5], v[2:3]
	s_and_saveexec_b32 s42, s7
; %bb.9311:                             ;   in Loop: Header=BB6_8449 Depth=2
	v_bfe_u32 v4, v2, 21, 1
	v_mov_b32_e32 v5, v1
	s_delay_alu instid0(VALU_DEP_1) | instskip(NEXT) | instid1(VALU_DEP_1)
	v_add_nc_u64_e32 v[4:5], v[2:3], v[4:5]
	v_add_nc_u64_e32 v[4:5], -1, v[4:5]
; %bb.9312:                             ;   in Loop: Header=BB6_8449 Depth=2
	s_or_b32 exec_lo, exec_lo, s42
	v_add_nc_u32_e32 v3, 0xffffff81, v10
	v_lshrrev_b32_e32 v5, 23, v2
	s_mov_b32 s7, exec_lo
	s_delay_alu instid0(VALU_DEP_2) | instskip(NEXT) | instid1(VALU_DEP_1)
	v_cndmask_b32_e64 v3, v3, 0xffffff82, vcc_lo
	v_add3_u32 v5, v11, v3, v5
	v_and_b32_e32 v3, 0x1fffff, v4
                                        ; implicit-def: $vgpr4
	s_delay_alu instid0(VALU_DEP_1) | instskip(SKIP_1) | instid1(VALU_DEP_2)
	v_dual_add_nc_u32 v10, 14, v5 :: v_dual_add_nc_u32 v2, v3, v2
	v_mov_b32_e32 v3, v1
	v_cmpx_ne_u32_e32 0, v10
	s_xor_b32 s7, exec_lo, s7
; %bb.9313:                             ;   in Loop: Header=BB6_8449 Depth=2
	s_delay_alu instid0(VALU_DEP_2) | instskip(SKIP_2) | instid1(VALU_DEP_2)
	v_cmp_lt_u64_e32 vcc_lo, 0xffffff, v[2:3]
	v_add_nc_u32_e32 v4, 15, v5
	v_cndmask_b32_e64 v5, 0, 1, vcc_lo
	v_cndmask_b32_e32 v4, v10, v4, vcc_lo
	s_delay_alu instid0(VALU_DEP_2)
	v_lshrrev_b64 v[2:3], v5, v[2:3]
; %bb.9314:                             ;   in Loop: Header=BB6_8449 Depth=2
	s_and_not1_saveexec_b32 s7, s7
; %bb.9315:                             ;   in Loop: Header=BB6_8449 Depth=2
	s_delay_alu instid0(VALU_DEP_1)
	v_bfe_u32 v4, v2, 23, 1
; %bb.9316:                             ;   in Loop: Header=BB6_8449 Depth=2
	s_or_b32 exec_lo, exec_lo, s7
	s_delay_alu instid0(VALU_DEP_2) | instskip(NEXT) | instid1(VALU_DEP_2)
	v_lshrrev_b64 v[2:3], 21, v[2:3]
	v_cmp_gt_i32_e32 vcc_lo, 32, v4
	v_min_i32_e32 v5, 31, v4
	v_cmp_eq_u32_e64 s7, 0, v4
	s_delay_alu instid0(VALU_DEP_2) | instskip(SKIP_1) | instid1(VALU_DEP_2)
	v_dual_cndmask_b32 v3, 0, v3, vcc_lo :: v_dual_lshlrev_b32 v5, 2, v5
	v_cndmask_b32_e32 v2, 3, v2, vcc_lo
	v_and_b32_e32 v5, 0xfc, v5
	s_delay_alu instid0(VALU_DEP_2) | instskip(NEXT) | instid1(VALU_DEP_2)
	v_cmp_eq_u64_e32 vcc_lo, 0, v[2:3]
	v_and_or_b32 v2, v2, 3, v5
	s_and_b32 s7, s7, vcc_lo
	s_delay_alu instid0(VALU_DEP_1) | instid1(SALU_CYCLE_1)
	v_cndmask_b32_e64 v2, v2, 0, s7
	s_delay_alu instid0(VALU_DEP_1)
	v_or_b32_e32 v85, v2, v8
.LBB6_9317:                             ;   in Loop: Header=BB6_8449 Depth=2
	s_or_b32 exec_lo, exec_lo, s41
                                        ; implicit-def: $vgpr8
.LBB6_9318:                             ;   in Loop: Header=BB6_8449 Depth=2
	s_and_not1_saveexec_b32 s7, s40
; %bb.9319:                             ;   in Loop: Header=BB6_8449 Depth=2
	v_or_b32_e32 v85, 0x7b, v8
; %bb.9320:                             ;   in Loop: Header=BB6_8449 Depth=2
	s_or_b32 exec_lo, exec_lo, s7
                                        ; implicit-def: $vgpr4
                                        ; implicit-def: $vgpr2_vgpr3
                                        ; implicit-def: $vgpr5
.LBB6_9321:                             ;   in Loop: Header=BB6_8449 Depth=2
	s_and_not1_saveexec_b32 s7, s29
	s_cbranch_execz .LBB6_9327
; %bb.9322:                             ;   in Loop: Header=BB6_8449 Depth=2
	s_mov_b32 s29, exec_lo
                                        ; implicit-def: $vgpr85
	v_cmpx_ne_u64_e32 0, v[2:3]
	s_xor_b32 s29, exec_lo, s29
; %bb.9323:                             ;   in Loop: Header=BB6_8449 Depth=2
	v_or_b32_e32 v85, 0x7f, v5
                                        ; implicit-def: $vgpr4
; %bb.9324:                             ;   in Loop: Header=BB6_8449 Depth=2
	s_and_not1_saveexec_b32 s29, s29
; %bb.9325:                             ;   in Loop: Header=BB6_8449 Depth=2
	v_cmp_lt_i32_e32 vcc_lo, -1, v4
	v_mov_b32_e32 v2, 0x7c
	s_delay_alu instid0(VALU_DEP_1)
	v_cndmask_b32_e32 v85, 0xfc, v2, vcc_lo
; %bb.9326:                             ;   in Loop: Header=BB6_8449 Depth=2
	s_or_b32 exec_lo, exec_lo, s29
.LBB6_9327:                             ;   in Loop: Header=BB6_8449 Depth=2
	s_delay_alu instid0(SALU_CYCLE_1) | instskip(SKIP_3) | instid1(VALU_DEP_2)
	s_or_b32 exec_lo, exec_lo, s7
	v_lshrrev_b16 v2, 8, v0
	v_mov_b32_e32 v4, 0
	s_mov_b32 s7, exec_lo
	v_cmpx_ne_u16_e32 0, v2
	s_cbranch_execz .LBB6_9337
; %bb.9328:                             ;   in Loop: Header=BB6_8449 Depth=2
	v_bfrev_b32_e32 v4, 1
	s_mov_b32 s29, exec_lo
	v_cmpx_ne_u16_e32 0x80, v2
	s_cbranch_execz .LBB6_9336
; %bb.9329:                             ;   in Loop: Header=BB6_8449 Depth=2
	v_and_b32_e32 v5, 0xffff, v2
	s_delay_alu instid0(VALU_DEP_1) | instskip(SKIP_1) | instid1(VALU_DEP_2)
	v_and_b32_e32 v4, 0x7c, v5
	v_and_b32_e32 v3, 3, v5
	v_cmp_ne_u32_e32 vcc_lo, 0x7c, v4
                                        ; implicit-def: $vgpr4
	s_and_saveexec_b32 s40, vcc_lo
	s_delay_alu instid0(SALU_CYCLE_1)
	s_xor_b32 s40, exec_lo, s40
	s_cbranch_execz .LBB6_9333
; %bb.9330:                             ;   in Loop: Header=BB6_8449 Depth=2
	v_bfe_u32 v4, v5, 2, 5
	s_mov_b32 s41, exec_lo
	s_delay_alu instid0(VALU_DEP_1)
	v_cmpx_eq_u32_e32 0, v4
	s_cbranch_execz .LBB6_9332
; %bb.9331:                             ;   in Loop: Header=BB6_8449 Depth=2
	v_clz_i32_u32_e32 v3, v3
	s_delay_alu instid0(VALU_DEP_1) | instskip(SKIP_1) | instid1(VALU_DEP_2)
	v_min_u32_e32 v4, 32, v3
	v_mov_b32_e32 v3, v1
	v_subrev_nc_u32_e32 v5, 29, v4
	v_sub_nc_u32_e32 v4, 30, v4
	s_delay_alu instid0(VALU_DEP_2) | instskip(NEXT) | instid1(VALU_DEP_1)
	v_lshlrev_b64_e32 v[2:3], v5, v[2:3]
	v_and_b32_e32 v3, 3, v2
.LBB6_9332:                             ;   in Loop: Header=BB6_8449 Depth=2
	s_or_b32 exec_lo, exec_lo, s41
	v_lshlrev_b32_e32 v0, 16, v0
	s_delay_alu instid0(VALU_DEP_1) | instskip(NEXT) | instid1(VALU_DEP_1)
	v_and_b32_e32 v0, 0x80000000, v0
	v_lshl_add_u32 v0, v4, 23, v0
	s_delay_alu instid0(VALU_DEP_1) | instskip(NEXT) | instid1(VALU_DEP_1)
	v_lshl_or_b32 v0, v3, 21, v0
                                        ; implicit-def: $vgpr3
	v_add_nc_u32_e32 v4, 0x38000000, v0
.LBB6_9333:                             ;   in Loop: Header=BB6_8449 Depth=2
	s_and_not1_saveexec_b32 s40, s40
; %bb.9334:                             ;   in Loop: Header=BB6_8449 Depth=2
	v_cmp_lt_i16_e32 vcc_lo, -1, v0
	v_mov_b32_e32 v0, 0x7f800000
	s_delay_alu instid0(VALU_DEP_1) | instskip(SKIP_1) | instid1(VALU_DEP_2)
	v_cndmask_b32_e32 v0, 0xff800000, v0, vcc_lo
	v_cmp_eq_u32_e32 vcc_lo, 0, v3
	v_cndmask_b32_e32 v4, 0x7f800001, v0, vcc_lo
; %bb.9335:                             ;   in Loop: Header=BB6_8449 Depth=2
	s_or_b32 exec_lo, exec_lo, s40
.LBB6_9336:                             ;   in Loop: Header=BB6_8449 Depth=2
	s_delay_alu instid0(SALU_CYCLE_1)
	s_or_b32 exec_lo, exec_lo, s29
.LBB6_9337:                             ;   in Loop: Header=BB6_8449 Depth=2
	s_delay_alu instid0(SALU_CYCLE_1) | instskip(NEXT) | instid1(VALU_DEP_1)
	s_or_b32 exec_lo, exec_lo, s7
	v_dual_mul_f32 v2, s28, v4 :: v_dual_mov_b32 v5, v1
                                        ; implicit-def: $vgpr114
	s_mov_b32 s7, exec_lo
	s_delay_alu instid0(VALU_DEP_1) | instskip(SKIP_2) | instid1(VALU_DEP_3)
	v_and_b32_e32 v4, 0x7f800000, v2
	v_and_b32_e32 v0, 0x7fffff, v2
	v_lshrrev_b32_e32 v3, 24, v2
	v_cmpx_ne_u64_e32 0x7f800000, v[4:5]
	s_xor_b32 s29, exec_lo, s7
	s_cbranch_execz .LBB6_9351
; %bb.9338:                             ;   in Loop: Header=BB6_8449 Depth=2
	v_and_b32_e32 v4, 0x7fffffff, v2
	v_mov_b32_e32 v5, v1
	v_and_b32_e32 v8, 0x80, v3
                                        ; implicit-def: $vgpr114
	s_mov_b32 s7, exec_lo
	s_delay_alu instid0(VALU_DEP_2)
	v_cmpx_gt_u64_e32 0x47600001, v[4:5]
	s_xor_b32 s40, exec_lo, s7
	s_cbranch_execz .LBB6_9348
; %bb.9339:                             ;   in Loop: Header=BB6_8449 Depth=2
	v_mov_b32_e32 v114, 0
	s_mov_b32 s41, exec_lo
	v_cmpx_ne_u32_e32 0, v2
	s_cbranch_execz .LBB6_9347
; %bb.9340:                             ;   in Loop: Header=BB6_8449 Depth=2
	v_bfe_u32 v10, v2, 23, 8
	v_or_b32_e32 v4, 0x800000, v0
	s_mov_b32 s42, exec_lo
	s_delay_alu instid0(VALU_DEP_2) | instskip(SKIP_1) | instid1(VALU_DEP_2)
	v_dual_mov_b32 v5, v1 :: v_dual_sub_nc_u32 v2, 0x71, v10
	v_cmp_gt_u32_e32 vcc_lo, 0x72, v10
	v_cndmask_b32_e32 v2, 0, v2, vcc_lo
	v_cmp_eq_u32_e32 vcc_lo, 0, v10
	s_delay_alu instid0(VALU_DEP_2) | instskip(NEXT) | instid1(VALU_DEP_1)
	v_cndmask_b32_e64 v11, v2, 0x70, vcc_lo
	v_dual_cndmask_b32 v4, v4, v0, vcc_lo :: v_dual_add_nc_u32 v2, 21, v11
	v_add_nc_u32_e32 v14, 20, v11
	s_delay_alu instid0(VALU_DEP_2) | instskip(NEXT) | instid1(VALU_DEP_2)
	v_lshlrev_b64_e64 v[2:3], v2, -1
	v_lshlrev_b64_e64 v[14:15], v14, 1
	s_delay_alu instid0(VALU_DEP_2) | instskip(NEXT) | instid1(VALU_DEP_3)
	v_bfi_b32 v17, v3, 0, 0
	v_bfi_b32 v16, v2, 0, v4
	v_lshrrev_b64 v[2:3], v11, v[4:5]
	s_delay_alu instid0(VALU_DEP_1) | instskip(NEXT) | instid1(VALU_DEP_3)
	v_mov_b64_e32 v[4:5], v[2:3]
	v_cmpx_eq_u64_e64 v[16:17], v[14:15]
; %bb.9341:                             ;   in Loop: Header=BB6_8449 Depth=2
	v_bfe_u32 v4, v2, 21, 1
	v_mov_b32_e32 v5, v1
	s_delay_alu instid0(VALU_DEP_1) | instskip(NEXT) | instid1(VALU_DEP_1)
	v_add_nc_u64_e32 v[4:5], v[2:3], v[4:5]
	v_add_nc_u64_e32 v[4:5], -1, v[4:5]
; %bb.9342:                             ;   in Loop: Header=BB6_8449 Depth=2
	s_or_b32 exec_lo, exec_lo, s42
	v_add_nc_u32_e32 v0, 0xffffff81, v10
	v_lshrrev_b32_e32 v3, 23, v2
	s_mov_b32 s7, exec_lo
	s_delay_alu instid0(VALU_DEP_2) | instskip(NEXT) | instid1(VALU_DEP_1)
	v_cndmask_b32_e64 v0, v0, 0xffffff82, vcc_lo
	v_add3_u32 v5, v11, v0, v3
	v_and_b32_e32 v0, 0x1fffff, v4
                                        ; implicit-def: $vgpr4
	s_delay_alu instid0(VALU_DEP_1) | instskip(NEXT) | instid1(VALU_DEP_1)
	v_dual_add_nc_u32 v10, 14, v5 :: v_dual_add_nc_u32 v0, v0, v2
                                        ; implicit-def: $vgpr2_vgpr3
	v_cmpx_ne_u32_e32 0, v10
	s_xor_b32 s7, exec_lo, s7
; %bb.9343:                             ;   in Loop: Header=BB6_8449 Depth=2
	s_delay_alu instid0(VALU_DEP_2) | instskip(SKIP_1) | instid1(VALU_DEP_1)
	v_cmp_lt_u64_e32 vcc_lo, 0xffffff, v[0:1]
	v_add_nc_u32_e32 v2, 15, v5
	v_cndmask_b32_e32 v4, v10, v2, vcc_lo
	v_cndmask_b32_e64 v2, 0, 1, vcc_lo
	s_delay_alu instid0(VALU_DEP_1)
	v_lshrrev_b64 v[2:3], v2, v[0:1]
; %bb.9344:                             ;   in Loop: Header=BB6_8449 Depth=2
	s_and_not1_saveexec_b32 s7, s7
; %bb.9345:                             ;   in Loop: Header=BB6_8449 Depth=2
	v_mov_b64_e32 v[2:3], v[0:1]
	v_bfe_u32 v4, v0, 23, 1
; %bb.9346:                             ;   in Loop: Header=BB6_8449 Depth=2
	s_or_b32 exec_lo, exec_lo, s7
	s_delay_alu instid0(VALU_DEP_2) | instskip(NEXT) | instid1(VALU_DEP_2)
	v_lshrrev_b64 v[2:3], 21, v[2:3]
	v_cmp_gt_i32_e32 vcc_lo, 32, v4
	v_min_i32_e32 v0, 31, v4
	v_cmp_eq_u32_e64 s7, 0, v4
	s_delay_alu instid0(VALU_DEP_2) | instskip(SKIP_1) | instid1(VALU_DEP_2)
	v_dual_cndmask_b32 v3, 0, v3 :: v_dual_lshlrev_b32 v0, 2, v0
	v_cndmask_b32_e32 v2, 3, v2, vcc_lo
	v_and_b32_e32 v0, 0xfc, v0
	s_delay_alu instid0(VALU_DEP_2) | instskip(NEXT) | instid1(VALU_DEP_2)
	v_cmp_eq_u64_e32 vcc_lo, 0, v[2:3]
	v_and_or_b32 v0, v2, 3, v0
	s_and_b32 s7, s7, vcc_lo
	s_delay_alu instid0(VALU_DEP_1) | instid1(SALU_CYCLE_1)
	v_cndmask_b32_e64 v0, v0, 0, s7
	s_delay_alu instid0(VALU_DEP_1)
	v_or_b32_e32 v114, v0, v8
.LBB6_9347:                             ;   in Loop: Header=BB6_8449 Depth=2
	s_or_b32 exec_lo, exec_lo, s41
                                        ; implicit-def: $vgpr8
.LBB6_9348:                             ;   in Loop: Header=BB6_8449 Depth=2
	s_and_not1_saveexec_b32 s7, s40
; %bb.9349:                             ;   in Loop: Header=BB6_8449 Depth=2
	v_or_b32_e32 v114, 0x7b, v8
; %bb.9350:                             ;   in Loop: Header=BB6_8449 Depth=2
	s_or_b32 exec_lo, exec_lo, s7
                                        ; implicit-def: $vgpr2
                                        ; implicit-def: $vgpr3
.LBB6_9351:                             ;   in Loop: Header=BB6_8449 Depth=2
	s_and_not1_saveexec_b32 s7, s29
	s_cbranch_execz .LBB6_9357
; %bb.9352:                             ;   in Loop: Header=BB6_8449 Depth=2
	s_mov_b32 s29, exec_lo
                                        ; implicit-def: $vgpr114
	v_cmpx_ne_u64_e32 0, v[0:1]
	s_xor_b32 s29, exec_lo, s29
; %bb.9353:                             ;   in Loop: Header=BB6_8449 Depth=2
	v_or_b32_e32 v114, 0x7f, v3
                                        ; implicit-def: $vgpr2
; %bb.9354:                             ;   in Loop: Header=BB6_8449 Depth=2
	s_and_not1_saveexec_b32 s29, s29
; %bb.9355:                             ;   in Loop: Header=BB6_8449 Depth=2
	v_cmp_lt_i32_e32 vcc_lo, -1, v2
	v_mov_b32_e32 v0, 0x7c
	s_delay_alu instid0(VALU_DEP_1)
	v_cndmask_b32_e32 v114, 0xfc, v0, vcc_lo
; %bb.9356:                             ;   in Loop: Header=BB6_8449 Depth=2
	s_or_b32 exec_lo, exec_lo, s29
.LBB6_9357:                             ;   in Loop: Header=BB6_8449 Depth=2
	s_delay_alu instid0(SALU_CYCLE_1) | instskip(SKIP_2) | instid1(VALU_DEP_1)
	s_or_b32 exec_lo, exec_lo, s7
	v_dual_mov_b32 v3, 0 :: v_dual_lshrrev_b32 v0, 16, v13
	s_mov_b32 s7, exec_lo
	v_and_b32_e32 v2, 0xff, v0
	s_delay_alu instid0(VALU_DEP_1)
	v_cmpx_ne_u16_e32 0, v2
	s_cbranch_execz .LBB6_9367
; %bb.9358:                             ;   in Loop: Header=BB6_8449 Depth=2
	v_bfrev_b32_e32 v3, 1
	s_mov_b32 s29, exec_lo
	v_cmpx_ne_u16_e32 0x80, v2
	s_cbranch_execz .LBB6_9366
; %bb.9359:                             ;   in Loop: Header=BB6_8449 Depth=2
	v_and_b32_e32 v3, 0x7c0000, v13
	v_bfe_u32 v2, v13, 16, 2
	s_delay_alu instid0(VALU_DEP_2) | instskip(SKIP_1) | instid1(SALU_CYCLE_1)
	v_cmp_ne_u32_e32 vcc_lo, 0x7c0000, v3
                                        ; implicit-def: $vgpr3
	s_and_saveexec_b32 s40, vcc_lo
	s_xor_b32 s40, exec_lo, s40
	s_cbranch_execz .LBB6_9363
; %bb.9360:                             ;   in Loop: Header=BB6_8449 Depth=2
	v_bfe_u32 v3, v13, 18, 5
	s_mov_b32 s41, exec_lo
	s_delay_alu instid0(VALU_DEP_1)
	v_cmpx_eq_u32_e32 0, v3
; %bb.9361:                             ;   in Loop: Header=BB6_8449 Depth=2
	v_clz_i32_u32_e32 v2, v2
	s_delay_alu instid0(VALU_DEP_1) | instskip(NEXT) | instid1(VALU_DEP_1)
	v_min_u32_e32 v4, 32, v2
	v_subrev_nc_u32_e32 v2, 29, v4
	s_delay_alu instid0(VALU_DEP_1) | instskip(NEXT) | instid1(VALU_DEP_1)
	v_lshlrev_b64_e32 v[2:3], v2, v[0:1]
	v_dual_sub_nc_u32 v3, 30, v4 :: v_dual_bitop2_b32 v2, 3, v2 bitop3:0x40
; %bb.9362:                             ;   in Loop: Header=BB6_8449 Depth=2
	s_or_b32 exec_lo, exec_lo, s41
	v_lshlrev_b32_e32 v0, 24, v0
	s_delay_alu instid0(VALU_DEP_1) | instskip(NEXT) | instid1(VALU_DEP_1)
	v_and_b32_e32 v0, 0x80000000, v0
	v_lshl_add_u32 v0, v3, 23, v0
	s_delay_alu instid0(VALU_DEP_1) | instskip(NEXT) | instid1(VALU_DEP_1)
	v_lshl_or_b32 v0, v2, 21, v0
                                        ; implicit-def: $vgpr2
	v_add_nc_u32_e32 v3, 0x38000000, v0
                                        ; implicit-def: $vgpr0
.LBB6_9363:                             ;   in Loop: Header=BB6_8449 Depth=2
	s_and_not1_saveexec_b32 s40, s40
; %bb.9364:                             ;   in Loop: Header=BB6_8449 Depth=2
	v_bfe_i32 v0, v0, 0, 8
	s_delay_alu instid0(VALU_DEP_1) | instskip(SKIP_1) | instid1(VALU_DEP_1)
	v_cmp_lt_i16_e32 vcc_lo, -1, v0
	v_mov_b32_e32 v0, 0x7f800000
	v_cndmask_b32_e32 v0, 0xff800000, v0, vcc_lo
	v_cmp_eq_u32_e32 vcc_lo, 0, v2
	s_delay_alu instid0(VALU_DEP_2)
	v_cndmask_b32_e32 v3, 0x7f800001, v0, vcc_lo
; %bb.9365:                             ;   in Loop: Header=BB6_8449 Depth=2
	s_or_b32 exec_lo, exec_lo, s40
.LBB6_9366:                             ;   in Loop: Header=BB6_8449 Depth=2
	s_delay_alu instid0(SALU_CYCLE_1)
	s_or_b32 exec_lo, exec_lo, s29
.LBB6_9367:                             ;   in Loop: Header=BB6_8449 Depth=2
	s_delay_alu instid0(SALU_CYCLE_1) | instskip(NEXT) | instid1(VALU_DEP_1)
	s_or_b32 exec_lo, exec_lo, s7
	v_dual_mul_f32 v2, s28, v3 :: v_dual_mov_b32 v5, v1
                                        ; implicit-def: $vgpr117
	s_mov_b32 s7, exec_lo
	s_delay_alu instid0(VALU_DEP_1) | instskip(SKIP_2) | instid1(VALU_DEP_3)
	v_and_b32_e32 v4, 0x7f800000, v2
	v_and_b32_e32 v0, 0x7fffff, v2
	v_lshrrev_b32_e32 v3, 24, v2
	v_cmpx_ne_u64_e32 0x7f800000, v[4:5]
	s_xor_b32 s29, exec_lo, s7
	s_cbranch_execz .LBB6_9381
; %bb.9368:                             ;   in Loop: Header=BB6_8449 Depth=2
	v_and_b32_e32 v4, 0x7fffffff, v2
	v_mov_b32_e32 v5, v1
	v_and_b32_e32 v8, 0x80, v3
                                        ; implicit-def: $vgpr117
	s_mov_b32 s7, exec_lo
	s_delay_alu instid0(VALU_DEP_2)
	v_cmpx_gt_u64_e32 0x47600001, v[4:5]
	s_xor_b32 s40, exec_lo, s7
	s_cbranch_execz .LBB6_9378
; %bb.9369:                             ;   in Loop: Header=BB6_8449 Depth=2
	v_mov_b32_e32 v117, 0
	s_mov_b32 s41, exec_lo
	v_cmpx_ne_u32_e32 0, v2
	s_cbranch_execz .LBB6_9377
; %bb.9370:                             ;   in Loop: Header=BB6_8449 Depth=2
	v_bfe_u32 v10, v2, 23, 8
	v_or_b32_e32 v4, 0x800000, v0
	s_mov_b32 s42, exec_lo
	s_delay_alu instid0(VALU_DEP_2) | instskip(SKIP_1) | instid1(VALU_DEP_2)
	v_dual_mov_b32 v5, v1 :: v_dual_sub_nc_u32 v2, 0x71, v10
	v_cmp_gt_u32_e32 vcc_lo, 0x72, v10
	v_cndmask_b32_e32 v2, 0, v2, vcc_lo
	v_cmp_eq_u32_e32 vcc_lo, 0, v10
	s_delay_alu instid0(VALU_DEP_2) | instskip(NEXT) | instid1(VALU_DEP_1)
	v_cndmask_b32_e64 v11, v2, 0x70, vcc_lo
	v_dual_cndmask_b32 v4, v4, v0, vcc_lo :: v_dual_add_nc_u32 v2, 21, v11
	v_add_nc_u32_e32 v14, 20, v11
	s_delay_alu instid0(VALU_DEP_2) | instskip(NEXT) | instid1(VALU_DEP_2)
	v_lshlrev_b64_e64 v[2:3], v2, -1
	v_lshlrev_b64_e64 v[14:15], v14, 1
	s_delay_alu instid0(VALU_DEP_2) | instskip(NEXT) | instid1(VALU_DEP_3)
	v_bfi_b32 v17, v3, 0, 0
	v_bfi_b32 v16, v2, 0, v4
	v_lshrrev_b64 v[2:3], v11, v[4:5]
	s_delay_alu instid0(VALU_DEP_1) | instskip(NEXT) | instid1(VALU_DEP_3)
	v_mov_b64_e32 v[4:5], v[2:3]
	v_cmpx_eq_u64_e64 v[16:17], v[14:15]
; %bb.9371:                             ;   in Loop: Header=BB6_8449 Depth=2
	v_bfe_u32 v4, v2, 21, 1
	v_mov_b32_e32 v5, v1
	s_delay_alu instid0(VALU_DEP_1) | instskip(NEXT) | instid1(VALU_DEP_1)
	v_add_nc_u64_e32 v[4:5], v[2:3], v[4:5]
	v_add_nc_u64_e32 v[4:5], -1, v[4:5]
; %bb.9372:                             ;   in Loop: Header=BB6_8449 Depth=2
	s_or_b32 exec_lo, exec_lo, s42
	v_add_nc_u32_e32 v0, 0xffffff81, v10
	v_lshrrev_b32_e32 v3, 23, v2
	s_mov_b32 s7, exec_lo
	s_delay_alu instid0(VALU_DEP_2) | instskip(NEXT) | instid1(VALU_DEP_1)
	v_cndmask_b32_e64 v0, v0, 0xffffff82, vcc_lo
	v_add3_u32 v5, v11, v0, v3
	v_and_b32_e32 v0, 0x1fffff, v4
                                        ; implicit-def: $vgpr4
	s_delay_alu instid0(VALU_DEP_1) | instskip(NEXT) | instid1(VALU_DEP_1)
	v_dual_add_nc_u32 v10, 14, v5 :: v_dual_add_nc_u32 v0, v0, v2
                                        ; implicit-def: $vgpr2_vgpr3
	v_cmpx_ne_u32_e32 0, v10
	s_xor_b32 s7, exec_lo, s7
; %bb.9373:                             ;   in Loop: Header=BB6_8449 Depth=2
	s_delay_alu instid0(VALU_DEP_2) | instskip(SKIP_1) | instid1(VALU_DEP_1)
	v_cmp_lt_u64_e32 vcc_lo, 0xffffff, v[0:1]
	v_add_nc_u32_e32 v2, 15, v5
	v_cndmask_b32_e32 v4, v10, v2, vcc_lo
	v_cndmask_b32_e64 v2, 0, 1, vcc_lo
	s_delay_alu instid0(VALU_DEP_1)
	v_lshrrev_b64 v[2:3], v2, v[0:1]
; %bb.9374:                             ;   in Loop: Header=BB6_8449 Depth=2
	s_and_not1_saveexec_b32 s7, s7
; %bb.9375:                             ;   in Loop: Header=BB6_8449 Depth=2
	v_mov_b64_e32 v[2:3], v[0:1]
	v_bfe_u32 v4, v0, 23, 1
; %bb.9376:                             ;   in Loop: Header=BB6_8449 Depth=2
	s_or_b32 exec_lo, exec_lo, s7
	s_delay_alu instid0(VALU_DEP_2) | instskip(NEXT) | instid1(VALU_DEP_2)
	v_lshrrev_b64 v[2:3], 21, v[2:3]
	v_cmp_gt_i32_e32 vcc_lo, 32, v4
	v_min_i32_e32 v0, 31, v4
	v_cmp_eq_u32_e64 s7, 0, v4
	s_delay_alu instid0(VALU_DEP_2) | instskip(SKIP_1) | instid1(VALU_DEP_2)
	v_dual_cndmask_b32 v3, 0, v3 :: v_dual_lshlrev_b32 v0, 2, v0
	v_cndmask_b32_e32 v2, 3, v2, vcc_lo
	v_and_b32_e32 v0, 0xfc, v0
	s_delay_alu instid0(VALU_DEP_2) | instskip(NEXT) | instid1(VALU_DEP_2)
	v_cmp_eq_u64_e32 vcc_lo, 0, v[2:3]
	v_and_or_b32 v0, v2, 3, v0
	s_and_b32 s7, s7, vcc_lo
	s_delay_alu instid0(VALU_DEP_1) | instid1(SALU_CYCLE_1)
	v_cndmask_b32_e64 v0, v0, 0, s7
	s_delay_alu instid0(VALU_DEP_1)
	v_or_b32_e32 v117, v0, v8
.LBB6_9377:                             ;   in Loop: Header=BB6_8449 Depth=2
	s_or_b32 exec_lo, exec_lo, s41
                                        ; implicit-def: $vgpr8
.LBB6_9378:                             ;   in Loop: Header=BB6_8449 Depth=2
	s_and_not1_saveexec_b32 s7, s40
; %bb.9379:                             ;   in Loop: Header=BB6_8449 Depth=2
	v_or_b32_e32 v117, 0x7b, v8
; %bb.9380:                             ;   in Loop: Header=BB6_8449 Depth=2
	s_or_b32 exec_lo, exec_lo, s7
                                        ; implicit-def: $vgpr2
                                        ; implicit-def: $vgpr3
.LBB6_9381:                             ;   in Loop: Header=BB6_8449 Depth=2
	s_and_not1_saveexec_b32 s7, s29
	s_cbranch_execz .LBB6_9387
; %bb.9382:                             ;   in Loop: Header=BB6_8449 Depth=2
	s_mov_b32 s29, exec_lo
                                        ; implicit-def: $vgpr117
	v_cmpx_ne_u64_e32 0, v[0:1]
	s_xor_b32 s29, exec_lo, s29
; %bb.9383:                             ;   in Loop: Header=BB6_8449 Depth=2
	v_or_b32_e32 v117, 0x7f, v3
                                        ; implicit-def: $vgpr2
; %bb.9384:                             ;   in Loop: Header=BB6_8449 Depth=2
	s_and_not1_saveexec_b32 s29, s29
; %bb.9385:                             ;   in Loop: Header=BB6_8449 Depth=2
	v_cmp_lt_i32_e32 vcc_lo, -1, v2
	v_mov_b32_e32 v0, 0x7c
	s_delay_alu instid0(VALU_DEP_1)
	v_cndmask_b32_e32 v117, 0xfc, v0, vcc_lo
; %bb.9386:                             ;   in Loop: Header=BB6_8449 Depth=2
	s_or_b32 exec_lo, exec_lo, s29
.LBB6_9387:                             ;   in Loop: Header=BB6_8449 Depth=2
	s_delay_alu instid0(SALU_CYCLE_1)
	s_or_b32 exec_lo, exec_lo, s7
	v_mov_b32_e32 v2, 0
	s_mov_b32 s7, exec_lo
	v_cmpx_lt_u64_e64 s[12:13], v[12:13]
	s_cbranch_execz .LBB6_9397
; %bb.9388:                             ;   in Loop: Header=BB6_8449 Depth=2
	v_lshrrev_b32_e32 v0, 24, v13
	v_bfrev_b32_e32 v2, 1
	s_mov_b32 s29, exec_lo
	s_delay_alu instid0(VALU_DEP_2)
	v_cmpx_ne_u32_e32 0x80, v0
	s_cbranch_execz .LBB6_9396
; %bb.9389:                             ;   in Loop: Header=BB6_8449 Depth=2
	v_and_b32_e32 v2, 0x7c000000, v13
	v_bfe_u32 v3, v13, 24, 2
	s_delay_alu instid0(VALU_DEP_2) | instskip(SKIP_1) | instid1(SALU_CYCLE_1)
	v_cmp_ne_u32_e32 vcc_lo, 0x7c000000, v2
                                        ; implicit-def: $vgpr2
	s_and_saveexec_b32 s40, vcc_lo
	s_xor_b32 s40, exec_lo, s40
	s_cbranch_execz .LBB6_9393
; %bb.9390:                             ;   in Loop: Header=BB6_8449 Depth=2
	v_bfe_u32 v2, v13, 26, 5
	s_mov_b32 s41, exec_lo
	s_delay_alu instid0(VALU_DEP_1)
	v_cmpx_eq_u32_e32 0, v2
; %bb.9391:                             ;   in Loop: Header=BB6_8449 Depth=2
	v_clz_i32_u32_e32 v2, v3
	s_delay_alu instid0(VALU_DEP_1) | instskip(NEXT) | instid1(VALU_DEP_1)
	v_min_u32_e32 v2, 32, v2
	v_subrev_nc_u32_e32 v3, 29, v2
	s_delay_alu instid0(VALU_DEP_1) | instskip(NEXT) | instid1(VALU_DEP_1)
	v_lshlrev_b64_e32 v[4:5], v3, v[0:1]
	v_dual_sub_nc_u32 v2, 30, v2 :: v_dual_bitop2_b32 v3, 3, v4 bitop3:0x40
; %bb.9392:                             ;   in Loop: Header=BB6_8449 Depth=2
	s_or_b32 exec_lo, exec_lo, s41
	v_and_b32_e32 v0, 0x80000000, v13
                                        ; implicit-def: $vgpr12_vgpr13
	s_delay_alu instid0(VALU_DEP_1) | instskip(NEXT) | instid1(VALU_DEP_1)
	v_lshl_add_u32 v0, v2, 23, v0
	v_lshl_or_b32 v0, v3, 21, v0
                                        ; implicit-def: $vgpr3
	s_delay_alu instid0(VALU_DEP_1)
	v_add_nc_u32_e32 v2, 0x38000000, v0
.LBB6_9393:                             ;   in Loop: Header=BB6_8449 Depth=2
	s_and_not1_saveexec_b32 s40, s40
; %bb.9394:                             ;   in Loop: Header=BB6_8449 Depth=2
	v_cmp_lt_i64_e32 vcc_lo, -1, v[12:13]
	v_mov_b32_e32 v0, 0x7f800000
	s_delay_alu instid0(VALU_DEP_1) | instskip(SKIP_1) | instid1(VALU_DEP_2)
	v_cndmask_b32_e32 v0, 0xff800000, v0, vcc_lo
	v_cmp_eq_u32_e32 vcc_lo, 0, v3
	v_cndmask_b32_e32 v2, 0x7f800001, v0, vcc_lo
; %bb.9395:                             ;   in Loop: Header=BB6_8449 Depth=2
	s_or_b32 exec_lo, exec_lo, s40
.LBB6_9396:                             ;   in Loop: Header=BB6_8449 Depth=2
	s_delay_alu instid0(SALU_CYCLE_1)
	s_or_b32 exec_lo, exec_lo, s29
.LBB6_9397:                             ;   in Loop: Header=BB6_8449 Depth=2
	s_delay_alu instid0(SALU_CYCLE_1) | instskip(NEXT) | instid1(VALU_DEP_1)
	s_or_b32 exec_lo, exec_lo, s7
	v_dual_mul_f32 v2, s28, v2 :: v_dual_mov_b32 v5, v1
                                        ; implicit-def: $vgpr40
	s_mov_b32 s7, exec_lo
	s_delay_alu instid0(VALU_DEP_1) | instskip(SKIP_2) | instid1(VALU_DEP_3)
	v_and_b32_e32 v4, 0x7f800000, v2
	v_and_b32_e32 v0, 0x7fffff, v2
	v_lshrrev_b32_e32 v3, 24, v2
	v_cmpx_ne_u64_e32 0x7f800000, v[4:5]
	s_xor_b32 s29, exec_lo, s7
	s_cbranch_execz .LBB6_9411
; %bb.9398:                             ;   in Loop: Header=BB6_8449 Depth=2
	v_and_b32_e32 v4, 0x7fffffff, v2
	v_mov_b32_e32 v5, v1
	v_and_b32_e32 v8, 0x80, v3
                                        ; implicit-def: $vgpr40
	s_mov_b32 s7, exec_lo
	s_delay_alu instid0(VALU_DEP_2)
	v_cmpx_gt_u64_e32 0x47600001, v[4:5]
	s_xor_b32 s40, exec_lo, s7
	s_cbranch_execz .LBB6_9408
; %bb.9399:                             ;   in Loop: Header=BB6_8449 Depth=2
	v_mov_b32_e32 v40, 0
	s_mov_b32 s41, exec_lo
	v_cmpx_ne_u32_e32 0, v2
	s_cbranch_execz .LBB6_9407
; %bb.9400:                             ;   in Loop: Header=BB6_8449 Depth=2
	v_bfe_u32 v10, v2, 23, 8
	v_or_b32_e32 v4, 0x800000, v0
	s_mov_b32 s42, exec_lo
	s_delay_alu instid0(VALU_DEP_2) | instskip(SKIP_1) | instid1(VALU_DEP_2)
	v_dual_mov_b32 v5, v1 :: v_dual_sub_nc_u32 v2, 0x71, v10
	v_cmp_gt_u32_e32 vcc_lo, 0x72, v10
	v_cndmask_b32_e32 v2, 0, v2, vcc_lo
	v_cmp_eq_u32_e32 vcc_lo, 0, v10
	s_delay_alu instid0(VALU_DEP_2) | instskip(NEXT) | instid1(VALU_DEP_1)
	v_cndmask_b32_e64 v11, v2, 0x70, vcc_lo
	v_dual_cndmask_b32 v4, v4, v0, vcc_lo :: v_dual_add_nc_u32 v2, 21, v11
	v_add_nc_u32_e32 v12, 20, v11
	s_delay_alu instid0(VALU_DEP_2) | instskip(NEXT) | instid1(VALU_DEP_2)
	v_lshlrev_b64_e64 v[2:3], v2, -1
	v_lshlrev_b64_e64 v[12:13], v12, 1
	s_delay_alu instid0(VALU_DEP_2) | instskip(NEXT) | instid1(VALU_DEP_3)
	v_bfi_b32 v15, v3, 0, 0
	v_bfi_b32 v14, v2, 0, v4
	v_lshrrev_b64 v[2:3], v11, v[4:5]
	s_delay_alu instid0(VALU_DEP_1) | instskip(NEXT) | instid1(VALU_DEP_3)
	v_mov_b64_e32 v[4:5], v[2:3]
	v_cmpx_eq_u64_e64 v[14:15], v[12:13]
; %bb.9401:                             ;   in Loop: Header=BB6_8449 Depth=2
	v_bfe_u32 v4, v2, 21, 1
	v_mov_b32_e32 v5, v1
	s_delay_alu instid0(VALU_DEP_1) | instskip(NEXT) | instid1(VALU_DEP_1)
	v_add_nc_u64_e32 v[4:5], v[2:3], v[4:5]
	v_add_nc_u64_e32 v[4:5], -1, v[4:5]
; %bb.9402:                             ;   in Loop: Header=BB6_8449 Depth=2
	s_or_b32 exec_lo, exec_lo, s42
	v_add_nc_u32_e32 v0, 0xffffff81, v10
	v_lshrrev_b32_e32 v3, 23, v2
	s_mov_b32 s7, exec_lo
	s_delay_alu instid0(VALU_DEP_2) | instskip(NEXT) | instid1(VALU_DEP_1)
	v_cndmask_b32_e64 v0, v0, 0xffffff82, vcc_lo
	v_add3_u32 v5, v11, v0, v3
	v_and_b32_e32 v0, 0x1fffff, v4
                                        ; implicit-def: $vgpr4
	s_delay_alu instid0(VALU_DEP_1) | instskip(NEXT) | instid1(VALU_DEP_1)
	v_dual_add_nc_u32 v10, 14, v5 :: v_dual_add_nc_u32 v0, v0, v2
                                        ; implicit-def: $vgpr2_vgpr3
	v_cmpx_ne_u32_e32 0, v10
	s_xor_b32 s7, exec_lo, s7
; %bb.9403:                             ;   in Loop: Header=BB6_8449 Depth=2
	s_delay_alu instid0(VALU_DEP_2) | instskip(SKIP_1) | instid1(VALU_DEP_1)
	v_cmp_lt_u64_e32 vcc_lo, 0xffffff, v[0:1]
	v_add_nc_u32_e32 v2, 15, v5
	v_cndmask_b32_e32 v4, v10, v2, vcc_lo
	v_cndmask_b32_e64 v2, 0, 1, vcc_lo
	s_delay_alu instid0(VALU_DEP_1)
	v_lshrrev_b64 v[2:3], v2, v[0:1]
; %bb.9404:                             ;   in Loop: Header=BB6_8449 Depth=2
	s_and_not1_saveexec_b32 s7, s7
; %bb.9405:                             ;   in Loop: Header=BB6_8449 Depth=2
	v_mov_b64_e32 v[2:3], v[0:1]
	v_bfe_u32 v4, v0, 23, 1
; %bb.9406:                             ;   in Loop: Header=BB6_8449 Depth=2
	s_or_b32 exec_lo, exec_lo, s7
	s_delay_alu instid0(VALU_DEP_2) | instskip(NEXT) | instid1(VALU_DEP_2)
	v_lshrrev_b64 v[2:3], 21, v[2:3]
	v_cmp_gt_i32_e32 vcc_lo, 32, v4
	v_min_i32_e32 v0, 31, v4
	v_cmp_eq_u32_e64 s7, 0, v4
	s_delay_alu instid0(VALU_DEP_2) | instskip(SKIP_1) | instid1(VALU_DEP_2)
	v_dual_cndmask_b32 v3, 0, v3 :: v_dual_lshlrev_b32 v0, 2, v0
	v_cndmask_b32_e32 v2, 3, v2, vcc_lo
	v_and_b32_e32 v0, 0xfc, v0
	s_delay_alu instid0(VALU_DEP_2) | instskip(NEXT) | instid1(VALU_DEP_2)
	v_cmp_eq_u64_e32 vcc_lo, 0, v[2:3]
	v_and_or_b32 v0, v2, 3, v0
	s_and_b32 s7, s7, vcc_lo
	s_delay_alu instid0(VALU_DEP_1) | instid1(SALU_CYCLE_1)
	v_cndmask_b32_e64 v0, v0, 0, s7
	s_delay_alu instid0(VALU_DEP_1)
	v_or_b32_e32 v40, v0, v8
.LBB6_9407:                             ;   in Loop: Header=BB6_8449 Depth=2
	s_or_b32 exec_lo, exec_lo, s41
                                        ; implicit-def: $vgpr8
.LBB6_9408:                             ;   in Loop: Header=BB6_8449 Depth=2
	s_and_not1_saveexec_b32 s7, s40
; %bb.9409:                             ;   in Loop: Header=BB6_8449 Depth=2
	v_or_b32_e32 v40, 0x7b, v8
; %bb.9410:                             ;   in Loop: Header=BB6_8449 Depth=2
	s_or_b32 exec_lo, exec_lo, s7
                                        ; implicit-def: $vgpr2
                                        ; implicit-def: $vgpr3
.LBB6_9411:                             ;   in Loop: Header=BB6_8449 Depth=2
	s_and_not1_saveexec_b32 s7, s29
	s_cbranch_execz .LBB6_9417
; %bb.9412:                             ;   in Loop: Header=BB6_8449 Depth=2
	s_mov_b32 s29, exec_lo
                                        ; implicit-def: $vgpr40
	v_cmpx_ne_u64_e32 0, v[0:1]
	s_xor_b32 s29, exec_lo, s29
; %bb.9413:                             ;   in Loop: Header=BB6_8449 Depth=2
	v_or_b32_e32 v40, 0x7f, v3
                                        ; implicit-def: $vgpr2
; %bb.9414:                             ;   in Loop: Header=BB6_8449 Depth=2
	s_and_not1_saveexec_b32 s29, s29
; %bb.9415:                             ;   in Loop: Header=BB6_8449 Depth=2
	v_cmp_lt_i32_e32 vcc_lo, -1, v2
	v_mov_b32_e32 v0, 0x7c
	s_delay_alu instid0(VALU_DEP_1)
	v_cndmask_b32_e32 v40, 0xfc, v0, vcc_lo
; %bb.9416:                             ;   in Loop: Header=BB6_8449 Depth=2
	s_or_b32 exec_lo, exec_lo, s29
.LBB6_9417:                             ;   in Loop: Header=BB6_8449 Depth=2
	s_delay_alu instid0(SALU_CYCLE_1) | instskip(SKIP_3) | instid1(VALU_DEP_1)
	s_or_b32 exec_lo, exec_lo, s7
	global_load_b128 v[10:13], v[98:99], off offset:1024 th:TH_LOAD_NT
	s_wait_loadcnt 0x0
	v_and_b32_e32 v0, 0xff, v10
	v_cmp_ne_u16_e32 vcc_lo, 0, v0
	v_mov_b32_e32 v0, 0
	s_wait_xcnt 0x0
	s_and_saveexec_b32 s7, vcc_lo
	s_cbranch_execz .LBB6_9427
; %bb.9418:                             ;   in Loop: Header=BB6_8449 Depth=2
	v_bfe_i32 v3, v10, 0, 8
	v_bfrev_b32_e32 v0, 1
	s_mov_b32 s29, exec_lo
	s_delay_alu instid0(VALU_DEP_2)
	v_cmpx_ne_u16_e32 0xff80, v3
	s_cbranch_execz .LBB6_9426
; %bb.9419:                             ;   in Loop: Header=BB6_8449 Depth=2
	v_and_b32_e32 v0, 0x7c, v10
	v_and_b32_e32 v2, 3, v10
	s_delay_alu instid0(VALU_DEP_2) | instskip(SKIP_1) | instid1(SALU_CYCLE_1)
	v_cmp_ne_u32_e32 vcc_lo, 0x7c, v0
                                        ; implicit-def: $vgpr0
	s_and_saveexec_b32 s40, vcc_lo
	s_xor_b32 s40, exec_lo, s40
	s_cbranch_execz .LBB6_9423
; %bb.9420:                             ;   in Loop: Header=BB6_8449 Depth=2
	v_bfe_u32 v0, v10, 2, 5
	s_mov_b32 s41, exec_lo
	s_delay_alu instid0(VALU_DEP_1)
	v_cmpx_eq_u32_e32 0, v0
; %bb.9421:                             ;   in Loop: Header=BB6_8449 Depth=2
	v_clz_i32_u32_e32 v0, v2
	s_delay_alu instid0(VALU_DEP_1) | instskip(NEXT) | instid1(VALU_DEP_1)
	v_min_u32_e32 v0, 32, v0
	v_subrev_nc_u32_e32 v2, 29, v0
	s_delay_alu instid0(VALU_DEP_1) | instskip(NEXT) | instid1(VALU_DEP_1)
	v_lshlrev_b64_e32 v[2:3], v2, v[10:11]
	v_dual_sub_nc_u32 v0, 30, v0 :: v_dual_bitop2_b32 v2, 3, v2 bitop3:0x40
; %bb.9422:                             ;   in Loop: Header=BB6_8449 Depth=2
	s_or_b32 exec_lo, exec_lo, s41
	v_lshlrev_b32_e32 v3, 24, v10
	s_delay_alu instid0(VALU_DEP_1) | instskip(NEXT) | instid1(VALU_DEP_1)
	v_and_b32_e32 v3, 0x80000000, v3
	v_lshl_add_u32 v0, v0, 23, v3
                                        ; implicit-def: $vgpr3
	s_delay_alu instid0(VALU_DEP_1) | instskip(NEXT) | instid1(VALU_DEP_1)
	v_lshl_or_b32 v0, v2, 21, v0
                                        ; implicit-def: $vgpr2
	v_add_nc_u32_e32 v0, 0x38000000, v0
.LBB6_9423:                             ;   in Loop: Header=BB6_8449 Depth=2
	s_and_not1_saveexec_b32 s40, s40
; %bb.9424:                             ;   in Loop: Header=BB6_8449 Depth=2
	v_cmp_lt_i16_e32 vcc_lo, -1, v3
	v_mov_b32_e32 v0, 0x7f800000
	s_delay_alu instid0(VALU_DEP_1) | instskip(SKIP_1) | instid1(VALU_DEP_2)
	v_cndmask_b32_e32 v0, 0xff800000, v0, vcc_lo
	v_cmp_eq_u32_e32 vcc_lo, 0, v2
	v_cndmask_b32_e32 v0, 0x7f800001, v0, vcc_lo
; %bb.9425:                             ;   in Loop: Header=BB6_8449 Depth=2
	s_or_b32 exec_lo, exec_lo, s40
.LBB6_9426:                             ;   in Loop: Header=BB6_8449 Depth=2
	s_delay_alu instid0(SALU_CYCLE_1)
	s_or_b32 exec_lo, exec_lo, s29
.LBB6_9427:                             ;   in Loop: Header=BB6_8449 Depth=2
	s_delay_alu instid0(SALU_CYCLE_1) | instskip(NEXT) | instid1(VALU_DEP_1)
	s_or_b32 exec_lo, exec_lo, s7
	v_dual_mul_f32 v2, s28, v0 :: v_dual_mov_b32 v5, v1
                                        ; implicit-def: $vgpr80
	s_mov_b32 s7, exec_lo
	s_delay_alu instid0(VALU_DEP_1) | instskip(SKIP_2) | instid1(VALU_DEP_3)
	v_and_b32_e32 v4, 0x7f800000, v2
	v_and_b32_e32 v0, 0x7fffff, v2
	v_lshrrev_b32_e32 v3, 24, v2
	v_cmpx_ne_u64_e32 0x7f800000, v[4:5]
	s_xor_b32 s29, exec_lo, s7
	s_cbranch_execz .LBB6_9441
; %bb.9428:                             ;   in Loop: Header=BB6_8449 Depth=2
	v_and_b32_e32 v4, 0x7fffffff, v2
	v_mov_b32_e32 v5, v1
	v_and_b32_e32 v8, 0x80, v3
                                        ; implicit-def: $vgpr80
	s_mov_b32 s7, exec_lo
	s_delay_alu instid0(VALU_DEP_2)
	v_cmpx_gt_u64_e32 0x47600001, v[4:5]
	s_xor_b32 s40, exec_lo, s7
	s_cbranch_execz .LBB6_9438
; %bb.9429:                             ;   in Loop: Header=BB6_8449 Depth=2
	v_mov_b32_e32 v80, 0
	s_mov_b32 s41, exec_lo
	v_cmpx_ne_u32_e32 0, v2
	s_cbranch_execz .LBB6_9437
; %bb.9430:                             ;   in Loop: Header=BB6_8449 Depth=2
	v_bfe_u32 v14, v2, 23, 8
	v_or_b32_e32 v4, 0x800000, v0
	s_mov_b32 s42, exec_lo
	s_delay_alu instid0(VALU_DEP_2) | instskip(SKIP_1) | instid1(VALU_DEP_2)
	v_dual_mov_b32 v5, v1 :: v_dual_sub_nc_u32 v2, 0x71, v14
	v_cmp_gt_u32_e32 vcc_lo, 0x72, v14
	v_cndmask_b32_e32 v2, 0, v2, vcc_lo
	v_cmp_eq_u32_e32 vcc_lo, 0, v14
	s_delay_alu instid0(VALU_DEP_2) | instskip(NEXT) | instid1(VALU_DEP_1)
	v_cndmask_b32_e64 v15, v2, 0x70, vcc_lo
	v_dual_cndmask_b32 v4, v4, v0, vcc_lo :: v_dual_add_nc_u32 v2, 21, v15
	v_add_nc_u32_e32 v16, 20, v15
	s_delay_alu instid0(VALU_DEP_2) | instskip(NEXT) | instid1(VALU_DEP_2)
	v_lshlrev_b64_e64 v[2:3], v2, -1
	v_lshlrev_b64_e64 v[16:17], v16, 1
	s_delay_alu instid0(VALU_DEP_2) | instskip(NEXT) | instid1(VALU_DEP_3)
	v_bfi_b32 v19, v3, 0, 0
	v_bfi_b32 v18, v2, 0, v4
	v_lshrrev_b64 v[2:3], v15, v[4:5]
	s_delay_alu instid0(VALU_DEP_1) | instskip(NEXT) | instid1(VALU_DEP_3)
	v_mov_b64_e32 v[4:5], v[2:3]
	v_cmpx_eq_u64_e64 v[18:19], v[16:17]
; %bb.9431:                             ;   in Loop: Header=BB6_8449 Depth=2
	v_bfe_u32 v4, v2, 21, 1
	v_mov_b32_e32 v5, v1
	s_delay_alu instid0(VALU_DEP_1) | instskip(NEXT) | instid1(VALU_DEP_1)
	v_add_nc_u64_e32 v[4:5], v[2:3], v[4:5]
	v_add_nc_u64_e32 v[4:5], -1, v[4:5]
; %bb.9432:                             ;   in Loop: Header=BB6_8449 Depth=2
	s_or_b32 exec_lo, exec_lo, s42
	v_add_nc_u32_e32 v0, 0xffffff81, v14
	v_lshrrev_b32_e32 v3, 23, v2
	s_mov_b32 s7, exec_lo
	s_delay_alu instid0(VALU_DEP_2) | instskip(NEXT) | instid1(VALU_DEP_1)
	v_cndmask_b32_e64 v0, v0, 0xffffff82, vcc_lo
	v_add3_u32 v5, v15, v0, v3
	v_and_b32_e32 v0, 0x1fffff, v4
                                        ; implicit-def: $vgpr4
	s_delay_alu instid0(VALU_DEP_1) | instskip(NEXT) | instid1(VALU_DEP_1)
	v_dual_add_nc_u32 v14, 14, v5 :: v_dual_add_nc_u32 v0, v0, v2
                                        ; implicit-def: $vgpr2_vgpr3
	v_cmpx_ne_u32_e32 0, v14
	s_xor_b32 s7, exec_lo, s7
; %bb.9433:                             ;   in Loop: Header=BB6_8449 Depth=2
	s_delay_alu instid0(VALU_DEP_2) | instskip(SKIP_1) | instid1(VALU_DEP_1)
	v_cmp_lt_u64_e32 vcc_lo, 0xffffff, v[0:1]
	v_add_nc_u32_e32 v2, 15, v5
	v_cndmask_b32_e32 v4, v14, v2, vcc_lo
	v_cndmask_b32_e64 v2, 0, 1, vcc_lo
	s_delay_alu instid0(VALU_DEP_1)
	v_lshrrev_b64 v[2:3], v2, v[0:1]
; %bb.9434:                             ;   in Loop: Header=BB6_8449 Depth=2
	s_and_not1_saveexec_b32 s7, s7
; %bb.9435:                             ;   in Loop: Header=BB6_8449 Depth=2
	v_mov_b64_e32 v[2:3], v[0:1]
	v_bfe_u32 v4, v0, 23, 1
; %bb.9436:                             ;   in Loop: Header=BB6_8449 Depth=2
	s_or_b32 exec_lo, exec_lo, s7
	s_delay_alu instid0(VALU_DEP_2) | instskip(NEXT) | instid1(VALU_DEP_2)
	v_lshrrev_b64 v[2:3], 21, v[2:3]
	v_cmp_gt_i32_e32 vcc_lo, 32, v4
	v_min_i32_e32 v0, 31, v4
	v_cmp_eq_u32_e64 s7, 0, v4
	s_delay_alu instid0(VALU_DEP_2) | instskip(SKIP_1) | instid1(VALU_DEP_2)
	v_dual_cndmask_b32 v3, 0, v3 :: v_dual_lshlrev_b32 v0, 2, v0
	v_cndmask_b32_e32 v2, 3, v2, vcc_lo
	v_and_b32_e32 v0, 0xfc, v0
	s_delay_alu instid0(VALU_DEP_2) | instskip(NEXT) | instid1(VALU_DEP_2)
	v_cmp_eq_u64_e32 vcc_lo, 0, v[2:3]
	v_and_or_b32 v0, v2, 3, v0
	s_and_b32 s7, s7, vcc_lo
	s_delay_alu instid0(VALU_DEP_1) | instid1(SALU_CYCLE_1)
	v_cndmask_b32_e64 v0, v0, 0, s7
	s_delay_alu instid0(VALU_DEP_1)
	v_or_b32_e32 v80, v0, v8
.LBB6_9437:                             ;   in Loop: Header=BB6_8449 Depth=2
	s_or_b32 exec_lo, exec_lo, s41
                                        ; implicit-def: $vgpr8
.LBB6_9438:                             ;   in Loop: Header=BB6_8449 Depth=2
	s_and_not1_saveexec_b32 s7, s40
; %bb.9439:                             ;   in Loop: Header=BB6_8449 Depth=2
	v_or_b32_e32 v80, 0x7b, v8
; %bb.9440:                             ;   in Loop: Header=BB6_8449 Depth=2
	s_or_b32 exec_lo, exec_lo, s7
                                        ; implicit-def: $vgpr2
                                        ; implicit-def: $vgpr3
.LBB6_9441:                             ;   in Loop: Header=BB6_8449 Depth=2
	s_and_not1_saveexec_b32 s7, s29
	s_cbranch_execz .LBB6_9447
; %bb.9442:                             ;   in Loop: Header=BB6_8449 Depth=2
	s_mov_b32 s29, exec_lo
                                        ; implicit-def: $vgpr80
	v_cmpx_ne_u64_e32 0, v[0:1]
	s_xor_b32 s29, exec_lo, s29
; %bb.9443:                             ;   in Loop: Header=BB6_8449 Depth=2
	v_or_b32_e32 v80, 0x7f, v3
                                        ; implicit-def: $vgpr2
; %bb.9444:                             ;   in Loop: Header=BB6_8449 Depth=2
	s_and_not1_saveexec_b32 s29, s29
; %bb.9445:                             ;   in Loop: Header=BB6_8449 Depth=2
	v_cmp_lt_i32_e32 vcc_lo, -1, v2
	v_mov_b32_e32 v0, 0x7c
	s_delay_alu instid0(VALU_DEP_1)
	v_cndmask_b32_e32 v80, 0xfc, v0, vcc_lo
; %bb.9446:                             ;   in Loop: Header=BB6_8449 Depth=2
	s_or_b32 exec_lo, exec_lo, s29
.LBB6_9447:                             ;   in Loop: Header=BB6_8449 Depth=2
	s_delay_alu instid0(SALU_CYCLE_1) | instskip(SKIP_3) | instid1(VALU_DEP_2)
	s_or_b32 exec_lo, exec_lo, s7
	v_lshrrev_b16 v2, 8, v10
	v_mov_b32_e32 v3, 0
	s_mov_b32 s7, exec_lo
	v_cmpx_ne_u16_e32 0, v2
	s_cbranch_execz .LBB6_9457
; %bb.9448:                             ;   in Loop: Header=BB6_8449 Depth=2
	v_bfrev_b32_e32 v3, 1
	s_mov_b32 s29, exec_lo
	v_cmpx_ne_u16_e32 0x80, v2
	s_cbranch_execz .LBB6_9456
; %bb.9449:                             ;   in Loop: Header=BB6_8449 Depth=2
	v_and_b32_e32 v4, 0xffff, v2
	s_delay_alu instid0(VALU_DEP_1) | instskip(SKIP_1) | instid1(VALU_DEP_2)
	v_and_b32_e32 v3, 0x7c, v4
	v_and_b32_e32 v0, 3, v4
	v_cmp_ne_u32_e32 vcc_lo, 0x7c, v3
                                        ; implicit-def: $vgpr3
	s_and_saveexec_b32 s40, vcc_lo
	s_delay_alu instid0(SALU_CYCLE_1)
	s_xor_b32 s40, exec_lo, s40
	s_cbranch_execz .LBB6_9453
; %bb.9450:                             ;   in Loop: Header=BB6_8449 Depth=2
	v_bfe_u32 v3, v4, 2, 5
	s_mov_b32 s41, exec_lo
	s_delay_alu instid0(VALU_DEP_1)
	v_cmpx_eq_u32_e32 0, v3
; %bb.9451:                             ;   in Loop: Header=BB6_8449 Depth=2
	v_clz_i32_u32_e32 v0, v0
	v_mov_b32_e32 v3, v1
	s_delay_alu instid0(VALU_DEP_2) | instskip(NEXT) | instid1(VALU_DEP_1)
	v_min_u32_e32 v0, 32, v0
	v_subrev_nc_u32_e32 v4, 29, v0
	s_delay_alu instid0(VALU_DEP_1) | instskip(NEXT) | instid1(VALU_DEP_1)
	v_lshlrev_b64_e32 v[2:3], v4, v[2:3]
	v_dual_sub_nc_u32 v3, 30, v0 :: v_dual_bitop2_b32 v0, 3, v2 bitop3:0x40
; %bb.9452:                             ;   in Loop: Header=BB6_8449 Depth=2
	s_or_b32 exec_lo, exec_lo, s41
	v_lshlrev_b32_e32 v2, 16, v10
	s_delay_alu instid0(VALU_DEP_1) | instskip(NEXT) | instid1(VALU_DEP_1)
	v_and_b32_e32 v2, 0x80000000, v2
	v_lshl_add_u32 v2, v3, 23, v2
	s_delay_alu instid0(VALU_DEP_1) | instskip(NEXT) | instid1(VALU_DEP_1)
	v_lshl_or_b32 v0, v0, 21, v2
	v_add_nc_u32_e32 v3, 0x38000000, v0
                                        ; implicit-def: $vgpr0
.LBB6_9453:                             ;   in Loop: Header=BB6_8449 Depth=2
	s_and_not1_saveexec_b32 s40, s40
; %bb.9454:                             ;   in Loop: Header=BB6_8449 Depth=2
	v_cmp_lt_i16_e32 vcc_lo, -1, v10
	v_mov_b32_e32 v2, 0x7f800000
	s_delay_alu instid0(VALU_DEP_1) | instskip(SKIP_1) | instid1(VALU_DEP_2)
	v_cndmask_b32_e32 v2, 0xff800000, v2, vcc_lo
	v_cmp_eq_u32_e32 vcc_lo, 0, v0
	v_cndmask_b32_e32 v3, 0x7f800001, v2, vcc_lo
; %bb.9455:                             ;   in Loop: Header=BB6_8449 Depth=2
	s_or_b32 exec_lo, exec_lo, s40
.LBB6_9456:                             ;   in Loop: Header=BB6_8449 Depth=2
	s_delay_alu instid0(SALU_CYCLE_1)
	s_or_b32 exec_lo, exec_lo, s29
.LBB6_9457:                             ;   in Loop: Header=BB6_8449 Depth=2
	s_delay_alu instid0(SALU_CYCLE_1) | instskip(NEXT) | instid1(VALU_DEP_1)
	s_or_b32 exec_lo, exec_lo, s7
	v_dual_mul_f32 v2, s28, v3 :: v_dual_mov_b32 v5, v1
                                        ; implicit-def: $vgpr82
	s_mov_b32 s7, exec_lo
	s_delay_alu instid0(VALU_DEP_1) | instskip(SKIP_2) | instid1(VALU_DEP_3)
	v_and_b32_e32 v4, 0x7f800000, v2
	v_and_b32_e32 v0, 0x7fffff, v2
	v_lshrrev_b32_e32 v3, 24, v2
	v_cmpx_ne_u64_e32 0x7f800000, v[4:5]
	s_xor_b32 s29, exec_lo, s7
	s_cbranch_execz .LBB6_9471
; %bb.9458:                             ;   in Loop: Header=BB6_8449 Depth=2
	v_and_b32_e32 v4, 0x7fffffff, v2
	v_mov_b32_e32 v5, v1
	v_and_b32_e32 v8, 0x80, v3
                                        ; implicit-def: $vgpr82
	s_mov_b32 s7, exec_lo
	s_delay_alu instid0(VALU_DEP_2)
	v_cmpx_gt_u64_e32 0x47600001, v[4:5]
	s_xor_b32 s40, exec_lo, s7
	s_cbranch_execz .LBB6_9468
; %bb.9459:                             ;   in Loop: Header=BB6_8449 Depth=2
	v_mov_b32_e32 v82, 0
	s_mov_b32 s41, exec_lo
	v_cmpx_ne_u32_e32 0, v2
	s_cbranch_execz .LBB6_9467
; %bb.9460:                             ;   in Loop: Header=BB6_8449 Depth=2
	v_bfe_u32 v14, v2, 23, 8
	v_or_b32_e32 v4, 0x800000, v0
	s_mov_b32 s42, exec_lo
	s_delay_alu instid0(VALU_DEP_2) | instskip(SKIP_1) | instid1(VALU_DEP_2)
	v_dual_mov_b32 v5, v1 :: v_dual_sub_nc_u32 v2, 0x71, v14
	v_cmp_gt_u32_e32 vcc_lo, 0x72, v14
	v_cndmask_b32_e32 v2, 0, v2, vcc_lo
	v_cmp_eq_u32_e32 vcc_lo, 0, v14
	s_delay_alu instid0(VALU_DEP_2) | instskip(NEXT) | instid1(VALU_DEP_1)
	v_cndmask_b32_e64 v15, v2, 0x70, vcc_lo
	v_dual_cndmask_b32 v4, v4, v0, vcc_lo :: v_dual_add_nc_u32 v2, 21, v15
	v_add_nc_u32_e32 v16, 20, v15
	s_delay_alu instid0(VALU_DEP_2) | instskip(NEXT) | instid1(VALU_DEP_2)
	v_lshlrev_b64_e64 v[2:3], v2, -1
	v_lshlrev_b64_e64 v[16:17], v16, 1
	s_delay_alu instid0(VALU_DEP_2) | instskip(NEXT) | instid1(VALU_DEP_3)
	v_bfi_b32 v19, v3, 0, 0
	v_bfi_b32 v18, v2, 0, v4
	v_lshrrev_b64 v[2:3], v15, v[4:5]
	s_delay_alu instid0(VALU_DEP_1) | instskip(NEXT) | instid1(VALU_DEP_3)
	v_mov_b64_e32 v[4:5], v[2:3]
	v_cmpx_eq_u64_e64 v[18:19], v[16:17]
; %bb.9461:                             ;   in Loop: Header=BB6_8449 Depth=2
	v_bfe_u32 v4, v2, 21, 1
	v_mov_b32_e32 v5, v1
	s_delay_alu instid0(VALU_DEP_1) | instskip(NEXT) | instid1(VALU_DEP_1)
	v_add_nc_u64_e32 v[4:5], v[2:3], v[4:5]
	v_add_nc_u64_e32 v[4:5], -1, v[4:5]
; %bb.9462:                             ;   in Loop: Header=BB6_8449 Depth=2
	s_or_b32 exec_lo, exec_lo, s42
	v_add_nc_u32_e32 v0, 0xffffff81, v14
	v_lshrrev_b32_e32 v3, 23, v2
	s_mov_b32 s7, exec_lo
	s_delay_alu instid0(VALU_DEP_2) | instskip(NEXT) | instid1(VALU_DEP_1)
	v_cndmask_b32_e64 v0, v0, 0xffffff82, vcc_lo
	v_add3_u32 v5, v15, v0, v3
	v_and_b32_e32 v0, 0x1fffff, v4
                                        ; implicit-def: $vgpr4
	s_delay_alu instid0(VALU_DEP_1) | instskip(NEXT) | instid1(VALU_DEP_1)
	v_dual_add_nc_u32 v14, 14, v5 :: v_dual_add_nc_u32 v0, v0, v2
                                        ; implicit-def: $vgpr2_vgpr3
	v_cmpx_ne_u32_e32 0, v14
	s_xor_b32 s7, exec_lo, s7
; %bb.9463:                             ;   in Loop: Header=BB6_8449 Depth=2
	s_delay_alu instid0(VALU_DEP_2) | instskip(SKIP_1) | instid1(VALU_DEP_1)
	v_cmp_lt_u64_e32 vcc_lo, 0xffffff, v[0:1]
	v_add_nc_u32_e32 v2, 15, v5
	v_cndmask_b32_e32 v4, v14, v2, vcc_lo
	v_cndmask_b32_e64 v2, 0, 1, vcc_lo
	s_delay_alu instid0(VALU_DEP_1)
	v_lshrrev_b64 v[2:3], v2, v[0:1]
; %bb.9464:                             ;   in Loop: Header=BB6_8449 Depth=2
	s_and_not1_saveexec_b32 s7, s7
; %bb.9465:                             ;   in Loop: Header=BB6_8449 Depth=2
	v_mov_b64_e32 v[2:3], v[0:1]
	v_bfe_u32 v4, v0, 23, 1
; %bb.9466:                             ;   in Loop: Header=BB6_8449 Depth=2
	s_or_b32 exec_lo, exec_lo, s7
	s_delay_alu instid0(VALU_DEP_2) | instskip(NEXT) | instid1(VALU_DEP_2)
	v_lshrrev_b64 v[2:3], 21, v[2:3]
	v_cmp_gt_i32_e32 vcc_lo, 32, v4
	v_min_i32_e32 v0, 31, v4
	v_cmp_eq_u32_e64 s7, 0, v4
	s_delay_alu instid0(VALU_DEP_2) | instskip(SKIP_1) | instid1(VALU_DEP_2)
	v_dual_cndmask_b32 v3, 0, v3 :: v_dual_lshlrev_b32 v0, 2, v0
	v_cndmask_b32_e32 v2, 3, v2, vcc_lo
	v_and_b32_e32 v0, 0xfc, v0
	s_delay_alu instid0(VALU_DEP_2) | instskip(NEXT) | instid1(VALU_DEP_2)
	v_cmp_eq_u64_e32 vcc_lo, 0, v[2:3]
	v_and_or_b32 v0, v2, 3, v0
	s_and_b32 s7, s7, vcc_lo
	s_delay_alu instid0(VALU_DEP_1) | instid1(SALU_CYCLE_1)
	v_cndmask_b32_e64 v0, v0, 0, s7
	s_delay_alu instid0(VALU_DEP_1)
	v_or_b32_e32 v82, v0, v8
.LBB6_9467:                             ;   in Loop: Header=BB6_8449 Depth=2
	s_or_b32 exec_lo, exec_lo, s41
                                        ; implicit-def: $vgpr8
.LBB6_9468:                             ;   in Loop: Header=BB6_8449 Depth=2
	s_and_not1_saveexec_b32 s7, s40
; %bb.9469:                             ;   in Loop: Header=BB6_8449 Depth=2
	v_or_b32_e32 v82, 0x7b, v8
; %bb.9470:                             ;   in Loop: Header=BB6_8449 Depth=2
	s_or_b32 exec_lo, exec_lo, s7
                                        ; implicit-def: $vgpr2
                                        ; implicit-def: $vgpr3
.LBB6_9471:                             ;   in Loop: Header=BB6_8449 Depth=2
	s_and_not1_saveexec_b32 s7, s29
	s_cbranch_execz .LBB6_9477
; %bb.9472:                             ;   in Loop: Header=BB6_8449 Depth=2
	s_mov_b32 s29, exec_lo
                                        ; implicit-def: $vgpr82
	v_cmpx_ne_u64_e32 0, v[0:1]
	s_xor_b32 s29, exec_lo, s29
; %bb.9473:                             ;   in Loop: Header=BB6_8449 Depth=2
	v_or_b32_e32 v82, 0x7f, v3
                                        ; implicit-def: $vgpr2
; %bb.9474:                             ;   in Loop: Header=BB6_8449 Depth=2
	s_and_not1_saveexec_b32 s29, s29
; %bb.9475:                             ;   in Loop: Header=BB6_8449 Depth=2
	v_cmp_lt_i32_e32 vcc_lo, -1, v2
	v_mov_b32_e32 v0, 0x7c
	s_delay_alu instid0(VALU_DEP_1)
	v_cndmask_b32_e32 v82, 0xfc, v0, vcc_lo
; %bb.9476:                             ;   in Loop: Header=BB6_8449 Depth=2
	s_or_b32 exec_lo, exec_lo, s29
.LBB6_9477:                             ;   in Loop: Header=BB6_8449 Depth=2
	s_delay_alu instid0(SALU_CYCLE_1) | instskip(SKIP_2) | instid1(VALU_DEP_1)
	s_or_b32 exec_lo, exec_lo, s7
	v_dual_mov_b32 v3, 0 :: v_dual_lshrrev_b32 v0, 16, v10
	s_mov_b32 s7, exec_lo
	v_and_b32_e32 v2, 0xff, v0
	s_delay_alu instid0(VALU_DEP_1)
	v_cmpx_ne_u16_e32 0, v2
	s_cbranch_execz .LBB6_9487
; %bb.9478:                             ;   in Loop: Header=BB6_8449 Depth=2
	v_bfrev_b32_e32 v3, 1
	s_mov_b32 s29, exec_lo
	v_cmpx_ne_u16_e32 0x80, v2
	s_cbranch_execz .LBB6_9486
; %bb.9479:                             ;   in Loop: Header=BB6_8449 Depth=2
	v_and_b32_e32 v3, 0x7c0000, v10
	v_bfe_u32 v2, v10, 16, 2
	s_delay_alu instid0(VALU_DEP_2) | instskip(SKIP_1) | instid1(SALU_CYCLE_1)
	v_cmp_ne_u32_e32 vcc_lo, 0x7c0000, v3
                                        ; implicit-def: $vgpr3
	s_and_saveexec_b32 s40, vcc_lo
	s_xor_b32 s40, exec_lo, s40
	s_cbranch_execz .LBB6_9483
; %bb.9480:                             ;   in Loop: Header=BB6_8449 Depth=2
	v_bfe_u32 v3, v10, 18, 5
	s_mov_b32 s41, exec_lo
	s_delay_alu instid0(VALU_DEP_1)
	v_cmpx_eq_u32_e32 0, v3
; %bb.9481:                             ;   in Loop: Header=BB6_8449 Depth=2
	v_clz_i32_u32_e32 v2, v2
	s_delay_alu instid0(VALU_DEP_1) | instskip(NEXT) | instid1(VALU_DEP_1)
	v_min_u32_e32 v4, 32, v2
	v_subrev_nc_u32_e32 v2, 29, v4
	s_delay_alu instid0(VALU_DEP_1) | instskip(NEXT) | instid1(VALU_DEP_1)
	v_lshlrev_b64_e32 v[2:3], v2, v[0:1]
	v_dual_sub_nc_u32 v3, 30, v4 :: v_dual_bitop2_b32 v2, 3, v2 bitop3:0x40
; %bb.9482:                             ;   in Loop: Header=BB6_8449 Depth=2
	s_or_b32 exec_lo, exec_lo, s41
	v_lshlrev_b32_e32 v0, 24, v0
	s_delay_alu instid0(VALU_DEP_1) | instskip(NEXT) | instid1(VALU_DEP_1)
	v_and_b32_e32 v0, 0x80000000, v0
	v_lshl_add_u32 v0, v3, 23, v0
	s_delay_alu instid0(VALU_DEP_1) | instskip(NEXT) | instid1(VALU_DEP_1)
	v_lshl_or_b32 v0, v2, 21, v0
                                        ; implicit-def: $vgpr2
	v_add_nc_u32_e32 v3, 0x38000000, v0
                                        ; implicit-def: $vgpr0
.LBB6_9483:                             ;   in Loop: Header=BB6_8449 Depth=2
	s_and_not1_saveexec_b32 s40, s40
; %bb.9484:                             ;   in Loop: Header=BB6_8449 Depth=2
	v_bfe_i32 v0, v0, 0, 8
	s_delay_alu instid0(VALU_DEP_1) | instskip(SKIP_1) | instid1(VALU_DEP_1)
	v_cmp_lt_i16_e32 vcc_lo, -1, v0
	v_mov_b32_e32 v0, 0x7f800000
	v_cndmask_b32_e32 v0, 0xff800000, v0, vcc_lo
	v_cmp_eq_u32_e32 vcc_lo, 0, v2
	s_delay_alu instid0(VALU_DEP_2)
	v_cndmask_b32_e32 v3, 0x7f800001, v0, vcc_lo
; %bb.9485:                             ;   in Loop: Header=BB6_8449 Depth=2
	s_or_b32 exec_lo, exec_lo, s40
.LBB6_9486:                             ;   in Loop: Header=BB6_8449 Depth=2
	s_delay_alu instid0(SALU_CYCLE_1)
	s_or_b32 exec_lo, exec_lo, s29
.LBB6_9487:                             ;   in Loop: Header=BB6_8449 Depth=2
	s_delay_alu instid0(SALU_CYCLE_1) | instskip(NEXT) | instid1(VALU_DEP_1)
	s_or_b32 exec_lo, exec_lo, s7
	v_dual_mul_f32 v2, s28, v3 :: v_dual_mov_b32 v5, v1
                                        ; implicit-def: $vgpr112
	s_mov_b32 s7, exec_lo
	s_delay_alu instid0(VALU_DEP_1) | instskip(SKIP_2) | instid1(VALU_DEP_3)
	v_and_b32_e32 v4, 0x7f800000, v2
	v_and_b32_e32 v0, 0x7fffff, v2
	v_lshrrev_b32_e32 v3, 24, v2
	v_cmpx_ne_u64_e32 0x7f800000, v[4:5]
	s_xor_b32 s29, exec_lo, s7
	s_cbranch_execz .LBB6_9501
; %bb.9488:                             ;   in Loop: Header=BB6_8449 Depth=2
	v_and_b32_e32 v4, 0x7fffffff, v2
	v_mov_b32_e32 v5, v1
	v_and_b32_e32 v8, 0x80, v3
                                        ; implicit-def: $vgpr112
	s_mov_b32 s7, exec_lo
	s_delay_alu instid0(VALU_DEP_2)
	v_cmpx_gt_u64_e32 0x47600001, v[4:5]
	s_xor_b32 s40, exec_lo, s7
	s_cbranch_execz .LBB6_9498
; %bb.9489:                             ;   in Loop: Header=BB6_8449 Depth=2
	v_mov_b32_e32 v112, 0
	s_mov_b32 s41, exec_lo
	v_cmpx_ne_u32_e32 0, v2
	s_cbranch_execz .LBB6_9497
; %bb.9490:                             ;   in Loop: Header=BB6_8449 Depth=2
	v_bfe_u32 v14, v2, 23, 8
	v_or_b32_e32 v4, 0x800000, v0
	s_mov_b32 s42, exec_lo
	s_delay_alu instid0(VALU_DEP_2) | instskip(SKIP_1) | instid1(VALU_DEP_2)
	v_dual_mov_b32 v5, v1 :: v_dual_sub_nc_u32 v2, 0x71, v14
	v_cmp_gt_u32_e32 vcc_lo, 0x72, v14
	v_cndmask_b32_e32 v2, 0, v2, vcc_lo
	v_cmp_eq_u32_e32 vcc_lo, 0, v14
	s_delay_alu instid0(VALU_DEP_2) | instskip(NEXT) | instid1(VALU_DEP_1)
	v_cndmask_b32_e64 v15, v2, 0x70, vcc_lo
	v_dual_cndmask_b32 v4, v4, v0, vcc_lo :: v_dual_add_nc_u32 v2, 21, v15
	v_add_nc_u32_e32 v16, 20, v15
	s_delay_alu instid0(VALU_DEP_2) | instskip(NEXT) | instid1(VALU_DEP_2)
	v_lshlrev_b64_e64 v[2:3], v2, -1
	v_lshlrev_b64_e64 v[16:17], v16, 1
	s_delay_alu instid0(VALU_DEP_2) | instskip(NEXT) | instid1(VALU_DEP_3)
	v_bfi_b32 v19, v3, 0, 0
	v_bfi_b32 v18, v2, 0, v4
	v_lshrrev_b64 v[2:3], v15, v[4:5]
	s_delay_alu instid0(VALU_DEP_1) | instskip(NEXT) | instid1(VALU_DEP_3)
	v_mov_b64_e32 v[4:5], v[2:3]
	v_cmpx_eq_u64_e64 v[18:19], v[16:17]
; %bb.9491:                             ;   in Loop: Header=BB6_8449 Depth=2
	v_bfe_u32 v4, v2, 21, 1
	v_mov_b32_e32 v5, v1
	s_delay_alu instid0(VALU_DEP_1) | instskip(NEXT) | instid1(VALU_DEP_1)
	v_add_nc_u64_e32 v[4:5], v[2:3], v[4:5]
	v_add_nc_u64_e32 v[4:5], -1, v[4:5]
; %bb.9492:                             ;   in Loop: Header=BB6_8449 Depth=2
	s_or_b32 exec_lo, exec_lo, s42
	v_add_nc_u32_e32 v0, 0xffffff81, v14
	v_lshrrev_b32_e32 v3, 23, v2
	s_mov_b32 s7, exec_lo
	s_delay_alu instid0(VALU_DEP_2) | instskip(NEXT) | instid1(VALU_DEP_1)
	v_cndmask_b32_e64 v0, v0, 0xffffff82, vcc_lo
	v_add3_u32 v5, v15, v0, v3
	v_and_b32_e32 v0, 0x1fffff, v4
                                        ; implicit-def: $vgpr4
	s_delay_alu instid0(VALU_DEP_1) | instskip(NEXT) | instid1(VALU_DEP_1)
	v_dual_add_nc_u32 v14, 14, v5 :: v_dual_add_nc_u32 v0, v0, v2
                                        ; implicit-def: $vgpr2_vgpr3
	v_cmpx_ne_u32_e32 0, v14
	s_xor_b32 s7, exec_lo, s7
; %bb.9493:                             ;   in Loop: Header=BB6_8449 Depth=2
	s_delay_alu instid0(VALU_DEP_2) | instskip(SKIP_1) | instid1(VALU_DEP_1)
	v_cmp_lt_u64_e32 vcc_lo, 0xffffff, v[0:1]
	v_add_nc_u32_e32 v2, 15, v5
	v_cndmask_b32_e32 v4, v14, v2, vcc_lo
	v_cndmask_b32_e64 v2, 0, 1, vcc_lo
	s_delay_alu instid0(VALU_DEP_1)
	v_lshrrev_b64 v[2:3], v2, v[0:1]
; %bb.9494:                             ;   in Loop: Header=BB6_8449 Depth=2
	s_and_not1_saveexec_b32 s7, s7
; %bb.9495:                             ;   in Loop: Header=BB6_8449 Depth=2
	v_mov_b64_e32 v[2:3], v[0:1]
	v_bfe_u32 v4, v0, 23, 1
; %bb.9496:                             ;   in Loop: Header=BB6_8449 Depth=2
	s_or_b32 exec_lo, exec_lo, s7
	s_delay_alu instid0(VALU_DEP_2) | instskip(NEXT) | instid1(VALU_DEP_2)
	v_lshrrev_b64 v[2:3], 21, v[2:3]
	v_cmp_gt_i32_e32 vcc_lo, 32, v4
	v_min_i32_e32 v0, 31, v4
	v_cmp_eq_u32_e64 s7, 0, v4
	s_delay_alu instid0(VALU_DEP_2) | instskip(SKIP_1) | instid1(VALU_DEP_2)
	v_dual_cndmask_b32 v3, 0, v3 :: v_dual_lshlrev_b32 v0, 2, v0
	v_cndmask_b32_e32 v2, 3, v2, vcc_lo
	v_and_b32_e32 v0, 0xfc, v0
	s_delay_alu instid0(VALU_DEP_2) | instskip(NEXT) | instid1(VALU_DEP_2)
	v_cmp_eq_u64_e32 vcc_lo, 0, v[2:3]
	v_and_or_b32 v0, v2, 3, v0
	s_and_b32 s7, s7, vcc_lo
	s_delay_alu instid0(VALU_DEP_1) | instid1(SALU_CYCLE_1)
	v_cndmask_b32_e64 v0, v0, 0, s7
	s_delay_alu instid0(VALU_DEP_1)
	v_or_b32_e32 v112, v0, v8
.LBB6_9497:                             ;   in Loop: Header=BB6_8449 Depth=2
	s_or_b32 exec_lo, exec_lo, s41
                                        ; implicit-def: $vgpr8
.LBB6_9498:                             ;   in Loop: Header=BB6_8449 Depth=2
	s_and_not1_saveexec_b32 s7, s40
; %bb.9499:                             ;   in Loop: Header=BB6_8449 Depth=2
	v_or_b32_e32 v112, 0x7b, v8
; %bb.9500:                             ;   in Loop: Header=BB6_8449 Depth=2
	s_or_b32 exec_lo, exec_lo, s7
                                        ; implicit-def: $vgpr2
                                        ; implicit-def: $vgpr3
.LBB6_9501:                             ;   in Loop: Header=BB6_8449 Depth=2
	s_and_not1_saveexec_b32 s7, s29
	s_cbranch_execz .LBB6_9507
; %bb.9502:                             ;   in Loop: Header=BB6_8449 Depth=2
	s_mov_b32 s29, exec_lo
                                        ; implicit-def: $vgpr112
	v_cmpx_ne_u64_e32 0, v[0:1]
	s_xor_b32 s29, exec_lo, s29
; %bb.9503:                             ;   in Loop: Header=BB6_8449 Depth=2
	v_or_b32_e32 v112, 0x7f, v3
                                        ; implicit-def: $vgpr2
; %bb.9504:                             ;   in Loop: Header=BB6_8449 Depth=2
	s_and_not1_saveexec_b32 s29, s29
; %bb.9505:                             ;   in Loop: Header=BB6_8449 Depth=2
	v_cmp_lt_i32_e32 vcc_lo, -1, v2
	v_mov_b32_e32 v0, 0x7c
	s_delay_alu instid0(VALU_DEP_1)
	v_cndmask_b32_e32 v112, 0xfc, v0, vcc_lo
; %bb.9506:                             ;   in Loop: Header=BB6_8449 Depth=2
	s_or_b32 exec_lo, exec_lo, s29
.LBB6_9507:                             ;   in Loop: Header=BB6_8449 Depth=2
	s_delay_alu instid0(SALU_CYCLE_1)
	s_or_b32 exec_lo, exec_lo, s7
	v_mov_b32_e32 v2, 0
	s_mov_b32 s7, exec_lo
	v_cmpx_lt_u32_e32 0xffffff, v10
	s_cbranch_execz .LBB6_9517
; %bb.9508:                             ;   in Loop: Header=BB6_8449 Depth=2
	v_lshrrev_b32_e32 v0, 24, v10
	v_bfrev_b32_e32 v2, 1
	s_mov_b32 s29, exec_lo
	s_delay_alu instid0(VALU_DEP_2)
	v_cmpx_ne_u32_e32 0x80, v0
	s_cbranch_execz .LBB6_9516
; %bb.9509:                             ;   in Loop: Header=BB6_8449 Depth=2
	v_and_b32_e32 v2, 0x7c000000, v10
	v_bfe_u32 v3, v10, 24, 2
	s_delay_alu instid0(VALU_DEP_2) | instskip(SKIP_1) | instid1(SALU_CYCLE_1)
	v_cmp_ne_u32_e32 vcc_lo, 0x7c000000, v2
                                        ; implicit-def: $vgpr2
	s_and_saveexec_b32 s40, vcc_lo
	s_xor_b32 s40, exec_lo, s40
	s_cbranch_execz .LBB6_9513
; %bb.9510:                             ;   in Loop: Header=BB6_8449 Depth=2
	v_bfe_u32 v2, v10, 26, 5
	s_mov_b32 s41, exec_lo
	s_delay_alu instid0(VALU_DEP_1)
	v_cmpx_eq_u32_e32 0, v2
; %bb.9511:                             ;   in Loop: Header=BB6_8449 Depth=2
	v_clz_i32_u32_e32 v2, v3
	s_delay_alu instid0(VALU_DEP_1) | instskip(NEXT) | instid1(VALU_DEP_1)
	v_min_u32_e32 v2, 32, v2
	v_subrev_nc_u32_e32 v3, 29, v2
	s_delay_alu instid0(VALU_DEP_1) | instskip(NEXT) | instid1(VALU_DEP_1)
	v_lshlrev_b64_e32 v[4:5], v3, v[0:1]
	v_dual_sub_nc_u32 v2, 30, v2 :: v_dual_bitop2_b32 v3, 3, v4 bitop3:0x40
; %bb.9512:                             ;   in Loop: Header=BB6_8449 Depth=2
	s_or_b32 exec_lo, exec_lo, s41
	v_and_b32_e32 v0, 0x80000000, v10
	s_delay_alu instid0(VALU_DEP_1) | instskip(NEXT) | instid1(VALU_DEP_1)
	v_lshl_add_u32 v0, v2, 23, v0
	v_lshl_or_b32 v0, v3, 21, v0
                                        ; implicit-def: $vgpr3
	s_delay_alu instid0(VALU_DEP_1)
	v_add_nc_u32_e32 v2, 0x38000000, v0
.LBB6_9513:                             ;   in Loop: Header=BB6_8449 Depth=2
	s_and_not1_saveexec_b32 s40, s40
; %bb.9514:                             ;   in Loop: Header=BB6_8449 Depth=2
	v_cmp_lt_i32_e32 vcc_lo, -1, v10
	v_mov_b32_e32 v0, 0x7f800000
	s_delay_alu instid0(VALU_DEP_1) | instskip(SKIP_1) | instid1(VALU_DEP_2)
	v_cndmask_b32_e32 v0, 0xff800000, v0, vcc_lo
	v_cmp_eq_u32_e32 vcc_lo, 0, v3
	v_cndmask_b32_e32 v2, 0x7f800001, v0, vcc_lo
; %bb.9515:                             ;   in Loop: Header=BB6_8449 Depth=2
	s_or_b32 exec_lo, exec_lo, s40
.LBB6_9516:                             ;   in Loop: Header=BB6_8449 Depth=2
	s_delay_alu instid0(SALU_CYCLE_1)
	s_or_b32 exec_lo, exec_lo, s29
.LBB6_9517:                             ;   in Loop: Header=BB6_8449 Depth=2
	s_delay_alu instid0(SALU_CYCLE_1) | instskip(NEXT) | instid1(VALU_DEP_1)
	s_or_b32 exec_lo, exec_lo, s7
	v_dual_mul_f32 v2, s28, v2 :: v_dual_mov_b32 v5, v1
                                        ; implicit-def: $vgpr115
	s_mov_b32 s7, exec_lo
	s_delay_alu instid0(VALU_DEP_1) | instskip(SKIP_2) | instid1(VALU_DEP_3)
	v_and_b32_e32 v4, 0x7f800000, v2
	v_and_b32_e32 v0, 0x7fffff, v2
	v_lshrrev_b32_e32 v3, 24, v2
	v_cmpx_ne_u64_e32 0x7f800000, v[4:5]
	s_xor_b32 s29, exec_lo, s7
	s_cbranch_execz .LBB6_9531
; %bb.9518:                             ;   in Loop: Header=BB6_8449 Depth=2
	v_and_b32_e32 v4, 0x7fffffff, v2
	v_mov_b32_e32 v5, v1
	v_and_b32_e32 v8, 0x80, v3
                                        ; implicit-def: $vgpr115
	s_mov_b32 s7, exec_lo
	s_delay_alu instid0(VALU_DEP_2)
	v_cmpx_gt_u64_e32 0x47600001, v[4:5]
	s_xor_b32 s40, exec_lo, s7
	s_cbranch_execz .LBB6_9528
; %bb.9519:                             ;   in Loop: Header=BB6_8449 Depth=2
	v_mov_b32_e32 v115, 0
	s_mov_b32 s41, exec_lo
	v_cmpx_ne_u32_e32 0, v2
	s_cbranch_execz .LBB6_9527
; %bb.9520:                             ;   in Loop: Header=BB6_8449 Depth=2
	v_bfe_u32 v14, v2, 23, 8
	v_or_b32_e32 v4, 0x800000, v0
	s_mov_b32 s42, exec_lo
	s_delay_alu instid0(VALU_DEP_2) | instskip(SKIP_1) | instid1(VALU_DEP_2)
	v_dual_mov_b32 v5, v1 :: v_dual_sub_nc_u32 v2, 0x71, v14
	v_cmp_gt_u32_e32 vcc_lo, 0x72, v14
	v_cndmask_b32_e32 v2, 0, v2, vcc_lo
	v_cmp_eq_u32_e32 vcc_lo, 0, v14
	s_delay_alu instid0(VALU_DEP_2) | instskip(NEXT) | instid1(VALU_DEP_1)
	v_cndmask_b32_e64 v15, v2, 0x70, vcc_lo
	v_dual_cndmask_b32 v4, v4, v0, vcc_lo :: v_dual_add_nc_u32 v2, 21, v15
	v_add_nc_u32_e32 v16, 20, v15
	s_delay_alu instid0(VALU_DEP_2) | instskip(NEXT) | instid1(VALU_DEP_2)
	v_lshlrev_b64_e64 v[2:3], v2, -1
	v_lshlrev_b64_e64 v[16:17], v16, 1
	s_delay_alu instid0(VALU_DEP_2) | instskip(NEXT) | instid1(VALU_DEP_3)
	v_bfi_b32 v19, v3, 0, 0
	v_bfi_b32 v18, v2, 0, v4
	v_lshrrev_b64 v[2:3], v15, v[4:5]
	s_delay_alu instid0(VALU_DEP_1) | instskip(NEXT) | instid1(VALU_DEP_3)
	v_mov_b64_e32 v[4:5], v[2:3]
	v_cmpx_eq_u64_e64 v[18:19], v[16:17]
; %bb.9521:                             ;   in Loop: Header=BB6_8449 Depth=2
	v_bfe_u32 v4, v2, 21, 1
	v_mov_b32_e32 v5, v1
	s_delay_alu instid0(VALU_DEP_1) | instskip(NEXT) | instid1(VALU_DEP_1)
	v_add_nc_u64_e32 v[4:5], v[2:3], v[4:5]
	v_add_nc_u64_e32 v[4:5], -1, v[4:5]
; %bb.9522:                             ;   in Loop: Header=BB6_8449 Depth=2
	s_or_b32 exec_lo, exec_lo, s42
	v_add_nc_u32_e32 v0, 0xffffff81, v14
	v_lshrrev_b32_e32 v3, 23, v2
	s_mov_b32 s7, exec_lo
	s_delay_alu instid0(VALU_DEP_2) | instskip(NEXT) | instid1(VALU_DEP_1)
	v_cndmask_b32_e64 v0, v0, 0xffffff82, vcc_lo
	v_add3_u32 v5, v15, v0, v3
	v_and_b32_e32 v0, 0x1fffff, v4
                                        ; implicit-def: $vgpr4
	s_delay_alu instid0(VALU_DEP_1) | instskip(NEXT) | instid1(VALU_DEP_1)
	v_dual_add_nc_u32 v14, 14, v5 :: v_dual_add_nc_u32 v0, v0, v2
                                        ; implicit-def: $vgpr2_vgpr3
	v_cmpx_ne_u32_e32 0, v14
	s_xor_b32 s7, exec_lo, s7
; %bb.9523:                             ;   in Loop: Header=BB6_8449 Depth=2
	s_delay_alu instid0(VALU_DEP_2) | instskip(SKIP_1) | instid1(VALU_DEP_1)
	v_cmp_lt_u64_e32 vcc_lo, 0xffffff, v[0:1]
	v_add_nc_u32_e32 v2, 15, v5
	v_cndmask_b32_e32 v4, v14, v2, vcc_lo
	v_cndmask_b32_e64 v2, 0, 1, vcc_lo
	s_delay_alu instid0(VALU_DEP_1)
	v_lshrrev_b64 v[2:3], v2, v[0:1]
; %bb.9524:                             ;   in Loop: Header=BB6_8449 Depth=2
	s_and_not1_saveexec_b32 s7, s7
; %bb.9525:                             ;   in Loop: Header=BB6_8449 Depth=2
	v_mov_b64_e32 v[2:3], v[0:1]
	v_bfe_u32 v4, v0, 23, 1
; %bb.9526:                             ;   in Loop: Header=BB6_8449 Depth=2
	s_or_b32 exec_lo, exec_lo, s7
	s_delay_alu instid0(VALU_DEP_2) | instskip(NEXT) | instid1(VALU_DEP_2)
	v_lshrrev_b64 v[2:3], 21, v[2:3]
	v_cmp_gt_i32_e32 vcc_lo, 32, v4
	v_min_i32_e32 v0, 31, v4
	v_cmp_eq_u32_e64 s7, 0, v4
	s_delay_alu instid0(VALU_DEP_2) | instskip(SKIP_1) | instid1(VALU_DEP_2)
	v_dual_cndmask_b32 v3, 0, v3 :: v_dual_lshlrev_b32 v0, 2, v0
	v_cndmask_b32_e32 v2, 3, v2, vcc_lo
	v_and_b32_e32 v0, 0xfc, v0
	s_delay_alu instid0(VALU_DEP_2) | instskip(NEXT) | instid1(VALU_DEP_2)
	v_cmp_eq_u64_e32 vcc_lo, 0, v[2:3]
	v_and_or_b32 v0, v2, 3, v0
	s_and_b32 s7, s7, vcc_lo
	s_delay_alu instid0(VALU_DEP_1) | instid1(SALU_CYCLE_1)
	v_cndmask_b32_e64 v0, v0, 0, s7
	s_delay_alu instid0(VALU_DEP_1)
	v_or_b32_e32 v115, v0, v8
.LBB6_9527:                             ;   in Loop: Header=BB6_8449 Depth=2
	s_or_b32 exec_lo, exec_lo, s41
                                        ; implicit-def: $vgpr8
.LBB6_9528:                             ;   in Loop: Header=BB6_8449 Depth=2
	s_and_not1_saveexec_b32 s7, s40
; %bb.9529:                             ;   in Loop: Header=BB6_8449 Depth=2
	v_or_b32_e32 v115, 0x7b, v8
; %bb.9530:                             ;   in Loop: Header=BB6_8449 Depth=2
	s_or_b32 exec_lo, exec_lo, s7
                                        ; implicit-def: $vgpr2
                                        ; implicit-def: $vgpr3
.LBB6_9531:                             ;   in Loop: Header=BB6_8449 Depth=2
	s_and_not1_saveexec_b32 s7, s29
	s_cbranch_execz .LBB6_9537
; %bb.9532:                             ;   in Loop: Header=BB6_8449 Depth=2
	s_mov_b32 s29, exec_lo
                                        ; implicit-def: $vgpr115
	v_cmpx_ne_u64_e32 0, v[0:1]
	s_xor_b32 s29, exec_lo, s29
; %bb.9533:                             ;   in Loop: Header=BB6_8449 Depth=2
	v_or_b32_e32 v115, 0x7f, v3
                                        ; implicit-def: $vgpr2
; %bb.9534:                             ;   in Loop: Header=BB6_8449 Depth=2
	s_and_not1_saveexec_b32 s29, s29
; %bb.9535:                             ;   in Loop: Header=BB6_8449 Depth=2
	v_cmp_lt_i32_e32 vcc_lo, -1, v2
	v_mov_b32_e32 v0, 0x7c
	s_delay_alu instid0(VALU_DEP_1)
	v_cndmask_b32_e32 v115, 0xfc, v0, vcc_lo
; %bb.9536:                             ;   in Loop: Header=BB6_8449 Depth=2
	s_or_b32 exec_lo, exec_lo, s29
.LBB6_9537:                             ;   in Loop: Header=BB6_8449 Depth=2
	s_delay_alu instid0(SALU_CYCLE_1) | instskip(SKIP_3) | instid1(VALU_DEP_2)
	s_or_b32 exec_lo, exec_lo, s7
	v_and_b32_e32 v2, 0xff, v11
	v_dual_mov_b32 v0, v11 :: v_dual_mov_b32 v3, 0
	s_mov_b32 s7, exec_lo
	v_cmpx_ne_u16_e32 0, v2
	s_cbranch_execz .LBB6_9547
; %bb.9538:                             ;   in Loop: Header=BB6_8449 Depth=2
	v_bfrev_b32_e32 v3, 1
	s_mov_b32 s29, exec_lo
	v_cmpx_ne_u16_e32 0x80, v2
	s_cbranch_execz .LBB6_9546
; %bb.9539:                             ;   in Loop: Header=BB6_8449 Depth=2
	v_and_b32_e32 v3, 0x7c, v11
	v_and_b32_e32 v2, 3, v11
	s_delay_alu instid0(VALU_DEP_2) | instskip(SKIP_1) | instid1(SALU_CYCLE_1)
	v_cmp_ne_u32_e32 vcc_lo, 0x7c, v3
                                        ; implicit-def: $vgpr3
	s_and_saveexec_b32 s40, vcc_lo
	s_xor_b32 s40, exec_lo, s40
	s_cbranch_execz .LBB6_9543
; %bb.9540:                             ;   in Loop: Header=BB6_8449 Depth=2
	v_bfe_u32 v3, v11, 2, 5
	s_mov_b32 s41, exec_lo
	s_delay_alu instid0(VALU_DEP_1)
	v_cmpx_eq_u32_e32 0, v3
; %bb.9541:                             ;   in Loop: Header=BB6_8449 Depth=2
	v_clz_i32_u32_e32 v2, v2
	s_delay_alu instid0(VALU_DEP_1) | instskip(NEXT) | instid1(VALU_DEP_1)
	v_min_u32_e32 v4, 32, v2
	v_subrev_nc_u32_e32 v2, 29, v4
	s_delay_alu instid0(VALU_DEP_1) | instskip(NEXT) | instid1(VALU_DEP_1)
	v_lshlrev_b64_e32 v[2:3], v2, v[0:1]
	v_dual_sub_nc_u32 v3, 30, v4 :: v_dual_bitop2_b32 v2, 3, v2 bitop3:0x40
; %bb.9542:                             ;   in Loop: Header=BB6_8449 Depth=2
	s_or_b32 exec_lo, exec_lo, s41
	v_lshlrev_b32_e32 v4, 24, v11
	s_delay_alu instid0(VALU_DEP_1) | instskip(NEXT) | instid1(VALU_DEP_1)
	v_and_b32_e32 v4, 0x80000000, v4
	v_lshl_add_u32 v3, v3, 23, v4
	s_delay_alu instid0(VALU_DEP_1) | instskip(NEXT) | instid1(VALU_DEP_1)
	v_lshl_or_b32 v2, v2, 21, v3
	v_add_nc_u32_e32 v3, 0x38000000, v2
                                        ; implicit-def: $vgpr2
.LBB6_9543:                             ;   in Loop: Header=BB6_8449 Depth=2
	s_and_not1_saveexec_b32 s40, s40
; %bb.9544:                             ;   in Loop: Header=BB6_8449 Depth=2
	v_bfe_i32 v3, v11, 0, 8
	s_delay_alu instid0(VALU_DEP_1) | instskip(SKIP_1) | instid1(VALU_DEP_1)
	v_cmp_lt_i16_e32 vcc_lo, -1, v3
	v_mov_b32_e32 v3, 0x7f800000
	v_cndmask_b32_e32 v3, 0xff800000, v3, vcc_lo
	v_cmp_eq_u32_e32 vcc_lo, 0, v2
	s_delay_alu instid0(VALU_DEP_2)
	v_cndmask_b32_e32 v3, 0x7f800001, v3, vcc_lo
; %bb.9545:                             ;   in Loop: Header=BB6_8449 Depth=2
	s_or_b32 exec_lo, exec_lo, s40
.LBB6_9546:                             ;   in Loop: Header=BB6_8449 Depth=2
	s_delay_alu instid0(SALU_CYCLE_1)
	s_or_b32 exec_lo, exec_lo, s29
.LBB6_9547:                             ;   in Loop: Header=BB6_8449 Depth=2
	s_delay_alu instid0(SALU_CYCLE_1) | instskip(NEXT) | instid1(VALU_DEP_1)
	s_or_b32 exec_lo, exec_lo, s7
	v_dual_mul_f32 v4, s28, v3 :: v_dual_mov_b32 v15, v1
	v_mov_b32_e32 v3, v1
                                        ; implicit-def: $vgpr68
	s_mov_b32 s7, exec_lo
	s_delay_alu instid0(VALU_DEP_2) | instskip(SKIP_2) | instid1(VALU_DEP_3)
	v_and_b32_e32 v14, 0x7f800000, v4
	v_and_b32_e32 v2, 0x7fffff, v4
	v_lshrrev_b32_e32 v5, 24, v4
	v_cmpx_ne_u64_e32 0x7f800000, v[14:15]
	s_xor_b32 s29, exec_lo, s7
	s_cbranch_execz .LBB6_9561
; %bb.9548:                             ;   in Loop: Header=BB6_8449 Depth=2
	v_and_b32_e32 v14, 0x7fffffff, v4
	v_mov_b32_e32 v15, v1
	v_and_b32_e32 v8, 0x80, v5
                                        ; implicit-def: $vgpr68
	s_mov_b32 s7, exec_lo
	s_delay_alu instid0(VALU_DEP_2)
	v_cmpx_gt_u64_e32 0x47600001, v[14:15]
	s_xor_b32 s40, exec_lo, s7
	s_cbranch_execz .LBB6_9558
; %bb.9549:                             ;   in Loop: Header=BB6_8449 Depth=2
	v_mov_b32_e32 v68, 0
	s_mov_b32 s41, exec_lo
	v_cmpx_ne_u32_e32 0, v4
	s_cbranch_execz .LBB6_9557
; %bb.9550:                             ;   in Loop: Header=BB6_8449 Depth=2
	v_bfe_u32 v14, v4, 23, 8
	v_or_b32_e32 v16, 0x800000, v2
	s_delay_alu instid0(VALU_DEP_2) | instskip(SKIP_1) | instid1(VALU_DEP_2)
	v_sub_nc_u32_e32 v4, 0x71, v14
	v_cmp_gt_u32_e32 vcc_lo, 0x72, v14
	v_cndmask_b32_e32 v4, 0, v4, vcc_lo
	v_cmp_eq_u32_e32 vcc_lo, 0, v14
	s_delay_alu instid0(VALU_DEP_2) | instskip(NEXT) | instid1(VALU_DEP_1)
	v_cndmask_b32_e64 v15, v4, 0x70, vcc_lo
	v_dual_cndmask_b32 v2, v16, v2, vcc_lo :: v_dual_add_nc_u32 v4, 21, v15
	v_add_nc_u32_e32 v17, 20, v15
	s_delay_alu instid0(VALU_DEP_2) | instskip(NEXT) | instid1(VALU_DEP_2)
	v_lshlrev_b64_e64 v[4:5], v4, -1
	v_lshlrev_b64_e64 v[16:17], v17, 1
	s_delay_alu instid0(VALU_DEP_2) | instskip(SKIP_1) | instid1(VALU_DEP_4)
	v_bfi_b32 v4, v4, 0, v2
	v_lshrrev_b64 v[2:3], v15, v[2:3]
	v_bfi_b32 v5, v5, 0, 0
	s_delay_alu instid0(VALU_DEP_1) | instskip(NEXT) | instid1(VALU_DEP_3)
	v_cmp_eq_u64_e64 s7, v[4:5], v[16:17]
	v_mov_b64_e32 v[4:5], v[2:3]
	s_and_saveexec_b32 s42, s7
; %bb.9551:                             ;   in Loop: Header=BB6_8449 Depth=2
	v_bfe_u32 v4, v2, 21, 1
	v_mov_b32_e32 v5, v1
	s_delay_alu instid0(VALU_DEP_1) | instskip(NEXT) | instid1(VALU_DEP_1)
	v_add_nc_u64_e32 v[4:5], v[2:3], v[4:5]
	v_add_nc_u64_e32 v[4:5], -1, v[4:5]
; %bb.9552:                             ;   in Loop: Header=BB6_8449 Depth=2
	s_or_b32 exec_lo, exec_lo, s42
	v_add_nc_u32_e32 v3, 0xffffff81, v14
	v_lshrrev_b32_e32 v5, 23, v2
	s_mov_b32 s7, exec_lo
	s_delay_alu instid0(VALU_DEP_2) | instskip(NEXT) | instid1(VALU_DEP_1)
	v_cndmask_b32_e64 v3, v3, 0xffffff82, vcc_lo
	v_add3_u32 v5, v15, v3, v5
	v_and_b32_e32 v3, 0x1fffff, v4
                                        ; implicit-def: $vgpr4
	s_delay_alu instid0(VALU_DEP_1) | instskip(SKIP_1) | instid1(VALU_DEP_2)
	v_dual_add_nc_u32 v14, 14, v5 :: v_dual_add_nc_u32 v2, v3, v2
	v_mov_b32_e32 v3, v1
	v_cmpx_ne_u32_e32 0, v14
	s_xor_b32 s7, exec_lo, s7
; %bb.9553:                             ;   in Loop: Header=BB6_8449 Depth=2
	s_delay_alu instid0(VALU_DEP_2) | instskip(SKIP_2) | instid1(VALU_DEP_2)
	v_cmp_lt_u64_e32 vcc_lo, 0xffffff, v[2:3]
	v_add_nc_u32_e32 v4, 15, v5
	v_cndmask_b32_e64 v5, 0, 1, vcc_lo
	v_cndmask_b32_e32 v4, v14, v4, vcc_lo
	s_delay_alu instid0(VALU_DEP_2)
	v_lshrrev_b64 v[2:3], v5, v[2:3]
; %bb.9554:                             ;   in Loop: Header=BB6_8449 Depth=2
	s_and_not1_saveexec_b32 s7, s7
; %bb.9555:                             ;   in Loop: Header=BB6_8449 Depth=2
	s_delay_alu instid0(VALU_DEP_1)
	v_bfe_u32 v4, v2, 23, 1
; %bb.9556:                             ;   in Loop: Header=BB6_8449 Depth=2
	s_or_b32 exec_lo, exec_lo, s7
	s_delay_alu instid0(VALU_DEP_2) | instskip(NEXT) | instid1(VALU_DEP_2)
	v_lshrrev_b64 v[2:3], 21, v[2:3]
	v_cmp_gt_i32_e32 vcc_lo, 32, v4
	v_min_i32_e32 v5, 31, v4
	v_cmp_eq_u32_e64 s7, 0, v4
	s_delay_alu instid0(VALU_DEP_2) | instskip(SKIP_1) | instid1(VALU_DEP_2)
	v_dual_cndmask_b32 v3, 0, v3, vcc_lo :: v_dual_lshlrev_b32 v5, 2, v5
	v_cndmask_b32_e32 v2, 3, v2, vcc_lo
	v_and_b32_e32 v5, 0xfc, v5
	s_delay_alu instid0(VALU_DEP_2) | instskip(NEXT) | instid1(VALU_DEP_2)
	v_cmp_eq_u64_e32 vcc_lo, 0, v[2:3]
	v_and_or_b32 v2, v2, 3, v5
	s_and_b32 s7, s7, vcc_lo
	s_delay_alu instid0(VALU_DEP_1) | instid1(SALU_CYCLE_1)
	v_cndmask_b32_e64 v2, v2, 0, s7
	s_delay_alu instid0(VALU_DEP_1)
	v_or_b32_e32 v68, v2, v8
.LBB6_9557:                             ;   in Loop: Header=BB6_8449 Depth=2
	s_or_b32 exec_lo, exec_lo, s41
                                        ; implicit-def: $vgpr8
.LBB6_9558:                             ;   in Loop: Header=BB6_8449 Depth=2
	s_and_not1_saveexec_b32 s7, s40
; %bb.9559:                             ;   in Loop: Header=BB6_8449 Depth=2
	v_or_b32_e32 v68, 0x7b, v8
; %bb.9560:                             ;   in Loop: Header=BB6_8449 Depth=2
	s_or_b32 exec_lo, exec_lo, s7
                                        ; implicit-def: $vgpr4
                                        ; implicit-def: $vgpr2_vgpr3
                                        ; implicit-def: $vgpr5
.LBB6_9561:                             ;   in Loop: Header=BB6_8449 Depth=2
	s_and_not1_saveexec_b32 s7, s29
	s_cbranch_execz .LBB6_9567
; %bb.9562:                             ;   in Loop: Header=BB6_8449 Depth=2
	s_mov_b32 s29, exec_lo
                                        ; implicit-def: $vgpr68
	v_cmpx_ne_u64_e32 0, v[2:3]
	s_xor_b32 s29, exec_lo, s29
; %bb.9563:                             ;   in Loop: Header=BB6_8449 Depth=2
	v_or_b32_e32 v68, 0x7f, v5
                                        ; implicit-def: $vgpr4
; %bb.9564:                             ;   in Loop: Header=BB6_8449 Depth=2
	s_and_not1_saveexec_b32 s29, s29
; %bb.9565:                             ;   in Loop: Header=BB6_8449 Depth=2
	v_cmp_lt_i32_e32 vcc_lo, -1, v4
	v_mov_b32_e32 v2, 0x7c
	s_delay_alu instid0(VALU_DEP_1)
	v_cndmask_b32_e32 v68, 0xfc, v2, vcc_lo
; %bb.9566:                             ;   in Loop: Header=BB6_8449 Depth=2
	s_or_b32 exec_lo, exec_lo, s29
.LBB6_9567:                             ;   in Loop: Header=BB6_8449 Depth=2
	s_delay_alu instid0(SALU_CYCLE_1) | instskip(SKIP_3) | instid1(VALU_DEP_2)
	s_or_b32 exec_lo, exec_lo, s7
	v_lshrrev_b16 v2, 8, v0
	v_mov_b32_e32 v4, 0
	s_mov_b32 s7, exec_lo
	v_cmpx_ne_u16_e32 0, v2
	s_cbranch_execz .LBB6_9577
; %bb.9568:                             ;   in Loop: Header=BB6_8449 Depth=2
	v_bfrev_b32_e32 v4, 1
	s_mov_b32 s29, exec_lo
	v_cmpx_ne_u16_e32 0x80, v2
	s_cbranch_execz .LBB6_9576
; %bb.9569:                             ;   in Loop: Header=BB6_8449 Depth=2
	v_and_b32_e32 v5, 0xffff, v2
	s_delay_alu instid0(VALU_DEP_1) | instskip(SKIP_1) | instid1(VALU_DEP_2)
	v_and_b32_e32 v4, 0x7c, v5
	v_and_b32_e32 v3, 3, v5
	v_cmp_ne_u32_e32 vcc_lo, 0x7c, v4
                                        ; implicit-def: $vgpr4
	s_and_saveexec_b32 s40, vcc_lo
	s_delay_alu instid0(SALU_CYCLE_1)
	s_xor_b32 s40, exec_lo, s40
	s_cbranch_execz .LBB6_9573
; %bb.9570:                             ;   in Loop: Header=BB6_8449 Depth=2
	v_bfe_u32 v4, v5, 2, 5
	s_mov_b32 s41, exec_lo
	s_delay_alu instid0(VALU_DEP_1)
	v_cmpx_eq_u32_e32 0, v4
	s_cbranch_execz .LBB6_9572
; %bb.9571:                             ;   in Loop: Header=BB6_8449 Depth=2
	v_clz_i32_u32_e32 v3, v3
	s_delay_alu instid0(VALU_DEP_1) | instskip(SKIP_1) | instid1(VALU_DEP_2)
	v_min_u32_e32 v4, 32, v3
	v_mov_b32_e32 v3, v1
	v_subrev_nc_u32_e32 v5, 29, v4
	v_sub_nc_u32_e32 v4, 30, v4
	s_delay_alu instid0(VALU_DEP_2) | instskip(NEXT) | instid1(VALU_DEP_1)
	v_lshlrev_b64_e32 v[2:3], v5, v[2:3]
	v_and_b32_e32 v3, 3, v2
.LBB6_9572:                             ;   in Loop: Header=BB6_8449 Depth=2
	s_or_b32 exec_lo, exec_lo, s41
	v_lshlrev_b32_e32 v0, 16, v0
	s_delay_alu instid0(VALU_DEP_1) | instskip(NEXT) | instid1(VALU_DEP_1)
	v_and_b32_e32 v0, 0x80000000, v0
	v_lshl_add_u32 v0, v4, 23, v0
	s_delay_alu instid0(VALU_DEP_1) | instskip(NEXT) | instid1(VALU_DEP_1)
	v_lshl_or_b32 v0, v3, 21, v0
                                        ; implicit-def: $vgpr3
	v_add_nc_u32_e32 v4, 0x38000000, v0
.LBB6_9573:                             ;   in Loop: Header=BB6_8449 Depth=2
	s_and_not1_saveexec_b32 s40, s40
; %bb.9574:                             ;   in Loop: Header=BB6_8449 Depth=2
	v_cmp_lt_i16_e32 vcc_lo, -1, v0
	v_mov_b32_e32 v0, 0x7f800000
	s_delay_alu instid0(VALU_DEP_1) | instskip(SKIP_1) | instid1(VALU_DEP_2)
	v_cndmask_b32_e32 v0, 0xff800000, v0, vcc_lo
	v_cmp_eq_u32_e32 vcc_lo, 0, v3
	v_cndmask_b32_e32 v4, 0x7f800001, v0, vcc_lo
; %bb.9575:                             ;   in Loop: Header=BB6_8449 Depth=2
	s_or_b32 exec_lo, exec_lo, s40
.LBB6_9576:                             ;   in Loop: Header=BB6_8449 Depth=2
	s_delay_alu instid0(SALU_CYCLE_1)
	s_or_b32 exec_lo, exec_lo, s29
.LBB6_9577:                             ;   in Loop: Header=BB6_8449 Depth=2
	s_delay_alu instid0(SALU_CYCLE_1) | instskip(NEXT) | instid1(VALU_DEP_1)
	s_or_b32 exec_lo, exec_lo, s7
	v_dual_mul_f32 v2, s28, v4 :: v_dual_mov_b32 v5, v1
                                        ; implicit-def: $vgpr70
	s_mov_b32 s7, exec_lo
	s_delay_alu instid0(VALU_DEP_1) | instskip(SKIP_2) | instid1(VALU_DEP_3)
	v_and_b32_e32 v4, 0x7f800000, v2
	v_and_b32_e32 v0, 0x7fffff, v2
	v_lshrrev_b32_e32 v3, 24, v2
	v_cmpx_ne_u64_e32 0x7f800000, v[4:5]
	s_xor_b32 s29, exec_lo, s7
	s_cbranch_execz .LBB6_9591
; %bb.9578:                             ;   in Loop: Header=BB6_8449 Depth=2
	v_and_b32_e32 v4, 0x7fffffff, v2
	v_mov_b32_e32 v5, v1
	v_and_b32_e32 v8, 0x80, v3
                                        ; implicit-def: $vgpr70
	s_mov_b32 s7, exec_lo
	s_delay_alu instid0(VALU_DEP_2)
	v_cmpx_gt_u64_e32 0x47600001, v[4:5]
	s_xor_b32 s40, exec_lo, s7
	s_cbranch_execz .LBB6_9588
; %bb.9579:                             ;   in Loop: Header=BB6_8449 Depth=2
	v_mov_b32_e32 v70, 0
	s_mov_b32 s41, exec_lo
	v_cmpx_ne_u32_e32 0, v2
	s_cbranch_execz .LBB6_9587
; %bb.9580:                             ;   in Loop: Header=BB6_8449 Depth=2
	v_bfe_u32 v14, v2, 23, 8
	v_or_b32_e32 v4, 0x800000, v0
	s_mov_b32 s42, exec_lo
	s_delay_alu instid0(VALU_DEP_2) | instskip(SKIP_1) | instid1(VALU_DEP_2)
	v_dual_mov_b32 v5, v1 :: v_dual_sub_nc_u32 v2, 0x71, v14
	v_cmp_gt_u32_e32 vcc_lo, 0x72, v14
	v_cndmask_b32_e32 v2, 0, v2, vcc_lo
	v_cmp_eq_u32_e32 vcc_lo, 0, v14
	s_delay_alu instid0(VALU_DEP_2) | instskip(NEXT) | instid1(VALU_DEP_1)
	v_cndmask_b32_e64 v15, v2, 0x70, vcc_lo
	v_dual_cndmask_b32 v4, v4, v0, vcc_lo :: v_dual_add_nc_u32 v2, 21, v15
	v_add_nc_u32_e32 v16, 20, v15
	s_delay_alu instid0(VALU_DEP_2) | instskip(NEXT) | instid1(VALU_DEP_2)
	v_lshlrev_b64_e64 v[2:3], v2, -1
	v_lshlrev_b64_e64 v[16:17], v16, 1
	s_delay_alu instid0(VALU_DEP_2) | instskip(NEXT) | instid1(VALU_DEP_3)
	v_bfi_b32 v19, v3, 0, 0
	v_bfi_b32 v18, v2, 0, v4
	v_lshrrev_b64 v[2:3], v15, v[4:5]
	s_delay_alu instid0(VALU_DEP_1) | instskip(NEXT) | instid1(VALU_DEP_3)
	v_mov_b64_e32 v[4:5], v[2:3]
	v_cmpx_eq_u64_e64 v[18:19], v[16:17]
; %bb.9581:                             ;   in Loop: Header=BB6_8449 Depth=2
	v_bfe_u32 v4, v2, 21, 1
	v_mov_b32_e32 v5, v1
	s_delay_alu instid0(VALU_DEP_1) | instskip(NEXT) | instid1(VALU_DEP_1)
	v_add_nc_u64_e32 v[4:5], v[2:3], v[4:5]
	v_add_nc_u64_e32 v[4:5], -1, v[4:5]
; %bb.9582:                             ;   in Loop: Header=BB6_8449 Depth=2
	s_or_b32 exec_lo, exec_lo, s42
	v_add_nc_u32_e32 v0, 0xffffff81, v14
	v_lshrrev_b32_e32 v3, 23, v2
	s_mov_b32 s7, exec_lo
	s_delay_alu instid0(VALU_DEP_2) | instskip(NEXT) | instid1(VALU_DEP_1)
	v_cndmask_b32_e64 v0, v0, 0xffffff82, vcc_lo
	v_add3_u32 v5, v15, v0, v3
	v_and_b32_e32 v0, 0x1fffff, v4
                                        ; implicit-def: $vgpr4
	s_delay_alu instid0(VALU_DEP_1) | instskip(NEXT) | instid1(VALU_DEP_1)
	v_dual_add_nc_u32 v14, 14, v5 :: v_dual_add_nc_u32 v0, v0, v2
                                        ; implicit-def: $vgpr2_vgpr3
	v_cmpx_ne_u32_e32 0, v14
	s_xor_b32 s7, exec_lo, s7
; %bb.9583:                             ;   in Loop: Header=BB6_8449 Depth=2
	s_delay_alu instid0(VALU_DEP_2) | instskip(SKIP_1) | instid1(VALU_DEP_1)
	v_cmp_lt_u64_e32 vcc_lo, 0xffffff, v[0:1]
	v_add_nc_u32_e32 v2, 15, v5
	v_cndmask_b32_e32 v4, v14, v2, vcc_lo
	v_cndmask_b32_e64 v2, 0, 1, vcc_lo
	s_delay_alu instid0(VALU_DEP_1)
	v_lshrrev_b64 v[2:3], v2, v[0:1]
; %bb.9584:                             ;   in Loop: Header=BB6_8449 Depth=2
	s_and_not1_saveexec_b32 s7, s7
; %bb.9585:                             ;   in Loop: Header=BB6_8449 Depth=2
	v_mov_b64_e32 v[2:3], v[0:1]
	v_bfe_u32 v4, v0, 23, 1
; %bb.9586:                             ;   in Loop: Header=BB6_8449 Depth=2
	s_or_b32 exec_lo, exec_lo, s7
	s_delay_alu instid0(VALU_DEP_2) | instskip(NEXT) | instid1(VALU_DEP_2)
	v_lshrrev_b64 v[2:3], 21, v[2:3]
	v_cmp_gt_i32_e32 vcc_lo, 32, v4
	v_min_i32_e32 v0, 31, v4
	v_cmp_eq_u32_e64 s7, 0, v4
	s_delay_alu instid0(VALU_DEP_2) | instskip(SKIP_1) | instid1(VALU_DEP_2)
	v_dual_cndmask_b32 v3, 0, v3 :: v_dual_lshlrev_b32 v0, 2, v0
	v_cndmask_b32_e32 v2, 3, v2, vcc_lo
	v_and_b32_e32 v0, 0xfc, v0
	s_delay_alu instid0(VALU_DEP_2) | instskip(NEXT) | instid1(VALU_DEP_2)
	v_cmp_eq_u64_e32 vcc_lo, 0, v[2:3]
	v_and_or_b32 v0, v2, 3, v0
	s_and_b32 s7, s7, vcc_lo
	s_delay_alu instid0(VALU_DEP_1) | instid1(SALU_CYCLE_1)
	v_cndmask_b32_e64 v0, v0, 0, s7
	s_delay_alu instid0(VALU_DEP_1)
	v_or_b32_e32 v70, v0, v8
.LBB6_9587:                             ;   in Loop: Header=BB6_8449 Depth=2
	s_or_b32 exec_lo, exec_lo, s41
                                        ; implicit-def: $vgpr8
.LBB6_9588:                             ;   in Loop: Header=BB6_8449 Depth=2
	s_and_not1_saveexec_b32 s7, s40
; %bb.9589:                             ;   in Loop: Header=BB6_8449 Depth=2
	v_or_b32_e32 v70, 0x7b, v8
; %bb.9590:                             ;   in Loop: Header=BB6_8449 Depth=2
	s_or_b32 exec_lo, exec_lo, s7
                                        ; implicit-def: $vgpr2
                                        ; implicit-def: $vgpr3
.LBB6_9591:                             ;   in Loop: Header=BB6_8449 Depth=2
	s_and_not1_saveexec_b32 s7, s29
	s_cbranch_execz .LBB6_9597
; %bb.9592:                             ;   in Loop: Header=BB6_8449 Depth=2
	s_mov_b32 s29, exec_lo
                                        ; implicit-def: $vgpr70
	v_cmpx_ne_u64_e32 0, v[0:1]
	s_xor_b32 s29, exec_lo, s29
; %bb.9593:                             ;   in Loop: Header=BB6_8449 Depth=2
	v_or_b32_e32 v70, 0x7f, v3
                                        ; implicit-def: $vgpr2
; %bb.9594:                             ;   in Loop: Header=BB6_8449 Depth=2
	s_and_not1_saveexec_b32 s29, s29
; %bb.9595:                             ;   in Loop: Header=BB6_8449 Depth=2
	v_cmp_lt_i32_e32 vcc_lo, -1, v2
	v_mov_b32_e32 v0, 0x7c
	s_delay_alu instid0(VALU_DEP_1)
	v_cndmask_b32_e32 v70, 0xfc, v0, vcc_lo
; %bb.9596:                             ;   in Loop: Header=BB6_8449 Depth=2
	s_or_b32 exec_lo, exec_lo, s29
.LBB6_9597:                             ;   in Loop: Header=BB6_8449 Depth=2
	s_delay_alu instid0(SALU_CYCLE_1) | instskip(SKIP_2) | instid1(VALU_DEP_1)
	s_or_b32 exec_lo, exec_lo, s7
	v_dual_mov_b32 v3, 0 :: v_dual_lshrrev_b32 v0, 16, v11
	s_mov_b32 s7, exec_lo
	v_and_b32_e32 v2, 0xff, v0
	s_delay_alu instid0(VALU_DEP_1)
	v_cmpx_ne_u16_e32 0, v2
	s_cbranch_execz .LBB6_9607
; %bb.9598:                             ;   in Loop: Header=BB6_8449 Depth=2
	v_bfrev_b32_e32 v3, 1
	s_mov_b32 s29, exec_lo
	v_cmpx_ne_u16_e32 0x80, v2
	s_cbranch_execz .LBB6_9606
; %bb.9599:                             ;   in Loop: Header=BB6_8449 Depth=2
	v_and_b32_e32 v3, 0x7c0000, v11
	v_bfe_u32 v2, v11, 16, 2
	s_delay_alu instid0(VALU_DEP_2) | instskip(SKIP_1) | instid1(SALU_CYCLE_1)
	v_cmp_ne_u32_e32 vcc_lo, 0x7c0000, v3
                                        ; implicit-def: $vgpr3
	s_and_saveexec_b32 s40, vcc_lo
	s_xor_b32 s40, exec_lo, s40
	s_cbranch_execz .LBB6_9603
; %bb.9600:                             ;   in Loop: Header=BB6_8449 Depth=2
	v_bfe_u32 v3, v11, 18, 5
	s_mov_b32 s41, exec_lo
	s_delay_alu instid0(VALU_DEP_1)
	v_cmpx_eq_u32_e32 0, v3
; %bb.9601:                             ;   in Loop: Header=BB6_8449 Depth=2
	v_clz_i32_u32_e32 v2, v2
	s_delay_alu instid0(VALU_DEP_1) | instskip(NEXT) | instid1(VALU_DEP_1)
	v_min_u32_e32 v4, 32, v2
	v_subrev_nc_u32_e32 v2, 29, v4
	s_delay_alu instid0(VALU_DEP_1) | instskip(NEXT) | instid1(VALU_DEP_1)
	v_lshlrev_b64_e32 v[2:3], v2, v[0:1]
	v_dual_sub_nc_u32 v3, 30, v4 :: v_dual_bitop2_b32 v2, 3, v2 bitop3:0x40
; %bb.9602:                             ;   in Loop: Header=BB6_8449 Depth=2
	s_or_b32 exec_lo, exec_lo, s41
	v_lshlrev_b32_e32 v0, 24, v0
	s_delay_alu instid0(VALU_DEP_1) | instskip(NEXT) | instid1(VALU_DEP_1)
	v_and_b32_e32 v0, 0x80000000, v0
	v_lshl_add_u32 v0, v3, 23, v0
	s_delay_alu instid0(VALU_DEP_1) | instskip(NEXT) | instid1(VALU_DEP_1)
	v_lshl_or_b32 v0, v2, 21, v0
                                        ; implicit-def: $vgpr2
	v_add_nc_u32_e32 v3, 0x38000000, v0
                                        ; implicit-def: $vgpr0
.LBB6_9603:                             ;   in Loop: Header=BB6_8449 Depth=2
	s_and_not1_saveexec_b32 s40, s40
; %bb.9604:                             ;   in Loop: Header=BB6_8449 Depth=2
	v_bfe_i32 v0, v0, 0, 8
	s_delay_alu instid0(VALU_DEP_1) | instskip(SKIP_1) | instid1(VALU_DEP_1)
	v_cmp_lt_i16_e32 vcc_lo, -1, v0
	v_mov_b32_e32 v0, 0x7f800000
	v_cndmask_b32_e32 v0, 0xff800000, v0, vcc_lo
	v_cmp_eq_u32_e32 vcc_lo, 0, v2
	s_delay_alu instid0(VALU_DEP_2)
	v_cndmask_b32_e32 v3, 0x7f800001, v0, vcc_lo
; %bb.9605:                             ;   in Loop: Header=BB6_8449 Depth=2
	s_or_b32 exec_lo, exec_lo, s40
.LBB6_9606:                             ;   in Loop: Header=BB6_8449 Depth=2
	s_delay_alu instid0(SALU_CYCLE_1)
	s_or_b32 exec_lo, exec_lo, s29
.LBB6_9607:                             ;   in Loop: Header=BB6_8449 Depth=2
	s_delay_alu instid0(SALU_CYCLE_1) | instskip(NEXT) | instid1(VALU_DEP_1)
	s_or_b32 exec_lo, exec_lo, s7
	v_dual_mul_f32 v2, s28, v3 :: v_dual_mov_b32 v5, v1
                                        ; implicit-def: $vgpr81
	s_mov_b32 s7, exec_lo
	s_delay_alu instid0(VALU_DEP_1) | instskip(SKIP_2) | instid1(VALU_DEP_3)
	v_and_b32_e32 v4, 0x7f800000, v2
	v_and_b32_e32 v0, 0x7fffff, v2
	v_lshrrev_b32_e32 v3, 24, v2
	v_cmpx_ne_u64_e32 0x7f800000, v[4:5]
	s_xor_b32 s29, exec_lo, s7
	s_cbranch_execz .LBB6_9621
; %bb.9608:                             ;   in Loop: Header=BB6_8449 Depth=2
	v_and_b32_e32 v4, 0x7fffffff, v2
	v_mov_b32_e32 v5, v1
	v_and_b32_e32 v8, 0x80, v3
                                        ; implicit-def: $vgpr81
	s_mov_b32 s7, exec_lo
	s_delay_alu instid0(VALU_DEP_2)
	v_cmpx_gt_u64_e32 0x47600001, v[4:5]
	s_xor_b32 s40, exec_lo, s7
	s_cbranch_execz .LBB6_9618
; %bb.9609:                             ;   in Loop: Header=BB6_8449 Depth=2
	v_mov_b32_e32 v81, 0
	s_mov_b32 s41, exec_lo
	v_cmpx_ne_u32_e32 0, v2
	s_cbranch_execz .LBB6_9617
; %bb.9610:                             ;   in Loop: Header=BB6_8449 Depth=2
	v_bfe_u32 v14, v2, 23, 8
	v_or_b32_e32 v4, 0x800000, v0
	s_mov_b32 s42, exec_lo
	s_delay_alu instid0(VALU_DEP_2) | instskip(SKIP_1) | instid1(VALU_DEP_2)
	v_dual_mov_b32 v5, v1 :: v_dual_sub_nc_u32 v2, 0x71, v14
	v_cmp_gt_u32_e32 vcc_lo, 0x72, v14
	v_cndmask_b32_e32 v2, 0, v2, vcc_lo
	v_cmp_eq_u32_e32 vcc_lo, 0, v14
	s_delay_alu instid0(VALU_DEP_2) | instskip(NEXT) | instid1(VALU_DEP_1)
	v_cndmask_b32_e64 v15, v2, 0x70, vcc_lo
	v_dual_cndmask_b32 v4, v4, v0, vcc_lo :: v_dual_add_nc_u32 v2, 21, v15
	v_add_nc_u32_e32 v16, 20, v15
	s_delay_alu instid0(VALU_DEP_2) | instskip(NEXT) | instid1(VALU_DEP_2)
	v_lshlrev_b64_e64 v[2:3], v2, -1
	v_lshlrev_b64_e64 v[16:17], v16, 1
	s_delay_alu instid0(VALU_DEP_2) | instskip(NEXT) | instid1(VALU_DEP_3)
	v_bfi_b32 v19, v3, 0, 0
	v_bfi_b32 v18, v2, 0, v4
	v_lshrrev_b64 v[2:3], v15, v[4:5]
	s_delay_alu instid0(VALU_DEP_1) | instskip(NEXT) | instid1(VALU_DEP_3)
	v_mov_b64_e32 v[4:5], v[2:3]
	v_cmpx_eq_u64_e64 v[18:19], v[16:17]
; %bb.9611:                             ;   in Loop: Header=BB6_8449 Depth=2
	v_bfe_u32 v4, v2, 21, 1
	v_mov_b32_e32 v5, v1
	s_delay_alu instid0(VALU_DEP_1) | instskip(NEXT) | instid1(VALU_DEP_1)
	v_add_nc_u64_e32 v[4:5], v[2:3], v[4:5]
	v_add_nc_u64_e32 v[4:5], -1, v[4:5]
; %bb.9612:                             ;   in Loop: Header=BB6_8449 Depth=2
	s_or_b32 exec_lo, exec_lo, s42
	v_add_nc_u32_e32 v0, 0xffffff81, v14
	v_lshrrev_b32_e32 v3, 23, v2
	s_mov_b32 s7, exec_lo
	s_delay_alu instid0(VALU_DEP_2) | instskip(NEXT) | instid1(VALU_DEP_1)
	v_cndmask_b32_e64 v0, v0, 0xffffff82, vcc_lo
	v_add3_u32 v5, v15, v0, v3
	v_and_b32_e32 v0, 0x1fffff, v4
                                        ; implicit-def: $vgpr4
	s_delay_alu instid0(VALU_DEP_1) | instskip(NEXT) | instid1(VALU_DEP_1)
	v_dual_add_nc_u32 v14, 14, v5 :: v_dual_add_nc_u32 v0, v0, v2
                                        ; implicit-def: $vgpr2_vgpr3
	v_cmpx_ne_u32_e32 0, v14
	s_xor_b32 s7, exec_lo, s7
; %bb.9613:                             ;   in Loop: Header=BB6_8449 Depth=2
	s_delay_alu instid0(VALU_DEP_2) | instskip(SKIP_1) | instid1(VALU_DEP_1)
	v_cmp_lt_u64_e32 vcc_lo, 0xffffff, v[0:1]
	v_add_nc_u32_e32 v2, 15, v5
	v_cndmask_b32_e32 v4, v14, v2, vcc_lo
	v_cndmask_b32_e64 v2, 0, 1, vcc_lo
	s_delay_alu instid0(VALU_DEP_1)
	v_lshrrev_b64 v[2:3], v2, v[0:1]
; %bb.9614:                             ;   in Loop: Header=BB6_8449 Depth=2
	s_and_not1_saveexec_b32 s7, s7
; %bb.9615:                             ;   in Loop: Header=BB6_8449 Depth=2
	v_mov_b64_e32 v[2:3], v[0:1]
	v_bfe_u32 v4, v0, 23, 1
; %bb.9616:                             ;   in Loop: Header=BB6_8449 Depth=2
	s_or_b32 exec_lo, exec_lo, s7
	s_delay_alu instid0(VALU_DEP_2) | instskip(NEXT) | instid1(VALU_DEP_2)
	v_lshrrev_b64 v[2:3], 21, v[2:3]
	v_cmp_gt_i32_e32 vcc_lo, 32, v4
	v_min_i32_e32 v0, 31, v4
	v_cmp_eq_u32_e64 s7, 0, v4
	s_delay_alu instid0(VALU_DEP_2) | instskip(SKIP_1) | instid1(VALU_DEP_2)
	v_dual_cndmask_b32 v3, 0, v3 :: v_dual_lshlrev_b32 v0, 2, v0
	v_cndmask_b32_e32 v2, 3, v2, vcc_lo
	v_and_b32_e32 v0, 0xfc, v0
	s_delay_alu instid0(VALU_DEP_2) | instskip(NEXT) | instid1(VALU_DEP_2)
	v_cmp_eq_u64_e32 vcc_lo, 0, v[2:3]
	v_and_or_b32 v0, v2, 3, v0
	s_and_b32 s7, s7, vcc_lo
	s_delay_alu instid0(VALU_DEP_1) | instid1(SALU_CYCLE_1)
	v_cndmask_b32_e64 v0, v0, 0, s7
	s_delay_alu instid0(VALU_DEP_1)
	v_or_b32_e32 v81, v0, v8
.LBB6_9617:                             ;   in Loop: Header=BB6_8449 Depth=2
	s_or_b32 exec_lo, exec_lo, s41
                                        ; implicit-def: $vgpr8
.LBB6_9618:                             ;   in Loop: Header=BB6_8449 Depth=2
	s_and_not1_saveexec_b32 s7, s40
; %bb.9619:                             ;   in Loop: Header=BB6_8449 Depth=2
	v_or_b32_e32 v81, 0x7b, v8
; %bb.9620:                             ;   in Loop: Header=BB6_8449 Depth=2
	s_or_b32 exec_lo, exec_lo, s7
                                        ; implicit-def: $vgpr2
                                        ; implicit-def: $vgpr3
.LBB6_9621:                             ;   in Loop: Header=BB6_8449 Depth=2
	s_and_not1_saveexec_b32 s7, s29
	s_cbranch_execz .LBB6_9627
; %bb.9622:                             ;   in Loop: Header=BB6_8449 Depth=2
	s_mov_b32 s29, exec_lo
                                        ; implicit-def: $vgpr81
	v_cmpx_ne_u64_e32 0, v[0:1]
	s_xor_b32 s29, exec_lo, s29
; %bb.9623:                             ;   in Loop: Header=BB6_8449 Depth=2
	v_or_b32_e32 v81, 0x7f, v3
                                        ; implicit-def: $vgpr2
; %bb.9624:                             ;   in Loop: Header=BB6_8449 Depth=2
	s_and_not1_saveexec_b32 s29, s29
; %bb.9625:                             ;   in Loop: Header=BB6_8449 Depth=2
	v_cmp_lt_i32_e32 vcc_lo, -1, v2
	v_mov_b32_e32 v0, 0x7c
	s_delay_alu instid0(VALU_DEP_1)
	v_cndmask_b32_e32 v81, 0xfc, v0, vcc_lo
; %bb.9626:                             ;   in Loop: Header=BB6_8449 Depth=2
	s_or_b32 exec_lo, exec_lo, s29
.LBB6_9627:                             ;   in Loop: Header=BB6_8449 Depth=2
	s_delay_alu instid0(SALU_CYCLE_1)
	s_or_b32 exec_lo, exec_lo, s7
	v_mov_b32_e32 v2, 0
	s_mov_b32 s7, exec_lo
	v_cmpx_lt_u64_e64 s[12:13], v[10:11]
	s_cbranch_execz .LBB6_9637
; %bb.9628:                             ;   in Loop: Header=BB6_8449 Depth=2
	v_lshrrev_b32_e32 v0, 24, v11
	v_bfrev_b32_e32 v2, 1
	s_mov_b32 s29, exec_lo
	s_delay_alu instid0(VALU_DEP_2)
	v_cmpx_ne_u32_e32 0x80, v0
	s_cbranch_execz .LBB6_9636
; %bb.9629:                             ;   in Loop: Header=BB6_8449 Depth=2
	v_and_b32_e32 v2, 0x7c000000, v11
	v_bfe_u32 v3, v11, 24, 2
	s_delay_alu instid0(VALU_DEP_2) | instskip(SKIP_1) | instid1(SALU_CYCLE_1)
	v_cmp_ne_u32_e32 vcc_lo, 0x7c000000, v2
                                        ; implicit-def: $vgpr2
	s_and_saveexec_b32 s40, vcc_lo
	s_xor_b32 s40, exec_lo, s40
	s_cbranch_execz .LBB6_9633
; %bb.9630:                             ;   in Loop: Header=BB6_8449 Depth=2
	v_bfe_u32 v2, v11, 26, 5
	s_mov_b32 s41, exec_lo
	s_delay_alu instid0(VALU_DEP_1)
	v_cmpx_eq_u32_e32 0, v2
; %bb.9631:                             ;   in Loop: Header=BB6_8449 Depth=2
	v_clz_i32_u32_e32 v2, v3
	s_delay_alu instid0(VALU_DEP_1) | instskip(NEXT) | instid1(VALU_DEP_1)
	v_min_u32_e32 v2, 32, v2
	v_subrev_nc_u32_e32 v3, 29, v2
	s_delay_alu instid0(VALU_DEP_1) | instskip(NEXT) | instid1(VALU_DEP_1)
	v_lshlrev_b64_e32 v[4:5], v3, v[0:1]
	v_dual_sub_nc_u32 v2, 30, v2 :: v_dual_bitop2_b32 v3, 3, v4 bitop3:0x40
; %bb.9632:                             ;   in Loop: Header=BB6_8449 Depth=2
	s_or_b32 exec_lo, exec_lo, s41
	v_and_b32_e32 v0, 0x80000000, v11
	s_delay_alu instid0(VALU_DEP_1) | instskip(NEXT) | instid1(VALU_DEP_1)
	v_lshl_add_u32 v0, v2, 23, v0
	v_lshl_or_b32 v0, v3, 21, v0
                                        ; implicit-def: $vgpr3
	s_delay_alu instid0(VALU_DEP_1)
	v_add_nc_u32_e32 v2, 0x38000000, v0
.LBB6_9633:                             ;   in Loop: Header=BB6_8449 Depth=2
	s_and_not1_saveexec_b32 s40, s40
; %bb.9634:                             ;   in Loop: Header=BB6_8449 Depth=2
	v_cmp_lt_i64_e32 vcc_lo, -1, v[10:11]
	v_mov_b32_e32 v0, 0x7f800000
	s_delay_alu instid0(VALU_DEP_1) | instskip(SKIP_1) | instid1(VALU_DEP_2)
	v_cndmask_b32_e32 v0, 0xff800000, v0, vcc_lo
	v_cmp_eq_u32_e32 vcc_lo, 0, v3
	v_cndmask_b32_e32 v2, 0x7f800001, v0, vcc_lo
; %bb.9635:                             ;   in Loop: Header=BB6_8449 Depth=2
	s_or_b32 exec_lo, exec_lo, s40
.LBB6_9636:                             ;   in Loop: Header=BB6_8449 Depth=2
	s_delay_alu instid0(SALU_CYCLE_1)
	s_or_b32 exec_lo, exec_lo, s29
.LBB6_9637:                             ;   in Loop: Header=BB6_8449 Depth=2
	s_delay_alu instid0(SALU_CYCLE_1) | instskip(NEXT) | instid1(VALU_DEP_1)
	s_or_b32 exec_lo, exec_lo, s7
	v_dual_mul_f32 v2, s28, v2 :: v_dual_mov_b32 v5, v1
                                        ; implicit-def: $vgpr84
	s_mov_b32 s7, exec_lo
	s_delay_alu instid0(VALU_DEP_1) | instskip(SKIP_2) | instid1(VALU_DEP_3)
	v_and_b32_e32 v4, 0x7f800000, v2
	v_and_b32_e32 v0, 0x7fffff, v2
	v_lshrrev_b32_e32 v3, 24, v2
	v_cmpx_ne_u64_e32 0x7f800000, v[4:5]
	s_xor_b32 s29, exec_lo, s7
	s_cbranch_execz .LBB6_9651
; %bb.9638:                             ;   in Loop: Header=BB6_8449 Depth=2
	v_and_b32_e32 v4, 0x7fffffff, v2
	v_mov_b32_e32 v5, v1
	v_and_b32_e32 v8, 0x80, v3
                                        ; implicit-def: $vgpr84
	s_mov_b32 s7, exec_lo
	s_delay_alu instid0(VALU_DEP_2)
	v_cmpx_gt_u64_e32 0x47600001, v[4:5]
	s_xor_b32 s40, exec_lo, s7
	s_cbranch_execz .LBB6_9648
; %bb.9639:                             ;   in Loop: Header=BB6_8449 Depth=2
	v_mov_b32_e32 v84, 0
	s_mov_b32 s41, exec_lo
	v_cmpx_ne_u32_e32 0, v2
	s_cbranch_execz .LBB6_9647
; %bb.9640:                             ;   in Loop: Header=BB6_8449 Depth=2
	v_bfe_u32 v10, v2, 23, 8
	v_or_b32_e32 v4, 0x800000, v0
	s_mov_b32 s42, exec_lo
	s_delay_alu instid0(VALU_DEP_2) | instskip(SKIP_1) | instid1(VALU_DEP_2)
	v_dual_mov_b32 v5, v1 :: v_dual_sub_nc_u32 v2, 0x71, v10
	v_cmp_gt_u32_e32 vcc_lo, 0x72, v10
	v_cndmask_b32_e32 v2, 0, v2, vcc_lo
	v_cmp_eq_u32_e32 vcc_lo, 0, v10
	s_delay_alu instid0(VALU_DEP_2) | instskip(NEXT) | instid1(VALU_DEP_1)
	v_cndmask_b32_e64 v11, v2, 0x70, vcc_lo
	v_dual_cndmask_b32 v4, v4, v0, vcc_lo :: v_dual_add_nc_u32 v2, 21, v11
	v_add_nc_u32_e32 v14, 20, v11
	s_delay_alu instid0(VALU_DEP_2) | instskip(NEXT) | instid1(VALU_DEP_2)
	v_lshlrev_b64_e64 v[2:3], v2, -1
	v_lshlrev_b64_e64 v[14:15], v14, 1
	s_delay_alu instid0(VALU_DEP_2) | instskip(NEXT) | instid1(VALU_DEP_3)
	v_bfi_b32 v17, v3, 0, 0
	v_bfi_b32 v16, v2, 0, v4
	v_lshrrev_b64 v[2:3], v11, v[4:5]
	s_delay_alu instid0(VALU_DEP_1) | instskip(NEXT) | instid1(VALU_DEP_3)
	v_mov_b64_e32 v[4:5], v[2:3]
	v_cmpx_eq_u64_e64 v[16:17], v[14:15]
; %bb.9641:                             ;   in Loop: Header=BB6_8449 Depth=2
	v_bfe_u32 v4, v2, 21, 1
	v_mov_b32_e32 v5, v1
	s_delay_alu instid0(VALU_DEP_1) | instskip(NEXT) | instid1(VALU_DEP_1)
	v_add_nc_u64_e32 v[4:5], v[2:3], v[4:5]
	v_add_nc_u64_e32 v[4:5], -1, v[4:5]
; %bb.9642:                             ;   in Loop: Header=BB6_8449 Depth=2
	s_or_b32 exec_lo, exec_lo, s42
	v_add_nc_u32_e32 v0, 0xffffff81, v10
	v_lshrrev_b32_e32 v3, 23, v2
	s_mov_b32 s7, exec_lo
	s_delay_alu instid0(VALU_DEP_2) | instskip(NEXT) | instid1(VALU_DEP_1)
	v_cndmask_b32_e64 v0, v0, 0xffffff82, vcc_lo
	v_add3_u32 v5, v11, v0, v3
	v_and_b32_e32 v0, 0x1fffff, v4
                                        ; implicit-def: $vgpr4
	s_delay_alu instid0(VALU_DEP_1) | instskip(NEXT) | instid1(VALU_DEP_1)
	v_dual_add_nc_u32 v10, 14, v5 :: v_dual_add_nc_u32 v0, v0, v2
                                        ; implicit-def: $vgpr2_vgpr3
	v_cmpx_ne_u32_e32 0, v10
	s_xor_b32 s7, exec_lo, s7
; %bb.9643:                             ;   in Loop: Header=BB6_8449 Depth=2
	s_delay_alu instid0(VALU_DEP_2) | instskip(SKIP_1) | instid1(VALU_DEP_1)
	v_cmp_lt_u64_e32 vcc_lo, 0xffffff, v[0:1]
	v_add_nc_u32_e32 v2, 15, v5
	v_cndmask_b32_e32 v4, v10, v2, vcc_lo
	v_cndmask_b32_e64 v2, 0, 1, vcc_lo
	s_delay_alu instid0(VALU_DEP_1)
	v_lshrrev_b64 v[2:3], v2, v[0:1]
; %bb.9644:                             ;   in Loop: Header=BB6_8449 Depth=2
	s_and_not1_saveexec_b32 s7, s7
; %bb.9645:                             ;   in Loop: Header=BB6_8449 Depth=2
	v_mov_b64_e32 v[2:3], v[0:1]
	v_bfe_u32 v4, v0, 23, 1
; %bb.9646:                             ;   in Loop: Header=BB6_8449 Depth=2
	s_or_b32 exec_lo, exec_lo, s7
	s_delay_alu instid0(VALU_DEP_2) | instskip(NEXT) | instid1(VALU_DEP_2)
	v_lshrrev_b64 v[2:3], 21, v[2:3]
	v_cmp_gt_i32_e32 vcc_lo, 32, v4
	v_min_i32_e32 v0, 31, v4
	v_cmp_eq_u32_e64 s7, 0, v4
	s_delay_alu instid0(VALU_DEP_2) | instskip(SKIP_1) | instid1(VALU_DEP_2)
	v_dual_cndmask_b32 v3, 0, v3 :: v_dual_lshlrev_b32 v0, 2, v0
	v_cndmask_b32_e32 v2, 3, v2, vcc_lo
	v_and_b32_e32 v0, 0xfc, v0
	s_delay_alu instid0(VALU_DEP_2) | instskip(NEXT) | instid1(VALU_DEP_2)
	v_cmp_eq_u64_e32 vcc_lo, 0, v[2:3]
	v_and_or_b32 v0, v2, 3, v0
	s_and_b32 s7, s7, vcc_lo
	s_delay_alu instid0(VALU_DEP_1) | instid1(SALU_CYCLE_1)
	v_cndmask_b32_e64 v0, v0, 0, s7
	s_delay_alu instid0(VALU_DEP_1)
	v_or_b32_e32 v84, v0, v8
.LBB6_9647:                             ;   in Loop: Header=BB6_8449 Depth=2
	s_or_b32 exec_lo, exec_lo, s41
                                        ; implicit-def: $vgpr8
.LBB6_9648:                             ;   in Loop: Header=BB6_8449 Depth=2
	s_and_not1_saveexec_b32 s7, s40
; %bb.9649:                             ;   in Loop: Header=BB6_8449 Depth=2
	v_or_b32_e32 v84, 0x7b, v8
; %bb.9650:                             ;   in Loop: Header=BB6_8449 Depth=2
	s_or_b32 exec_lo, exec_lo, s7
                                        ; implicit-def: $vgpr2
                                        ; implicit-def: $vgpr3
.LBB6_9651:                             ;   in Loop: Header=BB6_8449 Depth=2
	s_and_not1_saveexec_b32 s7, s29
	s_cbranch_execz .LBB6_9657
; %bb.9652:                             ;   in Loop: Header=BB6_8449 Depth=2
	s_mov_b32 s29, exec_lo
                                        ; implicit-def: $vgpr84
	v_cmpx_ne_u64_e32 0, v[0:1]
	s_xor_b32 s29, exec_lo, s29
; %bb.9653:                             ;   in Loop: Header=BB6_8449 Depth=2
	v_or_b32_e32 v84, 0x7f, v3
                                        ; implicit-def: $vgpr2
; %bb.9654:                             ;   in Loop: Header=BB6_8449 Depth=2
	s_and_not1_saveexec_b32 s29, s29
; %bb.9655:                             ;   in Loop: Header=BB6_8449 Depth=2
	v_cmp_lt_i32_e32 vcc_lo, -1, v2
	v_mov_b32_e32 v0, 0x7c
	s_delay_alu instid0(VALU_DEP_1)
	v_cndmask_b32_e32 v84, 0xfc, v0, vcc_lo
; %bb.9656:                             ;   in Loop: Header=BB6_8449 Depth=2
	s_or_b32 exec_lo, exec_lo, s29
.LBB6_9657:                             ;   in Loop: Header=BB6_8449 Depth=2
	s_delay_alu instid0(SALU_CYCLE_1) | instskip(SKIP_1) | instid1(VALU_DEP_1)
	s_or_b32 exec_lo, exec_lo, s7
	v_and_b32_e32 v0, 0xff, v12
	v_cmp_ne_u16_e32 vcc_lo, 0, v0
	v_mov_b32_e32 v0, 0
	s_and_saveexec_b32 s7, vcc_lo
	s_cbranch_execz .LBB6_9667
; %bb.9658:                             ;   in Loop: Header=BB6_8449 Depth=2
	v_bfe_i32 v3, v12, 0, 8
	v_bfrev_b32_e32 v0, 1
	s_mov_b32 s29, exec_lo
	s_delay_alu instid0(VALU_DEP_2)
	v_cmpx_ne_u16_e32 0xff80, v3
	s_cbranch_execz .LBB6_9666
; %bb.9659:                             ;   in Loop: Header=BB6_8449 Depth=2
	v_and_b32_e32 v0, 0x7c, v12
	v_and_b32_e32 v2, 3, v12
	s_delay_alu instid0(VALU_DEP_2) | instskip(SKIP_1) | instid1(SALU_CYCLE_1)
	v_cmp_ne_u32_e32 vcc_lo, 0x7c, v0
                                        ; implicit-def: $vgpr0
	s_and_saveexec_b32 s40, vcc_lo
	s_xor_b32 s40, exec_lo, s40
	s_cbranch_execz .LBB6_9663
; %bb.9660:                             ;   in Loop: Header=BB6_8449 Depth=2
	v_bfe_u32 v0, v12, 2, 5
	s_mov_b32 s41, exec_lo
	s_delay_alu instid0(VALU_DEP_1)
	v_cmpx_eq_u32_e32 0, v0
; %bb.9661:                             ;   in Loop: Header=BB6_8449 Depth=2
	v_clz_i32_u32_e32 v0, v2
	s_delay_alu instid0(VALU_DEP_1) | instskip(NEXT) | instid1(VALU_DEP_1)
	v_min_u32_e32 v0, 32, v0
	v_subrev_nc_u32_e32 v2, 29, v0
	s_delay_alu instid0(VALU_DEP_1) | instskip(NEXT) | instid1(VALU_DEP_1)
	v_lshlrev_b64_e32 v[2:3], v2, v[12:13]
	v_dual_sub_nc_u32 v0, 30, v0 :: v_dual_bitop2_b32 v2, 3, v2 bitop3:0x40
; %bb.9662:                             ;   in Loop: Header=BB6_8449 Depth=2
	s_or_b32 exec_lo, exec_lo, s41
	v_lshlrev_b32_e32 v3, 24, v12
	s_delay_alu instid0(VALU_DEP_1) | instskip(NEXT) | instid1(VALU_DEP_1)
	v_and_b32_e32 v3, 0x80000000, v3
	v_lshl_add_u32 v0, v0, 23, v3
                                        ; implicit-def: $vgpr3
	s_delay_alu instid0(VALU_DEP_1) | instskip(NEXT) | instid1(VALU_DEP_1)
	v_lshl_or_b32 v0, v2, 21, v0
                                        ; implicit-def: $vgpr2
	v_add_nc_u32_e32 v0, 0x38000000, v0
.LBB6_9663:                             ;   in Loop: Header=BB6_8449 Depth=2
	s_and_not1_saveexec_b32 s40, s40
; %bb.9664:                             ;   in Loop: Header=BB6_8449 Depth=2
	v_cmp_lt_i16_e32 vcc_lo, -1, v3
	v_mov_b32_e32 v0, 0x7f800000
	s_delay_alu instid0(VALU_DEP_1) | instskip(SKIP_1) | instid1(VALU_DEP_2)
	v_cndmask_b32_e32 v0, 0xff800000, v0, vcc_lo
	v_cmp_eq_u32_e32 vcc_lo, 0, v2
	v_cndmask_b32_e32 v0, 0x7f800001, v0, vcc_lo
; %bb.9665:                             ;   in Loop: Header=BB6_8449 Depth=2
	s_or_b32 exec_lo, exec_lo, s40
.LBB6_9666:                             ;   in Loop: Header=BB6_8449 Depth=2
	s_delay_alu instid0(SALU_CYCLE_1)
	s_or_b32 exec_lo, exec_lo, s29
.LBB6_9667:                             ;   in Loop: Header=BB6_8449 Depth=2
	s_delay_alu instid0(SALU_CYCLE_1) | instskip(NEXT) | instid1(VALU_DEP_1)
	s_or_b32 exec_lo, exec_lo, s7
	v_dual_mul_f32 v2, s28, v0 :: v_dual_mov_b32 v5, v1
                                        ; implicit-def: $vgpr55
	s_mov_b32 s7, exec_lo
	s_delay_alu instid0(VALU_DEP_1) | instskip(SKIP_2) | instid1(VALU_DEP_3)
	v_and_b32_e32 v4, 0x7f800000, v2
	v_and_b32_e32 v0, 0x7fffff, v2
	v_lshrrev_b32_e32 v3, 24, v2
	v_cmpx_ne_u64_e32 0x7f800000, v[4:5]
	s_xor_b32 s29, exec_lo, s7
	s_cbranch_execz .LBB6_9681
; %bb.9668:                             ;   in Loop: Header=BB6_8449 Depth=2
	v_and_b32_e32 v4, 0x7fffffff, v2
	v_mov_b32_e32 v5, v1
	v_and_b32_e32 v8, 0x80, v3
                                        ; implicit-def: $vgpr55
	s_mov_b32 s7, exec_lo
	s_delay_alu instid0(VALU_DEP_2)
	v_cmpx_gt_u64_e32 0x47600001, v[4:5]
	s_xor_b32 s40, exec_lo, s7
	s_cbranch_execz .LBB6_9678
; %bb.9669:                             ;   in Loop: Header=BB6_8449 Depth=2
	v_mov_b32_e32 v55, 0
	s_mov_b32 s41, exec_lo
	v_cmpx_ne_u32_e32 0, v2
	s_cbranch_execz .LBB6_9677
; %bb.9670:                             ;   in Loop: Header=BB6_8449 Depth=2
	v_bfe_u32 v10, v2, 23, 8
	v_or_b32_e32 v4, 0x800000, v0
	s_mov_b32 s42, exec_lo
	s_delay_alu instid0(VALU_DEP_2) | instskip(SKIP_1) | instid1(VALU_DEP_2)
	v_dual_mov_b32 v5, v1 :: v_dual_sub_nc_u32 v2, 0x71, v10
	v_cmp_gt_u32_e32 vcc_lo, 0x72, v10
	v_cndmask_b32_e32 v2, 0, v2, vcc_lo
	v_cmp_eq_u32_e32 vcc_lo, 0, v10
	s_delay_alu instid0(VALU_DEP_2) | instskip(NEXT) | instid1(VALU_DEP_1)
	v_cndmask_b32_e64 v11, v2, 0x70, vcc_lo
	v_dual_cndmask_b32 v4, v4, v0, vcc_lo :: v_dual_add_nc_u32 v2, 21, v11
	v_add_nc_u32_e32 v14, 20, v11
	s_delay_alu instid0(VALU_DEP_2) | instskip(NEXT) | instid1(VALU_DEP_2)
	v_lshlrev_b64_e64 v[2:3], v2, -1
	v_lshlrev_b64_e64 v[14:15], v14, 1
	s_delay_alu instid0(VALU_DEP_2) | instskip(NEXT) | instid1(VALU_DEP_3)
	v_bfi_b32 v17, v3, 0, 0
	v_bfi_b32 v16, v2, 0, v4
	v_lshrrev_b64 v[2:3], v11, v[4:5]
	s_delay_alu instid0(VALU_DEP_1) | instskip(NEXT) | instid1(VALU_DEP_3)
	v_mov_b64_e32 v[4:5], v[2:3]
	v_cmpx_eq_u64_e64 v[16:17], v[14:15]
; %bb.9671:                             ;   in Loop: Header=BB6_8449 Depth=2
	v_bfe_u32 v4, v2, 21, 1
	v_mov_b32_e32 v5, v1
	s_delay_alu instid0(VALU_DEP_1) | instskip(NEXT) | instid1(VALU_DEP_1)
	v_add_nc_u64_e32 v[4:5], v[2:3], v[4:5]
	v_add_nc_u64_e32 v[4:5], -1, v[4:5]
; %bb.9672:                             ;   in Loop: Header=BB6_8449 Depth=2
	s_or_b32 exec_lo, exec_lo, s42
	v_add_nc_u32_e32 v0, 0xffffff81, v10
	v_lshrrev_b32_e32 v3, 23, v2
	s_mov_b32 s7, exec_lo
	s_delay_alu instid0(VALU_DEP_2) | instskip(NEXT) | instid1(VALU_DEP_1)
	v_cndmask_b32_e64 v0, v0, 0xffffff82, vcc_lo
	v_add3_u32 v5, v11, v0, v3
	v_and_b32_e32 v0, 0x1fffff, v4
                                        ; implicit-def: $vgpr4
	s_delay_alu instid0(VALU_DEP_1) | instskip(NEXT) | instid1(VALU_DEP_1)
	v_dual_add_nc_u32 v10, 14, v5 :: v_dual_add_nc_u32 v0, v0, v2
                                        ; implicit-def: $vgpr2_vgpr3
	v_cmpx_ne_u32_e32 0, v10
	s_xor_b32 s7, exec_lo, s7
; %bb.9673:                             ;   in Loop: Header=BB6_8449 Depth=2
	s_delay_alu instid0(VALU_DEP_2) | instskip(SKIP_1) | instid1(VALU_DEP_1)
	v_cmp_lt_u64_e32 vcc_lo, 0xffffff, v[0:1]
	v_add_nc_u32_e32 v2, 15, v5
	v_cndmask_b32_e32 v4, v10, v2, vcc_lo
	v_cndmask_b32_e64 v2, 0, 1, vcc_lo
	s_delay_alu instid0(VALU_DEP_1)
	v_lshrrev_b64 v[2:3], v2, v[0:1]
; %bb.9674:                             ;   in Loop: Header=BB6_8449 Depth=2
	s_and_not1_saveexec_b32 s7, s7
; %bb.9675:                             ;   in Loop: Header=BB6_8449 Depth=2
	v_mov_b64_e32 v[2:3], v[0:1]
	v_bfe_u32 v4, v0, 23, 1
; %bb.9676:                             ;   in Loop: Header=BB6_8449 Depth=2
	s_or_b32 exec_lo, exec_lo, s7
	s_delay_alu instid0(VALU_DEP_2) | instskip(NEXT) | instid1(VALU_DEP_2)
	v_lshrrev_b64 v[2:3], 21, v[2:3]
	v_cmp_gt_i32_e32 vcc_lo, 32, v4
	v_min_i32_e32 v0, 31, v4
	v_cmp_eq_u32_e64 s7, 0, v4
	s_delay_alu instid0(VALU_DEP_2) | instskip(SKIP_1) | instid1(VALU_DEP_2)
	v_dual_cndmask_b32 v3, 0, v3 :: v_dual_lshlrev_b32 v0, 2, v0
	v_cndmask_b32_e32 v2, 3, v2, vcc_lo
	v_and_b32_e32 v0, 0xfc, v0
	s_delay_alu instid0(VALU_DEP_2) | instskip(NEXT) | instid1(VALU_DEP_2)
	v_cmp_eq_u64_e32 vcc_lo, 0, v[2:3]
	v_and_or_b32 v0, v2, 3, v0
	s_and_b32 s7, s7, vcc_lo
	s_delay_alu instid0(VALU_DEP_1) | instid1(SALU_CYCLE_1)
	v_cndmask_b32_e64 v0, v0, 0, s7
	s_delay_alu instid0(VALU_DEP_1)
	v_or_b32_e32 v55, v0, v8
.LBB6_9677:                             ;   in Loop: Header=BB6_8449 Depth=2
	s_or_b32 exec_lo, exec_lo, s41
                                        ; implicit-def: $vgpr8
.LBB6_9678:                             ;   in Loop: Header=BB6_8449 Depth=2
	s_and_not1_saveexec_b32 s7, s40
; %bb.9679:                             ;   in Loop: Header=BB6_8449 Depth=2
	v_or_b32_e32 v55, 0x7b, v8
; %bb.9680:                             ;   in Loop: Header=BB6_8449 Depth=2
	s_or_b32 exec_lo, exec_lo, s7
                                        ; implicit-def: $vgpr2
                                        ; implicit-def: $vgpr3
.LBB6_9681:                             ;   in Loop: Header=BB6_8449 Depth=2
	s_and_not1_saveexec_b32 s7, s29
	s_cbranch_execz .LBB6_9687
; %bb.9682:                             ;   in Loop: Header=BB6_8449 Depth=2
	s_mov_b32 s29, exec_lo
                                        ; implicit-def: $vgpr55
	v_cmpx_ne_u64_e32 0, v[0:1]
	s_xor_b32 s29, exec_lo, s29
; %bb.9683:                             ;   in Loop: Header=BB6_8449 Depth=2
	v_or_b32_e32 v55, 0x7f, v3
                                        ; implicit-def: $vgpr2
; %bb.9684:                             ;   in Loop: Header=BB6_8449 Depth=2
	s_and_not1_saveexec_b32 s29, s29
; %bb.9685:                             ;   in Loop: Header=BB6_8449 Depth=2
	v_cmp_lt_i32_e32 vcc_lo, -1, v2
	v_mov_b32_e32 v0, 0x7c
	s_delay_alu instid0(VALU_DEP_1)
	v_cndmask_b32_e32 v55, 0xfc, v0, vcc_lo
; %bb.9686:                             ;   in Loop: Header=BB6_8449 Depth=2
	s_or_b32 exec_lo, exec_lo, s29
.LBB6_9687:                             ;   in Loop: Header=BB6_8449 Depth=2
	s_delay_alu instid0(SALU_CYCLE_1) | instskip(SKIP_3) | instid1(VALU_DEP_2)
	s_or_b32 exec_lo, exec_lo, s7
	v_lshrrev_b16 v2, 8, v12
	v_mov_b32_e32 v3, 0
	s_mov_b32 s7, exec_lo
	v_cmpx_ne_u16_e32 0, v2
	s_cbranch_execz .LBB6_9697
; %bb.9688:                             ;   in Loop: Header=BB6_8449 Depth=2
	v_bfrev_b32_e32 v3, 1
	s_mov_b32 s29, exec_lo
	v_cmpx_ne_u16_e32 0x80, v2
	s_cbranch_execz .LBB6_9696
; %bb.9689:                             ;   in Loop: Header=BB6_8449 Depth=2
	v_and_b32_e32 v4, 0xffff, v2
	s_delay_alu instid0(VALU_DEP_1) | instskip(SKIP_1) | instid1(VALU_DEP_2)
	v_and_b32_e32 v3, 0x7c, v4
	v_and_b32_e32 v0, 3, v4
	v_cmp_ne_u32_e32 vcc_lo, 0x7c, v3
                                        ; implicit-def: $vgpr3
	s_and_saveexec_b32 s40, vcc_lo
	s_delay_alu instid0(SALU_CYCLE_1)
	s_xor_b32 s40, exec_lo, s40
	s_cbranch_execz .LBB6_9693
; %bb.9690:                             ;   in Loop: Header=BB6_8449 Depth=2
	v_bfe_u32 v3, v4, 2, 5
	s_mov_b32 s41, exec_lo
	s_delay_alu instid0(VALU_DEP_1)
	v_cmpx_eq_u32_e32 0, v3
; %bb.9691:                             ;   in Loop: Header=BB6_8449 Depth=2
	v_clz_i32_u32_e32 v0, v0
	v_mov_b32_e32 v3, v1
	s_delay_alu instid0(VALU_DEP_2) | instskip(NEXT) | instid1(VALU_DEP_1)
	v_min_u32_e32 v0, 32, v0
	v_subrev_nc_u32_e32 v4, 29, v0
	s_delay_alu instid0(VALU_DEP_1) | instskip(NEXT) | instid1(VALU_DEP_1)
	v_lshlrev_b64_e32 v[2:3], v4, v[2:3]
	v_dual_sub_nc_u32 v3, 30, v0 :: v_dual_bitop2_b32 v0, 3, v2 bitop3:0x40
; %bb.9692:                             ;   in Loop: Header=BB6_8449 Depth=2
	s_or_b32 exec_lo, exec_lo, s41
	v_lshlrev_b32_e32 v2, 16, v12
	s_delay_alu instid0(VALU_DEP_1) | instskip(NEXT) | instid1(VALU_DEP_1)
	v_and_b32_e32 v2, 0x80000000, v2
	v_lshl_add_u32 v2, v3, 23, v2
	s_delay_alu instid0(VALU_DEP_1) | instskip(NEXT) | instid1(VALU_DEP_1)
	v_lshl_or_b32 v0, v0, 21, v2
	v_add_nc_u32_e32 v3, 0x38000000, v0
                                        ; implicit-def: $vgpr0
.LBB6_9693:                             ;   in Loop: Header=BB6_8449 Depth=2
	s_and_not1_saveexec_b32 s40, s40
; %bb.9694:                             ;   in Loop: Header=BB6_8449 Depth=2
	v_cmp_lt_i16_e32 vcc_lo, -1, v12
	v_mov_b32_e32 v2, 0x7f800000
	s_delay_alu instid0(VALU_DEP_1) | instskip(SKIP_1) | instid1(VALU_DEP_2)
	v_cndmask_b32_e32 v2, 0xff800000, v2, vcc_lo
	v_cmp_eq_u32_e32 vcc_lo, 0, v0
	v_cndmask_b32_e32 v3, 0x7f800001, v2, vcc_lo
; %bb.9695:                             ;   in Loop: Header=BB6_8449 Depth=2
	s_or_b32 exec_lo, exec_lo, s40
.LBB6_9696:                             ;   in Loop: Header=BB6_8449 Depth=2
	s_delay_alu instid0(SALU_CYCLE_1)
	s_or_b32 exec_lo, exec_lo, s29
.LBB6_9697:                             ;   in Loop: Header=BB6_8449 Depth=2
	s_delay_alu instid0(SALU_CYCLE_1) | instskip(NEXT) | instid1(VALU_DEP_1)
	s_or_b32 exec_lo, exec_lo, s7
	v_dual_mul_f32 v2, s28, v3 :: v_dual_mov_b32 v5, v1
                                        ; implicit-def: $vgpr66
	s_mov_b32 s7, exec_lo
	s_delay_alu instid0(VALU_DEP_1) | instskip(SKIP_2) | instid1(VALU_DEP_3)
	v_and_b32_e32 v4, 0x7f800000, v2
	v_and_b32_e32 v0, 0x7fffff, v2
	v_lshrrev_b32_e32 v3, 24, v2
	v_cmpx_ne_u64_e32 0x7f800000, v[4:5]
	s_xor_b32 s29, exec_lo, s7
	s_cbranch_execz .LBB6_9711
; %bb.9698:                             ;   in Loop: Header=BB6_8449 Depth=2
	v_and_b32_e32 v4, 0x7fffffff, v2
	v_mov_b32_e32 v5, v1
	v_and_b32_e32 v8, 0x80, v3
                                        ; implicit-def: $vgpr66
	s_mov_b32 s7, exec_lo
	s_delay_alu instid0(VALU_DEP_2)
	v_cmpx_gt_u64_e32 0x47600001, v[4:5]
	s_xor_b32 s40, exec_lo, s7
	s_cbranch_execz .LBB6_9708
; %bb.9699:                             ;   in Loop: Header=BB6_8449 Depth=2
	v_mov_b32_e32 v66, 0
	s_mov_b32 s41, exec_lo
	v_cmpx_ne_u32_e32 0, v2
	s_cbranch_execz .LBB6_9707
; %bb.9700:                             ;   in Loop: Header=BB6_8449 Depth=2
	v_bfe_u32 v10, v2, 23, 8
	v_or_b32_e32 v4, 0x800000, v0
	s_mov_b32 s42, exec_lo
	s_delay_alu instid0(VALU_DEP_2) | instskip(SKIP_1) | instid1(VALU_DEP_2)
	v_dual_mov_b32 v5, v1 :: v_dual_sub_nc_u32 v2, 0x71, v10
	v_cmp_gt_u32_e32 vcc_lo, 0x72, v10
	v_cndmask_b32_e32 v2, 0, v2, vcc_lo
	v_cmp_eq_u32_e32 vcc_lo, 0, v10
	s_delay_alu instid0(VALU_DEP_2) | instskip(NEXT) | instid1(VALU_DEP_1)
	v_cndmask_b32_e64 v11, v2, 0x70, vcc_lo
	v_dual_cndmask_b32 v4, v4, v0, vcc_lo :: v_dual_add_nc_u32 v2, 21, v11
	v_add_nc_u32_e32 v14, 20, v11
	s_delay_alu instid0(VALU_DEP_2) | instskip(NEXT) | instid1(VALU_DEP_2)
	v_lshlrev_b64_e64 v[2:3], v2, -1
	v_lshlrev_b64_e64 v[14:15], v14, 1
	s_delay_alu instid0(VALU_DEP_2) | instskip(NEXT) | instid1(VALU_DEP_3)
	v_bfi_b32 v17, v3, 0, 0
	v_bfi_b32 v16, v2, 0, v4
	v_lshrrev_b64 v[2:3], v11, v[4:5]
	s_delay_alu instid0(VALU_DEP_1) | instskip(NEXT) | instid1(VALU_DEP_3)
	v_mov_b64_e32 v[4:5], v[2:3]
	v_cmpx_eq_u64_e64 v[16:17], v[14:15]
; %bb.9701:                             ;   in Loop: Header=BB6_8449 Depth=2
	v_bfe_u32 v4, v2, 21, 1
	v_mov_b32_e32 v5, v1
	s_delay_alu instid0(VALU_DEP_1) | instskip(NEXT) | instid1(VALU_DEP_1)
	v_add_nc_u64_e32 v[4:5], v[2:3], v[4:5]
	v_add_nc_u64_e32 v[4:5], -1, v[4:5]
; %bb.9702:                             ;   in Loop: Header=BB6_8449 Depth=2
	s_or_b32 exec_lo, exec_lo, s42
	v_add_nc_u32_e32 v0, 0xffffff81, v10
	v_lshrrev_b32_e32 v3, 23, v2
	s_mov_b32 s7, exec_lo
	s_delay_alu instid0(VALU_DEP_2) | instskip(NEXT) | instid1(VALU_DEP_1)
	v_cndmask_b32_e64 v0, v0, 0xffffff82, vcc_lo
	v_add3_u32 v5, v11, v0, v3
	v_and_b32_e32 v0, 0x1fffff, v4
                                        ; implicit-def: $vgpr4
	s_delay_alu instid0(VALU_DEP_1) | instskip(NEXT) | instid1(VALU_DEP_1)
	v_dual_add_nc_u32 v10, 14, v5 :: v_dual_add_nc_u32 v0, v0, v2
                                        ; implicit-def: $vgpr2_vgpr3
	v_cmpx_ne_u32_e32 0, v10
	s_xor_b32 s7, exec_lo, s7
; %bb.9703:                             ;   in Loop: Header=BB6_8449 Depth=2
	s_delay_alu instid0(VALU_DEP_2) | instskip(SKIP_1) | instid1(VALU_DEP_1)
	v_cmp_lt_u64_e32 vcc_lo, 0xffffff, v[0:1]
	v_add_nc_u32_e32 v2, 15, v5
	v_cndmask_b32_e32 v4, v10, v2, vcc_lo
	v_cndmask_b32_e64 v2, 0, 1, vcc_lo
	s_delay_alu instid0(VALU_DEP_1)
	v_lshrrev_b64 v[2:3], v2, v[0:1]
; %bb.9704:                             ;   in Loop: Header=BB6_8449 Depth=2
	s_and_not1_saveexec_b32 s7, s7
; %bb.9705:                             ;   in Loop: Header=BB6_8449 Depth=2
	v_mov_b64_e32 v[2:3], v[0:1]
	v_bfe_u32 v4, v0, 23, 1
; %bb.9706:                             ;   in Loop: Header=BB6_8449 Depth=2
	s_or_b32 exec_lo, exec_lo, s7
	s_delay_alu instid0(VALU_DEP_2) | instskip(NEXT) | instid1(VALU_DEP_2)
	v_lshrrev_b64 v[2:3], 21, v[2:3]
	v_cmp_gt_i32_e32 vcc_lo, 32, v4
	v_min_i32_e32 v0, 31, v4
	v_cmp_eq_u32_e64 s7, 0, v4
	s_delay_alu instid0(VALU_DEP_2) | instskip(SKIP_1) | instid1(VALU_DEP_2)
	v_dual_cndmask_b32 v3, 0, v3 :: v_dual_lshlrev_b32 v0, 2, v0
	v_cndmask_b32_e32 v2, 3, v2, vcc_lo
	v_and_b32_e32 v0, 0xfc, v0
	s_delay_alu instid0(VALU_DEP_2) | instskip(NEXT) | instid1(VALU_DEP_2)
	v_cmp_eq_u64_e32 vcc_lo, 0, v[2:3]
	v_and_or_b32 v0, v2, 3, v0
	s_and_b32 s7, s7, vcc_lo
	s_delay_alu instid0(VALU_DEP_1) | instid1(SALU_CYCLE_1)
	v_cndmask_b32_e64 v0, v0, 0, s7
	s_delay_alu instid0(VALU_DEP_1)
	v_or_b32_e32 v66, v0, v8
.LBB6_9707:                             ;   in Loop: Header=BB6_8449 Depth=2
	s_or_b32 exec_lo, exec_lo, s41
                                        ; implicit-def: $vgpr8
.LBB6_9708:                             ;   in Loop: Header=BB6_8449 Depth=2
	s_and_not1_saveexec_b32 s7, s40
; %bb.9709:                             ;   in Loop: Header=BB6_8449 Depth=2
	v_or_b32_e32 v66, 0x7b, v8
; %bb.9710:                             ;   in Loop: Header=BB6_8449 Depth=2
	s_or_b32 exec_lo, exec_lo, s7
                                        ; implicit-def: $vgpr2
                                        ; implicit-def: $vgpr3
.LBB6_9711:                             ;   in Loop: Header=BB6_8449 Depth=2
	s_and_not1_saveexec_b32 s7, s29
	s_cbranch_execz .LBB6_9717
; %bb.9712:                             ;   in Loop: Header=BB6_8449 Depth=2
	s_mov_b32 s29, exec_lo
                                        ; implicit-def: $vgpr66
	v_cmpx_ne_u64_e32 0, v[0:1]
	s_xor_b32 s29, exec_lo, s29
; %bb.9713:                             ;   in Loop: Header=BB6_8449 Depth=2
	v_or_b32_e32 v66, 0x7f, v3
                                        ; implicit-def: $vgpr2
; %bb.9714:                             ;   in Loop: Header=BB6_8449 Depth=2
	s_and_not1_saveexec_b32 s29, s29
; %bb.9715:                             ;   in Loop: Header=BB6_8449 Depth=2
	v_cmp_lt_i32_e32 vcc_lo, -1, v2
	v_mov_b32_e32 v0, 0x7c
	s_delay_alu instid0(VALU_DEP_1)
	v_cndmask_b32_e32 v66, 0xfc, v0, vcc_lo
; %bb.9716:                             ;   in Loop: Header=BB6_8449 Depth=2
	s_or_b32 exec_lo, exec_lo, s29
.LBB6_9717:                             ;   in Loop: Header=BB6_8449 Depth=2
	s_delay_alu instid0(SALU_CYCLE_1) | instskip(SKIP_2) | instid1(VALU_DEP_1)
	s_or_b32 exec_lo, exec_lo, s7
	v_dual_mov_b32 v3, 0 :: v_dual_lshrrev_b32 v0, 16, v12
	s_mov_b32 s7, exec_lo
	v_and_b32_e32 v2, 0xff, v0
	s_delay_alu instid0(VALU_DEP_1)
	v_cmpx_ne_u16_e32 0, v2
	s_cbranch_execz .LBB6_9727
; %bb.9718:                             ;   in Loop: Header=BB6_8449 Depth=2
	v_bfrev_b32_e32 v3, 1
	s_mov_b32 s29, exec_lo
	v_cmpx_ne_u16_e32 0x80, v2
	s_cbranch_execz .LBB6_9726
; %bb.9719:                             ;   in Loop: Header=BB6_8449 Depth=2
	v_and_b32_e32 v3, 0x7c0000, v12
	v_bfe_u32 v2, v12, 16, 2
	s_delay_alu instid0(VALU_DEP_2) | instskip(SKIP_1) | instid1(SALU_CYCLE_1)
	v_cmp_ne_u32_e32 vcc_lo, 0x7c0000, v3
                                        ; implicit-def: $vgpr3
	s_and_saveexec_b32 s40, vcc_lo
	s_xor_b32 s40, exec_lo, s40
	s_cbranch_execz .LBB6_9723
; %bb.9720:                             ;   in Loop: Header=BB6_8449 Depth=2
	v_bfe_u32 v3, v12, 18, 5
	s_mov_b32 s41, exec_lo
	s_delay_alu instid0(VALU_DEP_1)
	v_cmpx_eq_u32_e32 0, v3
; %bb.9721:                             ;   in Loop: Header=BB6_8449 Depth=2
	v_clz_i32_u32_e32 v2, v2
	s_delay_alu instid0(VALU_DEP_1) | instskip(NEXT) | instid1(VALU_DEP_1)
	v_min_u32_e32 v4, 32, v2
	v_subrev_nc_u32_e32 v2, 29, v4
	s_delay_alu instid0(VALU_DEP_1) | instskip(NEXT) | instid1(VALU_DEP_1)
	v_lshlrev_b64_e32 v[2:3], v2, v[0:1]
	v_dual_sub_nc_u32 v3, 30, v4 :: v_dual_bitop2_b32 v2, 3, v2 bitop3:0x40
; %bb.9722:                             ;   in Loop: Header=BB6_8449 Depth=2
	s_or_b32 exec_lo, exec_lo, s41
	v_lshlrev_b32_e32 v0, 24, v0
	s_delay_alu instid0(VALU_DEP_1) | instskip(NEXT) | instid1(VALU_DEP_1)
	v_and_b32_e32 v0, 0x80000000, v0
	v_lshl_add_u32 v0, v3, 23, v0
	s_delay_alu instid0(VALU_DEP_1) | instskip(NEXT) | instid1(VALU_DEP_1)
	v_lshl_or_b32 v0, v2, 21, v0
                                        ; implicit-def: $vgpr2
	v_add_nc_u32_e32 v3, 0x38000000, v0
                                        ; implicit-def: $vgpr0
.LBB6_9723:                             ;   in Loop: Header=BB6_8449 Depth=2
	s_and_not1_saveexec_b32 s40, s40
; %bb.9724:                             ;   in Loop: Header=BB6_8449 Depth=2
	v_bfe_i32 v0, v0, 0, 8
	s_delay_alu instid0(VALU_DEP_1) | instskip(SKIP_1) | instid1(VALU_DEP_1)
	v_cmp_lt_i16_e32 vcc_lo, -1, v0
	v_mov_b32_e32 v0, 0x7f800000
	v_cndmask_b32_e32 v0, 0xff800000, v0, vcc_lo
	v_cmp_eq_u32_e32 vcc_lo, 0, v2
	s_delay_alu instid0(VALU_DEP_2)
	v_cndmask_b32_e32 v3, 0x7f800001, v0, vcc_lo
; %bb.9725:                             ;   in Loop: Header=BB6_8449 Depth=2
	s_or_b32 exec_lo, exec_lo, s40
.LBB6_9726:                             ;   in Loop: Header=BB6_8449 Depth=2
	s_delay_alu instid0(SALU_CYCLE_1)
	s_or_b32 exec_lo, exec_lo, s29
.LBB6_9727:                             ;   in Loop: Header=BB6_8449 Depth=2
	s_delay_alu instid0(SALU_CYCLE_1) | instskip(NEXT) | instid1(VALU_DEP_1)
	s_or_b32 exec_lo, exec_lo, s7
	v_dual_mul_f32 v2, s28, v3 :: v_dual_mov_b32 v5, v1
                                        ; implicit-def: $vgpr69
	s_mov_b32 s7, exec_lo
	s_delay_alu instid0(VALU_DEP_1) | instskip(SKIP_2) | instid1(VALU_DEP_3)
	v_and_b32_e32 v4, 0x7f800000, v2
	v_and_b32_e32 v0, 0x7fffff, v2
	v_lshrrev_b32_e32 v3, 24, v2
	v_cmpx_ne_u64_e32 0x7f800000, v[4:5]
	s_xor_b32 s29, exec_lo, s7
	s_cbranch_execz .LBB6_9741
; %bb.9728:                             ;   in Loop: Header=BB6_8449 Depth=2
	v_and_b32_e32 v4, 0x7fffffff, v2
	v_mov_b32_e32 v5, v1
	v_and_b32_e32 v8, 0x80, v3
                                        ; implicit-def: $vgpr69
	s_mov_b32 s7, exec_lo
	s_delay_alu instid0(VALU_DEP_2)
	v_cmpx_gt_u64_e32 0x47600001, v[4:5]
	s_xor_b32 s40, exec_lo, s7
	s_cbranch_execz .LBB6_9738
; %bb.9729:                             ;   in Loop: Header=BB6_8449 Depth=2
	v_mov_b32_e32 v69, 0
	s_mov_b32 s41, exec_lo
	v_cmpx_ne_u32_e32 0, v2
	s_cbranch_execz .LBB6_9737
; %bb.9730:                             ;   in Loop: Header=BB6_8449 Depth=2
	v_bfe_u32 v10, v2, 23, 8
	v_or_b32_e32 v4, 0x800000, v0
	s_mov_b32 s42, exec_lo
	s_delay_alu instid0(VALU_DEP_2) | instskip(SKIP_1) | instid1(VALU_DEP_2)
	v_dual_mov_b32 v5, v1 :: v_dual_sub_nc_u32 v2, 0x71, v10
	v_cmp_gt_u32_e32 vcc_lo, 0x72, v10
	v_cndmask_b32_e32 v2, 0, v2, vcc_lo
	v_cmp_eq_u32_e32 vcc_lo, 0, v10
	s_delay_alu instid0(VALU_DEP_2) | instskip(NEXT) | instid1(VALU_DEP_1)
	v_cndmask_b32_e64 v11, v2, 0x70, vcc_lo
	v_dual_cndmask_b32 v4, v4, v0, vcc_lo :: v_dual_add_nc_u32 v2, 21, v11
	v_add_nc_u32_e32 v14, 20, v11
	s_delay_alu instid0(VALU_DEP_2) | instskip(NEXT) | instid1(VALU_DEP_2)
	v_lshlrev_b64_e64 v[2:3], v2, -1
	v_lshlrev_b64_e64 v[14:15], v14, 1
	s_delay_alu instid0(VALU_DEP_2) | instskip(NEXT) | instid1(VALU_DEP_3)
	v_bfi_b32 v17, v3, 0, 0
	v_bfi_b32 v16, v2, 0, v4
	v_lshrrev_b64 v[2:3], v11, v[4:5]
	s_delay_alu instid0(VALU_DEP_1) | instskip(NEXT) | instid1(VALU_DEP_3)
	v_mov_b64_e32 v[4:5], v[2:3]
	v_cmpx_eq_u64_e64 v[16:17], v[14:15]
; %bb.9731:                             ;   in Loop: Header=BB6_8449 Depth=2
	v_bfe_u32 v4, v2, 21, 1
	v_mov_b32_e32 v5, v1
	s_delay_alu instid0(VALU_DEP_1) | instskip(NEXT) | instid1(VALU_DEP_1)
	v_add_nc_u64_e32 v[4:5], v[2:3], v[4:5]
	v_add_nc_u64_e32 v[4:5], -1, v[4:5]
; %bb.9732:                             ;   in Loop: Header=BB6_8449 Depth=2
	s_or_b32 exec_lo, exec_lo, s42
	v_add_nc_u32_e32 v0, 0xffffff81, v10
	v_lshrrev_b32_e32 v3, 23, v2
	s_mov_b32 s7, exec_lo
	s_delay_alu instid0(VALU_DEP_2) | instskip(NEXT) | instid1(VALU_DEP_1)
	v_cndmask_b32_e64 v0, v0, 0xffffff82, vcc_lo
	v_add3_u32 v5, v11, v0, v3
	v_and_b32_e32 v0, 0x1fffff, v4
                                        ; implicit-def: $vgpr4
	s_delay_alu instid0(VALU_DEP_1) | instskip(NEXT) | instid1(VALU_DEP_1)
	v_dual_add_nc_u32 v10, 14, v5 :: v_dual_add_nc_u32 v0, v0, v2
                                        ; implicit-def: $vgpr2_vgpr3
	v_cmpx_ne_u32_e32 0, v10
	s_xor_b32 s7, exec_lo, s7
; %bb.9733:                             ;   in Loop: Header=BB6_8449 Depth=2
	s_delay_alu instid0(VALU_DEP_2) | instskip(SKIP_1) | instid1(VALU_DEP_1)
	v_cmp_lt_u64_e32 vcc_lo, 0xffffff, v[0:1]
	v_add_nc_u32_e32 v2, 15, v5
	v_cndmask_b32_e32 v4, v10, v2, vcc_lo
	v_cndmask_b32_e64 v2, 0, 1, vcc_lo
	s_delay_alu instid0(VALU_DEP_1)
	v_lshrrev_b64 v[2:3], v2, v[0:1]
; %bb.9734:                             ;   in Loop: Header=BB6_8449 Depth=2
	s_and_not1_saveexec_b32 s7, s7
; %bb.9735:                             ;   in Loop: Header=BB6_8449 Depth=2
	v_mov_b64_e32 v[2:3], v[0:1]
	v_bfe_u32 v4, v0, 23, 1
; %bb.9736:                             ;   in Loop: Header=BB6_8449 Depth=2
	s_or_b32 exec_lo, exec_lo, s7
	s_delay_alu instid0(VALU_DEP_2) | instskip(NEXT) | instid1(VALU_DEP_2)
	v_lshrrev_b64 v[2:3], 21, v[2:3]
	v_cmp_gt_i32_e32 vcc_lo, 32, v4
	v_min_i32_e32 v0, 31, v4
	v_cmp_eq_u32_e64 s7, 0, v4
	s_delay_alu instid0(VALU_DEP_2) | instskip(SKIP_1) | instid1(VALU_DEP_2)
	v_dual_cndmask_b32 v3, 0, v3 :: v_dual_lshlrev_b32 v0, 2, v0
	v_cndmask_b32_e32 v2, 3, v2, vcc_lo
	v_and_b32_e32 v0, 0xfc, v0
	s_delay_alu instid0(VALU_DEP_2) | instskip(NEXT) | instid1(VALU_DEP_2)
	v_cmp_eq_u64_e32 vcc_lo, 0, v[2:3]
	v_and_or_b32 v0, v2, 3, v0
	s_and_b32 s7, s7, vcc_lo
	s_delay_alu instid0(VALU_DEP_1) | instid1(SALU_CYCLE_1)
	v_cndmask_b32_e64 v0, v0, 0, s7
	s_delay_alu instid0(VALU_DEP_1)
	v_or_b32_e32 v69, v0, v8
.LBB6_9737:                             ;   in Loop: Header=BB6_8449 Depth=2
	s_or_b32 exec_lo, exec_lo, s41
                                        ; implicit-def: $vgpr8
.LBB6_9738:                             ;   in Loop: Header=BB6_8449 Depth=2
	s_and_not1_saveexec_b32 s7, s40
; %bb.9739:                             ;   in Loop: Header=BB6_8449 Depth=2
	v_or_b32_e32 v69, 0x7b, v8
; %bb.9740:                             ;   in Loop: Header=BB6_8449 Depth=2
	s_or_b32 exec_lo, exec_lo, s7
                                        ; implicit-def: $vgpr2
                                        ; implicit-def: $vgpr3
.LBB6_9741:                             ;   in Loop: Header=BB6_8449 Depth=2
	s_and_not1_saveexec_b32 s7, s29
	s_cbranch_execz .LBB6_9747
; %bb.9742:                             ;   in Loop: Header=BB6_8449 Depth=2
	s_mov_b32 s29, exec_lo
                                        ; implicit-def: $vgpr69
	v_cmpx_ne_u64_e32 0, v[0:1]
	s_xor_b32 s29, exec_lo, s29
; %bb.9743:                             ;   in Loop: Header=BB6_8449 Depth=2
	v_or_b32_e32 v69, 0x7f, v3
                                        ; implicit-def: $vgpr2
; %bb.9744:                             ;   in Loop: Header=BB6_8449 Depth=2
	s_and_not1_saveexec_b32 s29, s29
; %bb.9745:                             ;   in Loop: Header=BB6_8449 Depth=2
	v_cmp_lt_i32_e32 vcc_lo, -1, v2
	v_mov_b32_e32 v0, 0x7c
	s_delay_alu instid0(VALU_DEP_1)
	v_cndmask_b32_e32 v69, 0xfc, v0, vcc_lo
; %bb.9746:                             ;   in Loop: Header=BB6_8449 Depth=2
	s_or_b32 exec_lo, exec_lo, s29
.LBB6_9747:                             ;   in Loop: Header=BB6_8449 Depth=2
	s_delay_alu instid0(SALU_CYCLE_1)
	s_or_b32 exec_lo, exec_lo, s7
	v_mov_b32_e32 v2, 0
	s_mov_b32 s7, exec_lo
	v_cmpx_lt_u32_e32 0xffffff, v12
	s_cbranch_execz .LBB6_9757
; %bb.9748:                             ;   in Loop: Header=BB6_8449 Depth=2
	v_lshrrev_b32_e32 v0, 24, v12
	v_bfrev_b32_e32 v2, 1
	s_mov_b32 s29, exec_lo
	s_delay_alu instid0(VALU_DEP_2)
	v_cmpx_ne_u32_e32 0x80, v0
	s_cbranch_execz .LBB6_9756
; %bb.9749:                             ;   in Loop: Header=BB6_8449 Depth=2
	v_and_b32_e32 v2, 0x7c000000, v12
	v_bfe_u32 v3, v12, 24, 2
	s_delay_alu instid0(VALU_DEP_2) | instskip(SKIP_1) | instid1(SALU_CYCLE_1)
	v_cmp_ne_u32_e32 vcc_lo, 0x7c000000, v2
                                        ; implicit-def: $vgpr2
	s_and_saveexec_b32 s40, vcc_lo
	s_xor_b32 s40, exec_lo, s40
	s_cbranch_execz .LBB6_9753
; %bb.9750:                             ;   in Loop: Header=BB6_8449 Depth=2
	v_bfe_u32 v2, v12, 26, 5
	s_mov_b32 s41, exec_lo
	s_delay_alu instid0(VALU_DEP_1)
	v_cmpx_eq_u32_e32 0, v2
; %bb.9751:                             ;   in Loop: Header=BB6_8449 Depth=2
	v_clz_i32_u32_e32 v2, v3
	s_delay_alu instid0(VALU_DEP_1) | instskip(NEXT) | instid1(VALU_DEP_1)
	v_min_u32_e32 v2, 32, v2
	v_subrev_nc_u32_e32 v3, 29, v2
	s_delay_alu instid0(VALU_DEP_1) | instskip(NEXT) | instid1(VALU_DEP_1)
	v_lshlrev_b64_e32 v[4:5], v3, v[0:1]
	v_dual_sub_nc_u32 v2, 30, v2 :: v_dual_bitop2_b32 v3, 3, v4 bitop3:0x40
; %bb.9752:                             ;   in Loop: Header=BB6_8449 Depth=2
	s_or_b32 exec_lo, exec_lo, s41
	v_and_b32_e32 v0, 0x80000000, v12
	s_delay_alu instid0(VALU_DEP_1) | instskip(NEXT) | instid1(VALU_DEP_1)
	v_lshl_add_u32 v0, v2, 23, v0
	v_lshl_or_b32 v0, v3, 21, v0
                                        ; implicit-def: $vgpr3
	s_delay_alu instid0(VALU_DEP_1)
	v_add_nc_u32_e32 v2, 0x38000000, v0
.LBB6_9753:                             ;   in Loop: Header=BB6_8449 Depth=2
	s_and_not1_saveexec_b32 s40, s40
; %bb.9754:                             ;   in Loop: Header=BB6_8449 Depth=2
	v_cmp_lt_i32_e32 vcc_lo, -1, v12
	v_mov_b32_e32 v0, 0x7f800000
	s_delay_alu instid0(VALU_DEP_1) | instskip(SKIP_1) | instid1(VALU_DEP_2)
	v_cndmask_b32_e32 v0, 0xff800000, v0, vcc_lo
	v_cmp_eq_u32_e32 vcc_lo, 0, v3
	v_cndmask_b32_e32 v2, 0x7f800001, v0, vcc_lo
; %bb.9755:                             ;   in Loop: Header=BB6_8449 Depth=2
	s_or_b32 exec_lo, exec_lo, s40
.LBB6_9756:                             ;   in Loop: Header=BB6_8449 Depth=2
	s_delay_alu instid0(SALU_CYCLE_1)
	s_or_b32 exec_lo, exec_lo, s29
.LBB6_9757:                             ;   in Loop: Header=BB6_8449 Depth=2
	s_delay_alu instid0(SALU_CYCLE_1) | instskip(NEXT) | instid1(VALU_DEP_1)
	s_or_b32 exec_lo, exec_lo, s7
	v_dual_mul_f32 v2, s28, v2 :: v_dual_mov_b32 v5, v1
                                        ; implicit-def: $vgpr71
	s_mov_b32 s7, exec_lo
	s_delay_alu instid0(VALU_DEP_1) | instskip(SKIP_2) | instid1(VALU_DEP_3)
	v_and_b32_e32 v4, 0x7f800000, v2
	v_and_b32_e32 v0, 0x7fffff, v2
	v_lshrrev_b32_e32 v3, 24, v2
	v_cmpx_ne_u64_e32 0x7f800000, v[4:5]
	s_xor_b32 s29, exec_lo, s7
	s_cbranch_execz .LBB6_9771
; %bb.9758:                             ;   in Loop: Header=BB6_8449 Depth=2
	v_and_b32_e32 v4, 0x7fffffff, v2
	v_mov_b32_e32 v5, v1
	v_and_b32_e32 v8, 0x80, v3
                                        ; implicit-def: $vgpr71
	s_mov_b32 s7, exec_lo
	s_delay_alu instid0(VALU_DEP_2)
	v_cmpx_gt_u64_e32 0x47600001, v[4:5]
	s_xor_b32 s40, exec_lo, s7
	s_cbranch_execz .LBB6_9768
; %bb.9759:                             ;   in Loop: Header=BB6_8449 Depth=2
	v_mov_b32_e32 v71, 0
	s_mov_b32 s41, exec_lo
	v_cmpx_ne_u32_e32 0, v2
	s_cbranch_execz .LBB6_9767
; %bb.9760:                             ;   in Loop: Header=BB6_8449 Depth=2
	v_bfe_u32 v10, v2, 23, 8
	v_or_b32_e32 v4, 0x800000, v0
	s_mov_b32 s42, exec_lo
	s_delay_alu instid0(VALU_DEP_2) | instskip(SKIP_1) | instid1(VALU_DEP_2)
	v_dual_mov_b32 v5, v1 :: v_dual_sub_nc_u32 v2, 0x71, v10
	v_cmp_gt_u32_e32 vcc_lo, 0x72, v10
	v_cndmask_b32_e32 v2, 0, v2, vcc_lo
	v_cmp_eq_u32_e32 vcc_lo, 0, v10
	s_delay_alu instid0(VALU_DEP_2) | instskip(NEXT) | instid1(VALU_DEP_1)
	v_cndmask_b32_e64 v11, v2, 0x70, vcc_lo
	v_dual_cndmask_b32 v4, v4, v0, vcc_lo :: v_dual_add_nc_u32 v2, 21, v11
	v_add_nc_u32_e32 v14, 20, v11
	s_delay_alu instid0(VALU_DEP_2) | instskip(NEXT) | instid1(VALU_DEP_2)
	v_lshlrev_b64_e64 v[2:3], v2, -1
	v_lshlrev_b64_e64 v[14:15], v14, 1
	s_delay_alu instid0(VALU_DEP_2) | instskip(NEXT) | instid1(VALU_DEP_3)
	v_bfi_b32 v17, v3, 0, 0
	v_bfi_b32 v16, v2, 0, v4
	v_lshrrev_b64 v[2:3], v11, v[4:5]
	s_delay_alu instid0(VALU_DEP_1) | instskip(NEXT) | instid1(VALU_DEP_3)
	v_mov_b64_e32 v[4:5], v[2:3]
	v_cmpx_eq_u64_e64 v[16:17], v[14:15]
; %bb.9761:                             ;   in Loop: Header=BB6_8449 Depth=2
	v_bfe_u32 v4, v2, 21, 1
	v_mov_b32_e32 v5, v1
	s_delay_alu instid0(VALU_DEP_1) | instskip(NEXT) | instid1(VALU_DEP_1)
	v_add_nc_u64_e32 v[4:5], v[2:3], v[4:5]
	v_add_nc_u64_e32 v[4:5], -1, v[4:5]
; %bb.9762:                             ;   in Loop: Header=BB6_8449 Depth=2
	s_or_b32 exec_lo, exec_lo, s42
	v_add_nc_u32_e32 v0, 0xffffff81, v10
	v_lshrrev_b32_e32 v3, 23, v2
	s_mov_b32 s7, exec_lo
	s_delay_alu instid0(VALU_DEP_2) | instskip(NEXT) | instid1(VALU_DEP_1)
	v_cndmask_b32_e64 v0, v0, 0xffffff82, vcc_lo
	v_add3_u32 v5, v11, v0, v3
	v_and_b32_e32 v0, 0x1fffff, v4
                                        ; implicit-def: $vgpr4
	s_delay_alu instid0(VALU_DEP_1) | instskip(NEXT) | instid1(VALU_DEP_1)
	v_dual_add_nc_u32 v10, 14, v5 :: v_dual_add_nc_u32 v0, v0, v2
                                        ; implicit-def: $vgpr2_vgpr3
	v_cmpx_ne_u32_e32 0, v10
	s_xor_b32 s7, exec_lo, s7
; %bb.9763:                             ;   in Loop: Header=BB6_8449 Depth=2
	s_delay_alu instid0(VALU_DEP_2) | instskip(SKIP_1) | instid1(VALU_DEP_1)
	v_cmp_lt_u64_e32 vcc_lo, 0xffffff, v[0:1]
	v_add_nc_u32_e32 v2, 15, v5
	v_cndmask_b32_e32 v4, v10, v2, vcc_lo
	v_cndmask_b32_e64 v2, 0, 1, vcc_lo
	s_delay_alu instid0(VALU_DEP_1)
	v_lshrrev_b64 v[2:3], v2, v[0:1]
; %bb.9764:                             ;   in Loop: Header=BB6_8449 Depth=2
	s_and_not1_saveexec_b32 s7, s7
; %bb.9765:                             ;   in Loop: Header=BB6_8449 Depth=2
	v_mov_b64_e32 v[2:3], v[0:1]
	v_bfe_u32 v4, v0, 23, 1
; %bb.9766:                             ;   in Loop: Header=BB6_8449 Depth=2
	s_or_b32 exec_lo, exec_lo, s7
	s_delay_alu instid0(VALU_DEP_2) | instskip(NEXT) | instid1(VALU_DEP_2)
	v_lshrrev_b64 v[2:3], 21, v[2:3]
	v_cmp_gt_i32_e32 vcc_lo, 32, v4
	v_min_i32_e32 v0, 31, v4
	v_cmp_eq_u32_e64 s7, 0, v4
	s_delay_alu instid0(VALU_DEP_2) | instskip(SKIP_1) | instid1(VALU_DEP_2)
	v_dual_cndmask_b32 v3, 0, v3 :: v_dual_lshlrev_b32 v0, 2, v0
	v_cndmask_b32_e32 v2, 3, v2, vcc_lo
	v_and_b32_e32 v0, 0xfc, v0
	s_delay_alu instid0(VALU_DEP_2) | instskip(NEXT) | instid1(VALU_DEP_2)
	v_cmp_eq_u64_e32 vcc_lo, 0, v[2:3]
	v_and_or_b32 v0, v2, 3, v0
	s_and_b32 s7, s7, vcc_lo
	s_delay_alu instid0(VALU_DEP_1) | instid1(SALU_CYCLE_1)
	v_cndmask_b32_e64 v0, v0, 0, s7
	s_delay_alu instid0(VALU_DEP_1)
	v_or_b32_e32 v71, v0, v8
.LBB6_9767:                             ;   in Loop: Header=BB6_8449 Depth=2
	s_or_b32 exec_lo, exec_lo, s41
                                        ; implicit-def: $vgpr8
.LBB6_9768:                             ;   in Loop: Header=BB6_8449 Depth=2
	s_and_not1_saveexec_b32 s7, s40
; %bb.9769:                             ;   in Loop: Header=BB6_8449 Depth=2
	v_or_b32_e32 v71, 0x7b, v8
; %bb.9770:                             ;   in Loop: Header=BB6_8449 Depth=2
	s_or_b32 exec_lo, exec_lo, s7
                                        ; implicit-def: $vgpr2
                                        ; implicit-def: $vgpr3
.LBB6_9771:                             ;   in Loop: Header=BB6_8449 Depth=2
	s_and_not1_saveexec_b32 s7, s29
	s_cbranch_execz .LBB6_9777
; %bb.9772:                             ;   in Loop: Header=BB6_8449 Depth=2
	s_mov_b32 s29, exec_lo
                                        ; implicit-def: $vgpr71
	v_cmpx_ne_u64_e32 0, v[0:1]
	s_xor_b32 s29, exec_lo, s29
; %bb.9773:                             ;   in Loop: Header=BB6_8449 Depth=2
	v_or_b32_e32 v71, 0x7f, v3
                                        ; implicit-def: $vgpr2
; %bb.9774:                             ;   in Loop: Header=BB6_8449 Depth=2
	s_and_not1_saveexec_b32 s29, s29
; %bb.9775:                             ;   in Loop: Header=BB6_8449 Depth=2
	v_cmp_lt_i32_e32 vcc_lo, -1, v2
	v_mov_b32_e32 v0, 0x7c
	s_delay_alu instid0(VALU_DEP_1)
	v_cndmask_b32_e32 v71, 0xfc, v0, vcc_lo
; %bb.9776:                             ;   in Loop: Header=BB6_8449 Depth=2
	s_or_b32 exec_lo, exec_lo, s29
.LBB6_9777:                             ;   in Loop: Header=BB6_8449 Depth=2
	s_delay_alu instid0(SALU_CYCLE_1) | instskip(SKIP_3) | instid1(VALU_DEP_2)
	s_or_b32 exec_lo, exec_lo, s7
	v_and_b32_e32 v2, 0xff, v13
	v_dual_mov_b32 v0, v13 :: v_dual_mov_b32 v3, 0
	s_mov_b32 s7, exec_lo
	v_cmpx_ne_u16_e32 0, v2
	s_cbranch_execz .LBB6_9787
; %bb.9778:                             ;   in Loop: Header=BB6_8449 Depth=2
	v_bfrev_b32_e32 v3, 1
	s_mov_b32 s29, exec_lo
	v_cmpx_ne_u16_e32 0x80, v2
	s_cbranch_execz .LBB6_9786
; %bb.9779:                             ;   in Loop: Header=BB6_8449 Depth=2
	v_and_b32_e32 v3, 0x7c, v13
	v_and_b32_e32 v2, 3, v13
	s_delay_alu instid0(VALU_DEP_2) | instskip(SKIP_1) | instid1(SALU_CYCLE_1)
	v_cmp_ne_u32_e32 vcc_lo, 0x7c, v3
                                        ; implicit-def: $vgpr3
	s_and_saveexec_b32 s40, vcc_lo
	s_xor_b32 s40, exec_lo, s40
	s_cbranch_execz .LBB6_9783
; %bb.9780:                             ;   in Loop: Header=BB6_8449 Depth=2
	v_bfe_u32 v3, v13, 2, 5
	s_mov_b32 s41, exec_lo
	s_delay_alu instid0(VALU_DEP_1)
	v_cmpx_eq_u32_e32 0, v3
; %bb.9781:                             ;   in Loop: Header=BB6_8449 Depth=2
	v_clz_i32_u32_e32 v2, v2
	s_delay_alu instid0(VALU_DEP_1) | instskip(NEXT) | instid1(VALU_DEP_1)
	v_min_u32_e32 v4, 32, v2
	v_subrev_nc_u32_e32 v2, 29, v4
	s_delay_alu instid0(VALU_DEP_1) | instskip(NEXT) | instid1(VALU_DEP_1)
	v_lshlrev_b64_e32 v[2:3], v2, v[0:1]
	v_dual_sub_nc_u32 v3, 30, v4 :: v_dual_bitop2_b32 v2, 3, v2 bitop3:0x40
; %bb.9782:                             ;   in Loop: Header=BB6_8449 Depth=2
	s_or_b32 exec_lo, exec_lo, s41
	v_lshlrev_b32_e32 v4, 24, v13
	s_delay_alu instid0(VALU_DEP_1) | instskip(NEXT) | instid1(VALU_DEP_1)
	v_and_b32_e32 v4, 0x80000000, v4
	v_lshl_add_u32 v3, v3, 23, v4
	s_delay_alu instid0(VALU_DEP_1) | instskip(NEXT) | instid1(VALU_DEP_1)
	v_lshl_or_b32 v2, v2, 21, v3
	v_add_nc_u32_e32 v3, 0x38000000, v2
                                        ; implicit-def: $vgpr2
.LBB6_9783:                             ;   in Loop: Header=BB6_8449 Depth=2
	s_and_not1_saveexec_b32 s40, s40
; %bb.9784:                             ;   in Loop: Header=BB6_8449 Depth=2
	v_bfe_i32 v3, v13, 0, 8
	s_delay_alu instid0(VALU_DEP_1) | instskip(SKIP_1) | instid1(VALU_DEP_1)
	v_cmp_lt_i16_e32 vcc_lo, -1, v3
	v_mov_b32_e32 v3, 0x7f800000
	v_cndmask_b32_e32 v3, 0xff800000, v3, vcc_lo
	v_cmp_eq_u32_e32 vcc_lo, 0, v2
	s_delay_alu instid0(VALU_DEP_2)
	v_cndmask_b32_e32 v3, 0x7f800001, v3, vcc_lo
; %bb.9785:                             ;   in Loop: Header=BB6_8449 Depth=2
	s_or_b32 exec_lo, exec_lo, s40
.LBB6_9786:                             ;   in Loop: Header=BB6_8449 Depth=2
	s_delay_alu instid0(SALU_CYCLE_1)
	s_or_b32 exec_lo, exec_lo, s29
.LBB6_9787:                             ;   in Loop: Header=BB6_8449 Depth=2
	s_delay_alu instid0(SALU_CYCLE_1) | instskip(NEXT) | instid1(VALU_DEP_1)
	s_or_b32 exec_lo, exec_lo, s7
	v_dual_mul_f32 v4, s28, v3 :: v_dual_mov_b32 v11, v1
	v_mov_b32_e32 v3, v1
                                        ; implicit-def: $vgpr49
	s_mov_b32 s7, exec_lo
	s_delay_alu instid0(VALU_DEP_2) | instskip(SKIP_2) | instid1(VALU_DEP_3)
	v_and_b32_e32 v10, 0x7f800000, v4
	v_and_b32_e32 v2, 0x7fffff, v4
	v_lshrrev_b32_e32 v5, 24, v4
	v_cmpx_ne_u64_e32 0x7f800000, v[10:11]
	s_xor_b32 s29, exec_lo, s7
	s_cbranch_execz .LBB6_9801
; %bb.9788:                             ;   in Loop: Header=BB6_8449 Depth=2
	v_and_b32_e32 v10, 0x7fffffff, v4
	v_mov_b32_e32 v11, v1
	v_and_b32_e32 v8, 0x80, v5
                                        ; implicit-def: $vgpr49
	s_mov_b32 s7, exec_lo
	s_delay_alu instid0(VALU_DEP_2)
	v_cmpx_gt_u64_e32 0x47600001, v[10:11]
	s_xor_b32 s40, exec_lo, s7
	s_cbranch_execz .LBB6_9798
; %bb.9789:                             ;   in Loop: Header=BB6_8449 Depth=2
	v_mov_b32_e32 v49, 0
	s_mov_b32 s41, exec_lo
	v_cmpx_ne_u32_e32 0, v4
	s_cbranch_execz .LBB6_9797
; %bb.9790:                             ;   in Loop: Header=BB6_8449 Depth=2
	v_bfe_u32 v10, v4, 23, 8
	v_or_b32_e32 v14, 0x800000, v2
	s_delay_alu instid0(VALU_DEP_2) | instskip(SKIP_1) | instid1(VALU_DEP_2)
	v_sub_nc_u32_e32 v4, 0x71, v10
	v_cmp_gt_u32_e32 vcc_lo, 0x72, v10
	v_cndmask_b32_e32 v4, 0, v4, vcc_lo
	v_cmp_eq_u32_e32 vcc_lo, 0, v10
	s_delay_alu instid0(VALU_DEP_2) | instskip(NEXT) | instid1(VALU_DEP_1)
	v_cndmask_b32_e64 v11, v4, 0x70, vcc_lo
	v_dual_cndmask_b32 v2, v14, v2, vcc_lo :: v_dual_add_nc_u32 v4, 21, v11
	v_add_nc_u32_e32 v15, 20, v11
	s_delay_alu instid0(VALU_DEP_2) | instskip(NEXT) | instid1(VALU_DEP_2)
	v_lshlrev_b64_e64 v[4:5], v4, -1
	v_lshlrev_b64_e64 v[14:15], v15, 1
	s_delay_alu instid0(VALU_DEP_2) | instskip(SKIP_1) | instid1(VALU_DEP_4)
	v_bfi_b32 v4, v4, 0, v2
	v_lshrrev_b64 v[2:3], v11, v[2:3]
	v_bfi_b32 v5, v5, 0, 0
	s_delay_alu instid0(VALU_DEP_1) | instskip(NEXT) | instid1(VALU_DEP_3)
	v_cmp_eq_u64_e64 s7, v[4:5], v[14:15]
	v_mov_b64_e32 v[4:5], v[2:3]
	s_and_saveexec_b32 s42, s7
; %bb.9791:                             ;   in Loop: Header=BB6_8449 Depth=2
	v_bfe_u32 v4, v2, 21, 1
	v_mov_b32_e32 v5, v1
	s_delay_alu instid0(VALU_DEP_1) | instskip(NEXT) | instid1(VALU_DEP_1)
	v_add_nc_u64_e32 v[4:5], v[2:3], v[4:5]
	v_add_nc_u64_e32 v[4:5], -1, v[4:5]
; %bb.9792:                             ;   in Loop: Header=BB6_8449 Depth=2
	s_or_b32 exec_lo, exec_lo, s42
	v_add_nc_u32_e32 v3, 0xffffff81, v10
	v_lshrrev_b32_e32 v5, 23, v2
	s_mov_b32 s7, exec_lo
	s_delay_alu instid0(VALU_DEP_2) | instskip(NEXT) | instid1(VALU_DEP_1)
	v_cndmask_b32_e64 v3, v3, 0xffffff82, vcc_lo
	v_add3_u32 v5, v11, v3, v5
	v_and_b32_e32 v3, 0x1fffff, v4
                                        ; implicit-def: $vgpr4
	s_delay_alu instid0(VALU_DEP_1) | instskip(SKIP_1) | instid1(VALU_DEP_2)
	v_dual_add_nc_u32 v10, 14, v5 :: v_dual_add_nc_u32 v2, v3, v2
	v_mov_b32_e32 v3, v1
	v_cmpx_ne_u32_e32 0, v10
	s_xor_b32 s7, exec_lo, s7
; %bb.9793:                             ;   in Loop: Header=BB6_8449 Depth=2
	s_delay_alu instid0(VALU_DEP_2) | instskip(SKIP_2) | instid1(VALU_DEP_2)
	v_cmp_lt_u64_e32 vcc_lo, 0xffffff, v[2:3]
	v_add_nc_u32_e32 v4, 15, v5
	v_cndmask_b32_e64 v5, 0, 1, vcc_lo
	v_cndmask_b32_e32 v4, v10, v4, vcc_lo
	s_delay_alu instid0(VALU_DEP_2)
	v_lshrrev_b64 v[2:3], v5, v[2:3]
; %bb.9794:                             ;   in Loop: Header=BB6_8449 Depth=2
	s_and_not1_saveexec_b32 s7, s7
; %bb.9795:                             ;   in Loop: Header=BB6_8449 Depth=2
	s_delay_alu instid0(VALU_DEP_1)
	v_bfe_u32 v4, v2, 23, 1
; %bb.9796:                             ;   in Loop: Header=BB6_8449 Depth=2
	s_or_b32 exec_lo, exec_lo, s7
	s_delay_alu instid0(VALU_DEP_2) | instskip(NEXT) | instid1(VALU_DEP_2)
	v_lshrrev_b64 v[2:3], 21, v[2:3]
	v_cmp_gt_i32_e32 vcc_lo, 32, v4
	v_min_i32_e32 v5, 31, v4
	v_cmp_eq_u32_e64 s7, 0, v4
	s_delay_alu instid0(VALU_DEP_2) | instskip(SKIP_1) | instid1(VALU_DEP_2)
	v_dual_cndmask_b32 v3, 0, v3, vcc_lo :: v_dual_lshlrev_b32 v5, 2, v5
	v_cndmask_b32_e32 v2, 3, v2, vcc_lo
	v_and_b32_e32 v5, 0xfc, v5
	s_delay_alu instid0(VALU_DEP_2) | instskip(NEXT) | instid1(VALU_DEP_2)
	v_cmp_eq_u64_e32 vcc_lo, 0, v[2:3]
	v_and_or_b32 v2, v2, 3, v5
	s_and_b32 s7, s7, vcc_lo
	s_delay_alu instid0(VALU_DEP_1) | instid1(SALU_CYCLE_1)
	v_cndmask_b32_e64 v2, v2, 0, s7
	s_delay_alu instid0(VALU_DEP_1)
	v_or_b32_e32 v49, v2, v8
.LBB6_9797:                             ;   in Loop: Header=BB6_8449 Depth=2
	s_or_b32 exec_lo, exec_lo, s41
                                        ; implicit-def: $vgpr8
.LBB6_9798:                             ;   in Loop: Header=BB6_8449 Depth=2
	s_and_not1_saveexec_b32 s7, s40
; %bb.9799:                             ;   in Loop: Header=BB6_8449 Depth=2
	v_or_b32_e32 v49, 0x7b, v8
; %bb.9800:                             ;   in Loop: Header=BB6_8449 Depth=2
	s_or_b32 exec_lo, exec_lo, s7
                                        ; implicit-def: $vgpr4
                                        ; implicit-def: $vgpr2_vgpr3
                                        ; implicit-def: $vgpr5
.LBB6_9801:                             ;   in Loop: Header=BB6_8449 Depth=2
	s_and_not1_saveexec_b32 s7, s29
	s_cbranch_execz .LBB6_9807
; %bb.9802:                             ;   in Loop: Header=BB6_8449 Depth=2
	s_mov_b32 s29, exec_lo
                                        ; implicit-def: $vgpr49
	v_cmpx_ne_u64_e32 0, v[2:3]
	s_xor_b32 s29, exec_lo, s29
; %bb.9803:                             ;   in Loop: Header=BB6_8449 Depth=2
	v_or_b32_e32 v49, 0x7f, v5
                                        ; implicit-def: $vgpr4
; %bb.9804:                             ;   in Loop: Header=BB6_8449 Depth=2
	s_and_not1_saveexec_b32 s29, s29
; %bb.9805:                             ;   in Loop: Header=BB6_8449 Depth=2
	v_cmp_lt_i32_e32 vcc_lo, -1, v4
	v_mov_b32_e32 v2, 0x7c
	s_delay_alu instid0(VALU_DEP_1)
	v_cndmask_b32_e32 v49, 0xfc, v2, vcc_lo
; %bb.9806:                             ;   in Loop: Header=BB6_8449 Depth=2
	s_or_b32 exec_lo, exec_lo, s29
.LBB6_9807:                             ;   in Loop: Header=BB6_8449 Depth=2
	s_delay_alu instid0(SALU_CYCLE_1) | instskip(SKIP_3) | instid1(VALU_DEP_2)
	s_or_b32 exec_lo, exec_lo, s7
	v_lshrrev_b16 v2, 8, v0
	v_mov_b32_e32 v4, 0
	s_mov_b32 s7, exec_lo
	v_cmpx_ne_u16_e32 0, v2
	s_cbranch_execz .LBB6_9817
; %bb.9808:                             ;   in Loop: Header=BB6_8449 Depth=2
	v_bfrev_b32_e32 v4, 1
	s_mov_b32 s29, exec_lo
	v_cmpx_ne_u16_e32 0x80, v2
	s_cbranch_execz .LBB6_9816
; %bb.9809:                             ;   in Loop: Header=BB6_8449 Depth=2
	v_and_b32_e32 v5, 0xffff, v2
	s_delay_alu instid0(VALU_DEP_1) | instskip(SKIP_1) | instid1(VALU_DEP_2)
	v_and_b32_e32 v4, 0x7c, v5
	v_and_b32_e32 v3, 3, v5
	v_cmp_ne_u32_e32 vcc_lo, 0x7c, v4
                                        ; implicit-def: $vgpr4
	s_and_saveexec_b32 s40, vcc_lo
	s_delay_alu instid0(SALU_CYCLE_1)
	s_xor_b32 s40, exec_lo, s40
	s_cbranch_execz .LBB6_9813
; %bb.9810:                             ;   in Loop: Header=BB6_8449 Depth=2
	v_bfe_u32 v4, v5, 2, 5
	s_mov_b32 s41, exec_lo
	s_delay_alu instid0(VALU_DEP_1)
	v_cmpx_eq_u32_e32 0, v4
	s_cbranch_execz .LBB6_9812
; %bb.9811:                             ;   in Loop: Header=BB6_8449 Depth=2
	v_clz_i32_u32_e32 v3, v3
	s_delay_alu instid0(VALU_DEP_1) | instskip(SKIP_1) | instid1(VALU_DEP_2)
	v_min_u32_e32 v4, 32, v3
	v_mov_b32_e32 v3, v1
	v_subrev_nc_u32_e32 v5, 29, v4
	v_sub_nc_u32_e32 v4, 30, v4
	s_delay_alu instid0(VALU_DEP_2) | instskip(NEXT) | instid1(VALU_DEP_1)
	v_lshlrev_b64_e32 v[2:3], v5, v[2:3]
	v_and_b32_e32 v3, 3, v2
.LBB6_9812:                             ;   in Loop: Header=BB6_8449 Depth=2
	s_or_b32 exec_lo, exec_lo, s41
	v_lshlrev_b32_e32 v0, 16, v0
	s_delay_alu instid0(VALU_DEP_1) | instskip(NEXT) | instid1(VALU_DEP_1)
	v_and_b32_e32 v0, 0x80000000, v0
	v_lshl_add_u32 v0, v4, 23, v0
	s_delay_alu instid0(VALU_DEP_1) | instskip(NEXT) | instid1(VALU_DEP_1)
	v_lshl_or_b32 v0, v3, 21, v0
                                        ; implicit-def: $vgpr3
	v_add_nc_u32_e32 v4, 0x38000000, v0
.LBB6_9813:                             ;   in Loop: Header=BB6_8449 Depth=2
	s_and_not1_saveexec_b32 s40, s40
; %bb.9814:                             ;   in Loop: Header=BB6_8449 Depth=2
	v_cmp_lt_i16_e32 vcc_lo, -1, v0
	v_mov_b32_e32 v0, 0x7f800000
	s_delay_alu instid0(VALU_DEP_1) | instskip(SKIP_1) | instid1(VALU_DEP_2)
	v_cndmask_b32_e32 v0, 0xff800000, v0, vcc_lo
	v_cmp_eq_u32_e32 vcc_lo, 0, v3
	v_cndmask_b32_e32 v4, 0x7f800001, v0, vcc_lo
; %bb.9815:                             ;   in Loop: Header=BB6_8449 Depth=2
	s_or_b32 exec_lo, exec_lo, s40
.LBB6_9816:                             ;   in Loop: Header=BB6_8449 Depth=2
	s_delay_alu instid0(SALU_CYCLE_1)
	s_or_b32 exec_lo, exec_lo, s29
.LBB6_9817:                             ;   in Loop: Header=BB6_8449 Depth=2
	s_delay_alu instid0(SALU_CYCLE_1) | instskip(NEXT) | instid1(VALU_DEP_1)
	s_or_b32 exec_lo, exec_lo, s7
	v_dual_mul_f32 v2, s28, v4 :: v_dual_mov_b32 v5, v1
                                        ; implicit-def: $vgpr53
	s_mov_b32 s7, exec_lo
	s_delay_alu instid0(VALU_DEP_1) | instskip(SKIP_2) | instid1(VALU_DEP_3)
	v_and_b32_e32 v4, 0x7f800000, v2
	v_and_b32_e32 v0, 0x7fffff, v2
	v_lshrrev_b32_e32 v3, 24, v2
	v_cmpx_ne_u64_e32 0x7f800000, v[4:5]
	s_xor_b32 s29, exec_lo, s7
	s_cbranch_execz .LBB6_9831
; %bb.9818:                             ;   in Loop: Header=BB6_8449 Depth=2
	v_and_b32_e32 v4, 0x7fffffff, v2
	v_mov_b32_e32 v5, v1
	v_and_b32_e32 v8, 0x80, v3
                                        ; implicit-def: $vgpr53
	s_mov_b32 s7, exec_lo
	s_delay_alu instid0(VALU_DEP_2)
	v_cmpx_gt_u64_e32 0x47600001, v[4:5]
	s_xor_b32 s40, exec_lo, s7
	s_cbranch_execz .LBB6_9828
; %bb.9819:                             ;   in Loop: Header=BB6_8449 Depth=2
	v_mov_b32_e32 v53, 0
	s_mov_b32 s41, exec_lo
	v_cmpx_ne_u32_e32 0, v2
	s_cbranch_execz .LBB6_9827
; %bb.9820:                             ;   in Loop: Header=BB6_8449 Depth=2
	v_bfe_u32 v10, v2, 23, 8
	v_or_b32_e32 v4, 0x800000, v0
	s_mov_b32 s42, exec_lo
	s_delay_alu instid0(VALU_DEP_2) | instskip(SKIP_1) | instid1(VALU_DEP_2)
	v_dual_mov_b32 v5, v1 :: v_dual_sub_nc_u32 v2, 0x71, v10
	v_cmp_gt_u32_e32 vcc_lo, 0x72, v10
	v_cndmask_b32_e32 v2, 0, v2, vcc_lo
	v_cmp_eq_u32_e32 vcc_lo, 0, v10
	s_delay_alu instid0(VALU_DEP_2) | instskip(NEXT) | instid1(VALU_DEP_1)
	v_cndmask_b32_e64 v11, v2, 0x70, vcc_lo
	v_dual_cndmask_b32 v4, v4, v0, vcc_lo :: v_dual_add_nc_u32 v2, 21, v11
	v_add_nc_u32_e32 v14, 20, v11
	s_delay_alu instid0(VALU_DEP_2) | instskip(NEXT) | instid1(VALU_DEP_2)
	v_lshlrev_b64_e64 v[2:3], v2, -1
	v_lshlrev_b64_e64 v[14:15], v14, 1
	s_delay_alu instid0(VALU_DEP_2) | instskip(NEXT) | instid1(VALU_DEP_3)
	v_bfi_b32 v17, v3, 0, 0
	v_bfi_b32 v16, v2, 0, v4
	v_lshrrev_b64 v[2:3], v11, v[4:5]
	s_delay_alu instid0(VALU_DEP_1) | instskip(NEXT) | instid1(VALU_DEP_3)
	v_mov_b64_e32 v[4:5], v[2:3]
	v_cmpx_eq_u64_e64 v[16:17], v[14:15]
; %bb.9821:                             ;   in Loop: Header=BB6_8449 Depth=2
	v_bfe_u32 v4, v2, 21, 1
	v_mov_b32_e32 v5, v1
	s_delay_alu instid0(VALU_DEP_1) | instskip(NEXT) | instid1(VALU_DEP_1)
	v_add_nc_u64_e32 v[4:5], v[2:3], v[4:5]
	v_add_nc_u64_e32 v[4:5], -1, v[4:5]
; %bb.9822:                             ;   in Loop: Header=BB6_8449 Depth=2
	s_or_b32 exec_lo, exec_lo, s42
	v_add_nc_u32_e32 v0, 0xffffff81, v10
	v_lshrrev_b32_e32 v3, 23, v2
	s_mov_b32 s7, exec_lo
	s_delay_alu instid0(VALU_DEP_2) | instskip(NEXT) | instid1(VALU_DEP_1)
	v_cndmask_b32_e64 v0, v0, 0xffffff82, vcc_lo
	v_add3_u32 v5, v11, v0, v3
	v_and_b32_e32 v0, 0x1fffff, v4
                                        ; implicit-def: $vgpr4
	s_delay_alu instid0(VALU_DEP_1) | instskip(NEXT) | instid1(VALU_DEP_1)
	v_dual_add_nc_u32 v10, 14, v5 :: v_dual_add_nc_u32 v0, v0, v2
                                        ; implicit-def: $vgpr2_vgpr3
	v_cmpx_ne_u32_e32 0, v10
	s_xor_b32 s7, exec_lo, s7
; %bb.9823:                             ;   in Loop: Header=BB6_8449 Depth=2
	s_delay_alu instid0(VALU_DEP_2) | instskip(SKIP_1) | instid1(VALU_DEP_1)
	v_cmp_lt_u64_e32 vcc_lo, 0xffffff, v[0:1]
	v_add_nc_u32_e32 v2, 15, v5
	v_cndmask_b32_e32 v4, v10, v2, vcc_lo
	v_cndmask_b32_e64 v2, 0, 1, vcc_lo
	s_delay_alu instid0(VALU_DEP_1)
	v_lshrrev_b64 v[2:3], v2, v[0:1]
; %bb.9824:                             ;   in Loop: Header=BB6_8449 Depth=2
	s_and_not1_saveexec_b32 s7, s7
; %bb.9825:                             ;   in Loop: Header=BB6_8449 Depth=2
	v_mov_b64_e32 v[2:3], v[0:1]
	v_bfe_u32 v4, v0, 23, 1
; %bb.9826:                             ;   in Loop: Header=BB6_8449 Depth=2
	s_or_b32 exec_lo, exec_lo, s7
	s_delay_alu instid0(VALU_DEP_2) | instskip(NEXT) | instid1(VALU_DEP_2)
	v_lshrrev_b64 v[2:3], 21, v[2:3]
	v_cmp_gt_i32_e32 vcc_lo, 32, v4
	v_min_i32_e32 v0, 31, v4
	v_cmp_eq_u32_e64 s7, 0, v4
	s_delay_alu instid0(VALU_DEP_2) | instskip(SKIP_1) | instid1(VALU_DEP_2)
	v_dual_cndmask_b32 v3, 0, v3 :: v_dual_lshlrev_b32 v0, 2, v0
	v_cndmask_b32_e32 v2, 3, v2, vcc_lo
	v_and_b32_e32 v0, 0xfc, v0
	s_delay_alu instid0(VALU_DEP_2) | instskip(NEXT) | instid1(VALU_DEP_2)
	v_cmp_eq_u64_e32 vcc_lo, 0, v[2:3]
	v_and_or_b32 v0, v2, 3, v0
	s_and_b32 s7, s7, vcc_lo
	s_delay_alu instid0(VALU_DEP_1) | instid1(SALU_CYCLE_1)
	v_cndmask_b32_e64 v0, v0, 0, s7
	s_delay_alu instid0(VALU_DEP_1)
	v_or_b32_e32 v53, v0, v8
.LBB6_9827:                             ;   in Loop: Header=BB6_8449 Depth=2
	s_or_b32 exec_lo, exec_lo, s41
                                        ; implicit-def: $vgpr8
.LBB6_9828:                             ;   in Loop: Header=BB6_8449 Depth=2
	s_and_not1_saveexec_b32 s7, s40
; %bb.9829:                             ;   in Loop: Header=BB6_8449 Depth=2
	v_or_b32_e32 v53, 0x7b, v8
; %bb.9830:                             ;   in Loop: Header=BB6_8449 Depth=2
	s_or_b32 exec_lo, exec_lo, s7
                                        ; implicit-def: $vgpr2
                                        ; implicit-def: $vgpr3
.LBB6_9831:                             ;   in Loop: Header=BB6_8449 Depth=2
	s_and_not1_saveexec_b32 s7, s29
	s_cbranch_execz .LBB6_9837
; %bb.9832:                             ;   in Loop: Header=BB6_8449 Depth=2
	s_mov_b32 s29, exec_lo
                                        ; implicit-def: $vgpr53
	v_cmpx_ne_u64_e32 0, v[0:1]
	s_xor_b32 s29, exec_lo, s29
; %bb.9833:                             ;   in Loop: Header=BB6_8449 Depth=2
	v_or_b32_e32 v53, 0x7f, v3
                                        ; implicit-def: $vgpr2
; %bb.9834:                             ;   in Loop: Header=BB6_8449 Depth=2
	s_and_not1_saveexec_b32 s29, s29
; %bb.9835:                             ;   in Loop: Header=BB6_8449 Depth=2
	v_cmp_lt_i32_e32 vcc_lo, -1, v2
	v_mov_b32_e32 v0, 0x7c
	s_delay_alu instid0(VALU_DEP_1)
	v_cndmask_b32_e32 v53, 0xfc, v0, vcc_lo
; %bb.9836:                             ;   in Loop: Header=BB6_8449 Depth=2
	s_or_b32 exec_lo, exec_lo, s29
.LBB6_9837:                             ;   in Loop: Header=BB6_8449 Depth=2
	s_delay_alu instid0(SALU_CYCLE_1) | instskip(SKIP_2) | instid1(VALU_DEP_1)
	s_or_b32 exec_lo, exec_lo, s7
	v_dual_mov_b32 v3, 0 :: v_dual_lshrrev_b32 v0, 16, v13
	s_mov_b32 s7, exec_lo
	v_and_b32_e32 v2, 0xff, v0
	s_delay_alu instid0(VALU_DEP_1)
	v_cmpx_ne_u16_e32 0, v2
	s_cbranch_execz .LBB6_9847
; %bb.9838:                             ;   in Loop: Header=BB6_8449 Depth=2
	v_bfrev_b32_e32 v3, 1
	s_mov_b32 s29, exec_lo
	v_cmpx_ne_u16_e32 0x80, v2
	s_cbranch_execz .LBB6_9846
; %bb.9839:                             ;   in Loop: Header=BB6_8449 Depth=2
	v_and_b32_e32 v3, 0x7c0000, v13
	v_bfe_u32 v2, v13, 16, 2
	s_delay_alu instid0(VALU_DEP_2) | instskip(SKIP_1) | instid1(SALU_CYCLE_1)
	v_cmp_ne_u32_e32 vcc_lo, 0x7c0000, v3
                                        ; implicit-def: $vgpr3
	s_and_saveexec_b32 s40, vcc_lo
	s_xor_b32 s40, exec_lo, s40
	s_cbranch_execz .LBB6_9843
; %bb.9840:                             ;   in Loop: Header=BB6_8449 Depth=2
	v_bfe_u32 v3, v13, 18, 5
	s_mov_b32 s41, exec_lo
	s_delay_alu instid0(VALU_DEP_1)
	v_cmpx_eq_u32_e32 0, v3
; %bb.9841:                             ;   in Loop: Header=BB6_8449 Depth=2
	v_clz_i32_u32_e32 v2, v2
	s_delay_alu instid0(VALU_DEP_1) | instskip(NEXT) | instid1(VALU_DEP_1)
	v_min_u32_e32 v4, 32, v2
	v_subrev_nc_u32_e32 v2, 29, v4
	s_delay_alu instid0(VALU_DEP_1) | instskip(NEXT) | instid1(VALU_DEP_1)
	v_lshlrev_b64_e32 v[2:3], v2, v[0:1]
	v_dual_sub_nc_u32 v3, 30, v4 :: v_dual_bitop2_b32 v2, 3, v2 bitop3:0x40
; %bb.9842:                             ;   in Loop: Header=BB6_8449 Depth=2
	s_or_b32 exec_lo, exec_lo, s41
	v_lshlrev_b32_e32 v0, 24, v0
	s_delay_alu instid0(VALU_DEP_1) | instskip(NEXT) | instid1(VALU_DEP_1)
	v_and_b32_e32 v0, 0x80000000, v0
	v_lshl_add_u32 v0, v3, 23, v0
	s_delay_alu instid0(VALU_DEP_1) | instskip(NEXT) | instid1(VALU_DEP_1)
	v_lshl_or_b32 v0, v2, 21, v0
                                        ; implicit-def: $vgpr2
	v_add_nc_u32_e32 v3, 0x38000000, v0
                                        ; implicit-def: $vgpr0
.LBB6_9843:                             ;   in Loop: Header=BB6_8449 Depth=2
	s_and_not1_saveexec_b32 s40, s40
; %bb.9844:                             ;   in Loop: Header=BB6_8449 Depth=2
	v_bfe_i32 v0, v0, 0, 8
	s_delay_alu instid0(VALU_DEP_1) | instskip(SKIP_1) | instid1(VALU_DEP_1)
	v_cmp_lt_i16_e32 vcc_lo, -1, v0
	v_mov_b32_e32 v0, 0x7f800000
	v_cndmask_b32_e32 v0, 0xff800000, v0, vcc_lo
	v_cmp_eq_u32_e32 vcc_lo, 0, v2
	s_delay_alu instid0(VALU_DEP_2)
	v_cndmask_b32_e32 v3, 0x7f800001, v0, vcc_lo
; %bb.9845:                             ;   in Loop: Header=BB6_8449 Depth=2
	s_or_b32 exec_lo, exec_lo, s40
.LBB6_9846:                             ;   in Loop: Header=BB6_8449 Depth=2
	s_delay_alu instid0(SALU_CYCLE_1)
	s_or_b32 exec_lo, exec_lo, s29
.LBB6_9847:                             ;   in Loop: Header=BB6_8449 Depth=2
	s_delay_alu instid0(SALU_CYCLE_1) | instskip(NEXT) | instid1(VALU_DEP_1)
	s_or_b32 exec_lo, exec_lo, s7
	v_dual_mul_f32 v2, s28, v3 :: v_dual_mov_b32 v5, v1
                                        ; implicit-def: $vgpr65
	s_mov_b32 s7, exec_lo
	s_delay_alu instid0(VALU_DEP_1) | instskip(SKIP_2) | instid1(VALU_DEP_3)
	v_and_b32_e32 v4, 0x7f800000, v2
	v_and_b32_e32 v0, 0x7fffff, v2
	v_lshrrev_b32_e32 v3, 24, v2
	v_cmpx_ne_u64_e32 0x7f800000, v[4:5]
	s_xor_b32 s29, exec_lo, s7
	s_cbranch_execz .LBB6_9861
; %bb.9848:                             ;   in Loop: Header=BB6_8449 Depth=2
	v_and_b32_e32 v4, 0x7fffffff, v2
	v_mov_b32_e32 v5, v1
	v_and_b32_e32 v8, 0x80, v3
                                        ; implicit-def: $vgpr65
	s_mov_b32 s7, exec_lo
	s_delay_alu instid0(VALU_DEP_2)
	v_cmpx_gt_u64_e32 0x47600001, v[4:5]
	s_xor_b32 s40, exec_lo, s7
	s_cbranch_execz .LBB6_9858
; %bb.9849:                             ;   in Loop: Header=BB6_8449 Depth=2
	v_mov_b32_e32 v65, 0
	s_mov_b32 s41, exec_lo
	v_cmpx_ne_u32_e32 0, v2
	s_cbranch_execz .LBB6_9857
; %bb.9850:                             ;   in Loop: Header=BB6_8449 Depth=2
	v_bfe_u32 v10, v2, 23, 8
	v_or_b32_e32 v4, 0x800000, v0
	s_mov_b32 s42, exec_lo
	s_delay_alu instid0(VALU_DEP_2) | instskip(SKIP_1) | instid1(VALU_DEP_2)
	v_dual_mov_b32 v5, v1 :: v_dual_sub_nc_u32 v2, 0x71, v10
	v_cmp_gt_u32_e32 vcc_lo, 0x72, v10
	v_cndmask_b32_e32 v2, 0, v2, vcc_lo
	v_cmp_eq_u32_e32 vcc_lo, 0, v10
	s_delay_alu instid0(VALU_DEP_2) | instskip(NEXT) | instid1(VALU_DEP_1)
	v_cndmask_b32_e64 v11, v2, 0x70, vcc_lo
	v_dual_cndmask_b32 v4, v4, v0, vcc_lo :: v_dual_add_nc_u32 v2, 21, v11
	v_add_nc_u32_e32 v14, 20, v11
	s_delay_alu instid0(VALU_DEP_2) | instskip(NEXT) | instid1(VALU_DEP_2)
	v_lshlrev_b64_e64 v[2:3], v2, -1
	v_lshlrev_b64_e64 v[14:15], v14, 1
	s_delay_alu instid0(VALU_DEP_2) | instskip(NEXT) | instid1(VALU_DEP_3)
	v_bfi_b32 v17, v3, 0, 0
	v_bfi_b32 v16, v2, 0, v4
	v_lshrrev_b64 v[2:3], v11, v[4:5]
	s_delay_alu instid0(VALU_DEP_1) | instskip(NEXT) | instid1(VALU_DEP_3)
	v_mov_b64_e32 v[4:5], v[2:3]
	v_cmpx_eq_u64_e64 v[16:17], v[14:15]
; %bb.9851:                             ;   in Loop: Header=BB6_8449 Depth=2
	v_bfe_u32 v4, v2, 21, 1
	v_mov_b32_e32 v5, v1
	s_delay_alu instid0(VALU_DEP_1) | instskip(NEXT) | instid1(VALU_DEP_1)
	v_add_nc_u64_e32 v[4:5], v[2:3], v[4:5]
	v_add_nc_u64_e32 v[4:5], -1, v[4:5]
; %bb.9852:                             ;   in Loop: Header=BB6_8449 Depth=2
	s_or_b32 exec_lo, exec_lo, s42
	v_add_nc_u32_e32 v0, 0xffffff81, v10
	v_lshrrev_b32_e32 v3, 23, v2
	s_mov_b32 s7, exec_lo
	s_delay_alu instid0(VALU_DEP_2) | instskip(NEXT) | instid1(VALU_DEP_1)
	v_cndmask_b32_e64 v0, v0, 0xffffff82, vcc_lo
	v_add3_u32 v5, v11, v0, v3
	v_and_b32_e32 v0, 0x1fffff, v4
                                        ; implicit-def: $vgpr4
	s_delay_alu instid0(VALU_DEP_1) | instskip(NEXT) | instid1(VALU_DEP_1)
	v_dual_add_nc_u32 v10, 14, v5 :: v_dual_add_nc_u32 v0, v0, v2
                                        ; implicit-def: $vgpr2_vgpr3
	v_cmpx_ne_u32_e32 0, v10
	s_xor_b32 s7, exec_lo, s7
; %bb.9853:                             ;   in Loop: Header=BB6_8449 Depth=2
	s_delay_alu instid0(VALU_DEP_2) | instskip(SKIP_1) | instid1(VALU_DEP_1)
	v_cmp_lt_u64_e32 vcc_lo, 0xffffff, v[0:1]
	v_add_nc_u32_e32 v2, 15, v5
	v_cndmask_b32_e32 v4, v10, v2, vcc_lo
	v_cndmask_b32_e64 v2, 0, 1, vcc_lo
	s_delay_alu instid0(VALU_DEP_1)
	v_lshrrev_b64 v[2:3], v2, v[0:1]
; %bb.9854:                             ;   in Loop: Header=BB6_8449 Depth=2
	s_and_not1_saveexec_b32 s7, s7
; %bb.9855:                             ;   in Loop: Header=BB6_8449 Depth=2
	v_mov_b64_e32 v[2:3], v[0:1]
	v_bfe_u32 v4, v0, 23, 1
; %bb.9856:                             ;   in Loop: Header=BB6_8449 Depth=2
	s_or_b32 exec_lo, exec_lo, s7
	s_delay_alu instid0(VALU_DEP_2) | instskip(NEXT) | instid1(VALU_DEP_2)
	v_lshrrev_b64 v[2:3], 21, v[2:3]
	v_cmp_gt_i32_e32 vcc_lo, 32, v4
	v_min_i32_e32 v0, 31, v4
	v_cmp_eq_u32_e64 s7, 0, v4
	s_delay_alu instid0(VALU_DEP_2) | instskip(SKIP_1) | instid1(VALU_DEP_2)
	v_dual_cndmask_b32 v3, 0, v3 :: v_dual_lshlrev_b32 v0, 2, v0
	v_cndmask_b32_e32 v2, 3, v2, vcc_lo
	v_and_b32_e32 v0, 0xfc, v0
	s_delay_alu instid0(VALU_DEP_2) | instskip(NEXT) | instid1(VALU_DEP_2)
	v_cmp_eq_u64_e32 vcc_lo, 0, v[2:3]
	v_and_or_b32 v0, v2, 3, v0
	s_and_b32 s7, s7, vcc_lo
	s_delay_alu instid0(VALU_DEP_1) | instid1(SALU_CYCLE_1)
	v_cndmask_b32_e64 v0, v0, 0, s7
	s_delay_alu instid0(VALU_DEP_1)
	v_or_b32_e32 v65, v0, v8
.LBB6_9857:                             ;   in Loop: Header=BB6_8449 Depth=2
	s_or_b32 exec_lo, exec_lo, s41
                                        ; implicit-def: $vgpr8
.LBB6_9858:                             ;   in Loop: Header=BB6_8449 Depth=2
	s_and_not1_saveexec_b32 s7, s40
; %bb.9859:                             ;   in Loop: Header=BB6_8449 Depth=2
	v_or_b32_e32 v65, 0x7b, v8
; %bb.9860:                             ;   in Loop: Header=BB6_8449 Depth=2
	s_or_b32 exec_lo, exec_lo, s7
                                        ; implicit-def: $vgpr2
                                        ; implicit-def: $vgpr3
.LBB6_9861:                             ;   in Loop: Header=BB6_8449 Depth=2
	s_and_not1_saveexec_b32 s7, s29
	s_cbranch_execz .LBB6_9867
; %bb.9862:                             ;   in Loop: Header=BB6_8449 Depth=2
	s_mov_b32 s29, exec_lo
                                        ; implicit-def: $vgpr65
	v_cmpx_ne_u64_e32 0, v[0:1]
	s_xor_b32 s29, exec_lo, s29
; %bb.9863:                             ;   in Loop: Header=BB6_8449 Depth=2
	v_or_b32_e32 v65, 0x7f, v3
                                        ; implicit-def: $vgpr2
; %bb.9864:                             ;   in Loop: Header=BB6_8449 Depth=2
	s_and_not1_saveexec_b32 s29, s29
; %bb.9865:                             ;   in Loop: Header=BB6_8449 Depth=2
	v_cmp_lt_i32_e32 vcc_lo, -1, v2
	v_mov_b32_e32 v0, 0x7c
	s_delay_alu instid0(VALU_DEP_1)
	v_cndmask_b32_e32 v65, 0xfc, v0, vcc_lo
; %bb.9866:                             ;   in Loop: Header=BB6_8449 Depth=2
	s_or_b32 exec_lo, exec_lo, s29
.LBB6_9867:                             ;   in Loop: Header=BB6_8449 Depth=2
	s_delay_alu instid0(SALU_CYCLE_1)
	s_or_b32 exec_lo, exec_lo, s7
	v_mov_b32_e32 v2, 0
	s_mov_b32 s7, exec_lo
	v_cmpx_lt_u64_e64 s[12:13], v[12:13]
	s_cbranch_execz .LBB6_9877
; %bb.9868:                             ;   in Loop: Header=BB6_8449 Depth=2
	v_lshrrev_b32_e32 v0, 24, v13
	v_bfrev_b32_e32 v2, 1
	s_mov_b32 s29, exec_lo
	s_delay_alu instid0(VALU_DEP_2)
	v_cmpx_ne_u32_e32 0x80, v0
	s_cbranch_execz .LBB6_9876
; %bb.9869:                             ;   in Loop: Header=BB6_8449 Depth=2
	v_and_b32_e32 v2, 0x7c000000, v13
	v_bfe_u32 v3, v13, 24, 2
	s_delay_alu instid0(VALU_DEP_2) | instskip(SKIP_1) | instid1(SALU_CYCLE_1)
	v_cmp_ne_u32_e32 vcc_lo, 0x7c000000, v2
                                        ; implicit-def: $vgpr2
	s_and_saveexec_b32 s40, vcc_lo
	s_xor_b32 s40, exec_lo, s40
	s_cbranch_execz .LBB6_9873
; %bb.9870:                             ;   in Loop: Header=BB6_8449 Depth=2
	v_bfe_u32 v2, v13, 26, 5
	s_mov_b32 s41, exec_lo
	s_delay_alu instid0(VALU_DEP_1)
	v_cmpx_eq_u32_e32 0, v2
; %bb.9871:                             ;   in Loop: Header=BB6_8449 Depth=2
	v_clz_i32_u32_e32 v2, v3
	s_delay_alu instid0(VALU_DEP_1) | instskip(NEXT) | instid1(VALU_DEP_1)
	v_min_u32_e32 v2, 32, v2
	v_subrev_nc_u32_e32 v3, 29, v2
	s_delay_alu instid0(VALU_DEP_1) | instskip(NEXT) | instid1(VALU_DEP_1)
	v_lshlrev_b64_e32 v[4:5], v3, v[0:1]
	v_dual_sub_nc_u32 v2, 30, v2 :: v_dual_bitop2_b32 v3, 3, v4 bitop3:0x40
; %bb.9872:                             ;   in Loop: Header=BB6_8449 Depth=2
	s_or_b32 exec_lo, exec_lo, s41
	v_and_b32_e32 v0, 0x80000000, v13
                                        ; implicit-def: $vgpr12_vgpr13
	s_delay_alu instid0(VALU_DEP_1) | instskip(NEXT) | instid1(VALU_DEP_1)
	v_lshl_add_u32 v0, v2, 23, v0
	v_lshl_or_b32 v0, v3, 21, v0
                                        ; implicit-def: $vgpr3
	s_delay_alu instid0(VALU_DEP_1)
	v_add_nc_u32_e32 v2, 0x38000000, v0
.LBB6_9873:                             ;   in Loop: Header=BB6_8449 Depth=2
	s_and_not1_saveexec_b32 s40, s40
; %bb.9874:                             ;   in Loop: Header=BB6_8449 Depth=2
	v_cmp_lt_i64_e32 vcc_lo, -1, v[12:13]
	v_mov_b32_e32 v0, 0x7f800000
	s_delay_alu instid0(VALU_DEP_1) | instskip(SKIP_1) | instid1(VALU_DEP_2)
	v_cndmask_b32_e32 v0, 0xff800000, v0, vcc_lo
	v_cmp_eq_u32_e32 vcc_lo, 0, v3
	v_cndmask_b32_e32 v2, 0x7f800001, v0, vcc_lo
; %bb.9875:                             ;   in Loop: Header=BB6_8449 Depth=2
	s_or_b32 exec_lo, exec_lo, s40
.LBB6_9876:                             ;   in Loop: Header=BB6_8449 Depth=2
	s_delay_alu instid0(SALU_CYCLE_1)
	s_or_b32 exec_lo, exec_lo, s29
.LBB6_9877:                             ;   in Loop: Header=BB6_8449 Depth=2
	s_delay_alu instid0(SALU_CYCLE_1) | instskip(NEXT) | instid1(VALU_DEP_1)
	s_or_b32 exec_lo, exec_lo, s7
	v_dual_mul_f32 v2, s28, v2 :: v_dual_mov_b32 v5, v1
                                        ; implicit-def: $vgpr67
	s_mov_b32 s7, exec_lo
	s_delay_alu instid0(VALU_DEP_1) | instskip(SKIP_2) | instid1(VALU_DEP_3)
	v_and_b32_e32 v4, 0x7f800000, v2
	v_and_b32_e32 v0, 0x7fffff, v2
	v_lshrrev_b32_e32 v3, 24, v2
	v_cmpx_ne_u64_e32 0x7f800000, v[4:5]
	s_xor_b32 s29, exec_lo, s7
	s_cbranch_execz .LBB6_9891
; %bb.9878:                             ;   in Loop: Header=BB6_8449 Depth=2
	v_and_b32_e32 v4, 0x7fffffff, v2
	v_mov_b32_e32 v5, v1
	v_and_b32_e32 v8, 0x80, v3
                                        ; implicit-def: $vgpr67
	s_mov_b32 s7, exec_lo
	s_delay_alu instid0(VALU_DEP_2)
	v_cmpx_gt_u64_e32 0x47600001, v[4:5]
	s_xor_b32 s40, exec_lo, s7
	s_cbranch_execz .LBB6_9888
; %bb.9879:                             ;   in Loop: Header=BB6_8449 Depth=2
	v_mov_b32_e32 v67, 0
	s_mov_b32 s41, exec_lo
	v_cmpx_ne_u32_e32 0, v2
	s_cbranch_execz .LBB6_9887
; %bb.9880:                             ;   in Loop: Header=BB6_8449 Depth=2
	v_bfe_u32 v10, v2, 23, 8
	v_or_b32_e32 v4, 0x800000, v0
	s_mov_b32 s42, exec_lo
	s_delay_alu instid0(VALU_DEP_2) | instskip(SKIP_1) | instid1(VALU_DEP_2)
	v_dual_mov_b32 v5, v1 :: v_dual_sub_nc_u32 v2, 0x71, v10
	v_cmp_gt_u32_e32 vcc_lo, 0x72, v10
	v_cndmask_b32_e32 v2, 0, v2, vcc_lo
	v_cmp_eq_u32_e32 vcc_lo, 0, v10
	s_delay_alu instid0(VALU_DEP_2) | instskip(NEXT) | instid1(VALU_DEP_1)
	v_cndmask_b32_e64 v11, v2, 0x70, vcc_lo
	v_dual_cndmask_b32 v4, v4, v0, vcc_lo :: v_dual_add_nc_u32 v2, 21, v11
	v_add_nc_u32_e32 v12, 20, v11
	s_delay_alu instid0(VALU_DEP_2) | instskip(NEXT) | instid1(VALU_DEP_2)
	v_lshlrev_b64_e64 v[2:3], v2, -1
	v_lshlrev_b64_e64 v[12:13], v12, 1
	s_delay_alu instid0(VALU_DEP_2) | instskip(NEXT) | instid1(VALU_DEP_3)
	v_bfi_b32 v15, v3, 0, 0
	v_bfi_b32 v14, v2, 0, v4
	v_lshrrev_b64 v[2:3], v11, v[4:5]
	s_delay_alu instid0(VALU_DEP_1) | instskip(NEXT) | instid1(VALU_DEP_3)
	v_mov_b64_e32 v[4:5], v[2:3]
	v_cmpx_eq_u64_e64 v[14:15], v[12:13]
; %bb.9881:                             ;   in Loop: Header=BB6_8449 Depth=2
	v_bfe_u32 v4, v2, 21, 1
	v_mov_b32_e32 v5, v1
	s_delay_alu instid0(VALU_DEP_1) | instskip(NEXT) | instid1(VALU_DEP_1)
	v_add_nc_u64_e32 v[4:5], v[2:3], v[4:5]
	v_add_nc_u64_e32 v[4:5], -1, v[4:5]
; %bb.9882:                             ;   in Loop: Header=BB6_8449 Depth=2
	s_or_b32 exec_lo, exec_lo, s42
	v_add_nc_u32_e32 v0, 0xffffff81, v10
	v_lshrrev_b32_e32 v3, 23, v2
	s_mov_b32 s7, exec_lo
	s_delay_alu instid0(VALU_DEP_2) | instskip(NEXT) | instid1(VALU_DEP_1)
	v_cndmask_b32_e64 v0, v0, 0xffffff82, vcc_lo
	v_add3_u32 v5, v11, v0, v3
	v_and_b32_e32 v0, 0x1fffff, v4
                                        ; implicit-def: $vgpr4
	s_delay_alu instid0(VALU_DEP_1) | instskip(NEXT) | instid1(VALU_DEP_1)
	v_dual_add_nc_u32 v10, 14, v5 :: v_dual_add_nc_u32 v0, v0, v2
                                        ; implicit-def: $vgpr2_vgpr3
	v_cmpx_ne_u32_e32 0, v10
	s_xor_b32 s7, exec_lo, s7
; %bb.9883:                             ;   in Loop: Header=BB6_8449 Depth=2
	s_delay_alu instid0(VALU_DEP_2) | instskip(SKIP_1) | instid1(VALU_DEP_1)
	v_cmp_lt_u64_e32 vcc_lo, 0xffffff, v[0:1]
	v_add_nc_u32_e32 v2, 15, v5
	v_cndmask_b32_e32 v4, v10, v2, vcc_lo
	v_cndmask_b32_e64 v2, 0, 1, vcc_lo
	s_delay_alu instid0(VALU_DEP_1)
	v_lshrrev_b64 v[2:3], v2, v[0:1]
; %bb.9884:                             ;   in Loop: Header=BB6_8449 Depth=2
	s_and_not1_saveexec_b32 s7, s7
; %bb.9885:                             ;   in Loop: Header=BB6_8449 Depth=2
	v_mov_b64_e32 v[2:3], v[0:1]
	v_bfe_u32 v4, v0, 23, 1
; %bb.9886:                             ;   in Loop: Header=BB6_8449 Depth=2
	s_or_b32 exec_lo, exec_lo, s7
	s_delay_alu instid0(VALU_DEP_2) | instskip(NEXT) | instid1(VALU_DEP_2)
	v_lshrrev_b64 v[2:3], 21, v[2:3]
	v_cmp_gt_i32_e32 vcc_lo, 32, v4
	v_min_i32_e32 v0, 31, v4
	v_cmp_eq_u32_e64 s7, 0, v4
	s_delay_alu instid0(VALU_DEP_2) | instskip(SKIP_1) | instid1(VALU_DEP_2)
	v_dual_cndmask_b32 v3, 0, v3 :: v_dual_lshlrev_b32 v0, 2, v0
	v_cndmask_b32_e32 v2, 3, v2, vcc_lo
	v_and_b32_e32 v0, 0xfc, v0
	s_delay_alu instid0(VALU_DEP_2) | instskip(NEXT) | instid1(VALU_DEP_2)
	v_cmp_eq_u64_e32 vcc_lo, 0, v[2:3]
	v_and_or_b32 v0, v2, 3, v0
	s_and_b32 s7, s7, vcc_lo
	s_delay_alu instid0(VALU_DEP_1) | instid1(SALU_CYCLE_1)
	v_cndmask_b32_e64 v0, v0, 0, s7
	s_delay_alu instid0(VALU_DEP_1)
	v_or_b32_e32 v67, v0, v8
.LBB6_9887:                             ;   in Loop: Header=BB6_8449 Depth=2
	s_or_b32 exec_lo, exec_lo, s41
                                        ; implicit-def: $vgpr8
.LBB6_9888:                             ;   in Loop: Header=BB6_8449 Depth=2
	s_and_not1_saveexec_b32 s7, s40
; %bb.9889:                             ;   in Loop: Header=BB6_8449 Depth=2
	v_or_b32_e32 v67, 0x7b, v8
; %bb.9890:                             ;   in Loop: Header=BB6_8449 Depth=2
	s_or_b32 exec_lo, exec_lo, s7
                                        ; implicit-def: $vgpr2
                                        ; implicit-def: $vgpr3
.LBB6_9891:                             ;   in Loop: Header=BB6_8449 Depth=2
	s_and_not1_saveexec_b32 s7, s29
	s_cbranch_execz .LBB6_9897
; %bb.9892:                             ;   in Loop: Header=BB6_8449 Depth=2
	s_mov_b32 s29, exec_lo
                                        ; implicit-def: $vgpr67
	v_cmpx_ne_u64_e32 0, v[0:1]
	s_xor_b32 s29, exec_lo, s29
; %bb.9893:                             ;   in Loop: Header=BB6_8449 Depth=2
	v_or_b32_e32 v67, 0x7f, v3
                                        ; implicit-def: $vgpr2
; %bb.9894:                             ;   in Loop: Header=BB6_8449 Depth=2
	s_and_not1_saveexec_b32 s29, s29
; %bb.9895:                             ;   in Loop: Header=BB6_8449 Depth=2
	v_cmp_lt_i32_e32 vcc_lo, -1, v2
	v_mov_b32_e32 v0, 0x7c
	s_delay_alu instid0(VALU_DEP_1)
	v_cndmask_b32_e32 v67, 0xfc, v0, vcc_lo
; %bb.9896:                             ;   in Loop: Header=BB6_8449 Depth=2
	s_or_b32 exec_lo, exec_lo, s29
.LBB6_9897:                             ;   in Loop: Header=BB6_8449 Depth=2
	s_delay_alu instid0(SALU_CYCLE_1) | instskip(SKIP_3) | instid1(VALU_DEP_1)
	s_or_b32 exec_lo, exec_lo, s7
	global_load_b128 v[10:13], v[98:99], off offset:1536 th:TH_LOAD_NT
	s_wait_loadcnt 0x0
	v_and_b32_e32 v0, 0xff, v10
	v_cmp_ne_u16_e32 vcc_lo, 0, v0
	v_mov_b32_e32 v0, 0
	s_wait_xcnt 0x0
	s_and_saveexec_b32 s7, vcc_lo
	s_cbranch_execz .LBB6_9907
; %bb.9898:                             ;   in Loop: Header=BB6_8449 Depth=2
	v_bfe_i32 v3, v10, 0, 8
	v_bfrev_b32_e32 v0, 1
	s_mov_b32 s29, exec_lo
	s_delay_alu instid0(VALU_DEP_2)
	v_cmpx_ne_u16_e32 0xff80, v3
	s_cbranch_execz .LBB6_9906
; %bb.9899:                             ;   in Loop: Header=BB6_8449 Depth=2
	v_and_b32_e32 v0, 0x7c, v10
	v_and_b32_e32 v2, 3, v10
	s_delay_alu instid0(VALU_DEP_2) | instskip(SKIP_1) | instid1(SALU_CYCLE_1)
	v_cmp_ne_u32_e32 vcc_lo, 0x7c, v0
                                        ; implicit-def: $vgpr0
	s_and_saveexec_b32 s40, vcc_lo
	s_xor_b32 s40, exec_lo, s40
	s_cbranch_execz .LBB6_9903
; %bb.9900:                             ;   in Loop: Header=BB6_8449 Depth=2
	v_bfe_u32 v0, v10, 2, 5
	s_mov_b32 s41, exec_lo
	s_delay_alu instid0(VALU_DEP_1)
	v_cmpx_eq_u32_e32 0, v0
; %bb.9901:                             ;   in Loop: Header=BB6_8449 Depth=2
	v_clz_i32_u32_e32 v0, v2
	s_delay_alu instid0(VALU_DEP_1) | instskip(NEXT) | instid1(VALU_DEP_1)
	v_min_u32_e32 v0, 32, v0
	v_subrev_nc_u32_e32 v2, 29, v0
	s_delay_alu instid0(VALU_DEP_1) | instskip(NEXT) | instid1(VALU_DEP_1)
	v_lshlrev_b64_e32 v[2:3], v2, v[10:11]
	v_dual_sub_nc_u32 v0, 30, v0 :: v_dual_bitop2_b32 v2, 3, v2 bitop3:0x40
; %bb.9902:                             ;   in Loop: Header=BB6_8449 Depth=2
	s_or_b32 exec_lo, exec_lo, s41
	v_lshlrev_b32_e32 v3, 24, v10
	s_delay_alu instid0(VALU_DEP_1) | instskip(NEXT) | instid1(VALU_DEP_1)
	v_and_b32_e32 v3, 0x80000000, v3
	v_lshl_add_u32 v0, v0, 23, v3
                                        ; implicit-def: $vgpr3
	s_delay_alu instid0(VALU_DEP_1) | instskip(NEXT) | instid1(VALU_DEP_1)
	v_lshl_or_b32 v0, v2, 21, v0
                                        ; implicit-def: $vgpr2
	v_add_nc_u32_e32 v0, 0x38000000, v0
.LBB6_9903:                             ;   in Loop: Header=BB6_8449 Depth=2
	s_and_not1_saveexec_b32 s40, s40
; %bb.9904:                             ;   in Loop: Header=BB6_8449 Depth=2
	v_cmp_lt_i16_e32 vcc_lo, -1, v3
	v_mov_b32_e32 v0, 0x7f800000
	s_delay_alu instid0(VALU_DEP_1) | instskip(SKIP_1) | instid1(VALU_DEP_2)
	v_cndmask_b32_e32 v0, 0xff800000, v0, vcc_lo
	v_cmp_eq_u32_e32 vcc_lo, 0, v2
	v_cndmask_b32_e32 v0, 0x7f800001, v0, vcc_lo
; %bb.9905:                             ;   in Loop: Header=BB6_8449 Depth=2
	s_or_b32 exec_lo, exec_lo, s40
.LBB6_9906:                             ;   in Loop: Header=BB6_8449 Depth=2
	s_delay_alu instid0(SALU_CYCLE_1)
	s_or_b32 exec_lo, exec_lo, s29
.LBB6_9907:                             ;   in Loop: Header=BB6_8449 Depth=2
	s_delay_alu instid0(SALU_CYCLE_1) | instskip(NEXT) | instid1(VALU_DEP_1)
	s_or_b32 exec_lo, exec_lo, s7
	v_dual_mul_f32 v2, s28, v0 :: v_dual_mov_b32 v5, v1
                                        ; implicit-def: $vgpr36
	s_mov_b32 s7, exec_lo
	s_delay_alu instid0(VALU_DEP_1) | instskip(SKIP_2) | instid1(VALU_DEP_3)
	v_and_b32_e32 v4, 0x7f800000, v2
	v_and_b32_e32 v0, 0x7fffff, v2
	v_lshrrev_b32_e32 v3, 24, v2
	v_cmpx_ne_u64_e32 0x7f800000, v[4:5]
	s_xor_b32 s29, exec_lo, s7
	s_cbranch_execz .LBB6_9921
; %bb.9908:                             ;   in Loop: Header=BB6_8449 Depth=2
	v_and_b32_e32 v4, 0x7fffffff, v2
	v_mov_b32_e32 v5, v1
	v_and_b32_e32 v8, 0x80, v3
                                        ; implicit-def: $vgpr36
	s_mov_b32 s7, exec_lo
	s_delay_alu instid0(VALU_DEP_2)
	v_cmpx_gt_u64_e32 0x47600001, v[4:5]
	s_xor_b32 s40, exec_lo, s7
	s_cbranch_execz .LBB6_9918
; %bb.9909:                             ;   in Loop: Header=BB6_8449 Depth=2
	v_mov_b32_e32 v36, 0
	s_mov_b32 s41, exec_lo
	v_cmpx_ne_u32_e32 0, v2
	s_cbranch_execz .LBB6_9917
; %bb.9910:                             ;   in Loop: Header=BB6_8449 Depth=2
	v_bfe_u32 v14, v2, 23, 8
	v_or_b32_e32 v4, 0x800000, v0
	s_mov_b32 s42, exec_lo
	s_delay_alu instid0(VALU_DEP_2) | instskip(SKIP_1) | instid1(VALU_DEP_2)
	v_dual_mov_b32 v5, v1 :: v_dual_sub_nc_u32 v2, 0x71, v14
	v_cmp_gt_u32_e32 vcc_lo, 0x72, v14
	v_cndmask_b32_e32 v2, 0, v2, vcc_lo
	v_cmp_eq_u32_e32 vcc_lo, 0, v14
	s_delay_alu instid0(VALU_DEP_2) | instskip(NEXT) | instid1(VALU_DEP_1)
	v_cndmask_b32_e64 v15, v2, 0x70, vcc_lo
	v_dual_cndmask_b32 v4, v4, v0, vcc_lo :: v_dual_add_nc_u32 v2, 21, v15
	v_add_nc_u32_e32 v16, 20, v15
	s_delay_alu instid0(VALU_DEP_2) | instskip(NEXT) | instid1(VALU_DEP_2)
	v_lshlrev_b64_e64 v[2:3], v2, -1
	v_lshlrev_b64_e64 v[16:17], v16, 1
	s_delay_alu instid0(VALU_DEP_2) | instskip(NEXT) | instid1(VALU_DEP_3)
	v_bfi_b32 v19, v3, 0, 0
	v_bfi_b32 v18, v2, 0, v4
	v_lshrrev_b64 v[2:3], v15, v[4:5]
	s_delay_alu instid0(VALU_DEP_1) | instskip(NEXT) | instid1(VALU_DEP_3)
	v_mov_b64_e32 v[4:5], v[2:3]
	v_cmpx_eq_u64_e64 v[18:19], v[16:17]
; %bb.9911:                             ;   in Loop: Header=BB6_8449 Depth=2
	v_bfe_u32 v4, v2, 21, 1
	v_mov_b32_e32 v5, v1
	s_delay_alu instid0(VALU_DEP_1) | instskip(NEXT) | instid1(VALU_DEP_1)
	v_add_nc_u64_e32 v[4:5], v[2:3], v[4:5]
	v_add_nc_u64_e32 v[4:5], -1, v[4:5]
; %bb.9912:                             ;   in Loop: Header=BB6_8449 Depth=2
	s_or_b32 exec_lo, exec_lo, s42
	v_add_nc_u32_e32 v0, 0xffffff81, v14
	v_lshrrev_b32_e32 v3, 23, v2
	s_mov_b32 s7, exec_lo
	s_delay_alu instid0(VALU_DEP_2) | instskip(NEXT) | instid1(VALU_DEP_1)
	v_cndmask_b32_e64 v0, v0, 0xffffff82, vcc_lo
	v_add3_u32 v5, v15, v0, v3
	v_and_b32_e32 v0, 0x1fffff, v4
                                        ; implicit-def: $vgpr4
	s_delay_alu instid0(VALU_DEP_1) | instskip(NEXT) | instid1(VALU_DEP_1)
	v_dual_add_nc_u32 v14, 14, v5 :: v_dual_add_nc_u32 v0, v0, v2
                                        ; implicit-def: $vgpr2_vgpr3
	v_cmpx_ne_u32_e32 0, v14
	s_xor_b32 s7, exec_lo, s7
; %bb.9913:                             ;   in Loop: Header=BB6_8449 Depth=2
	s_delay_alu instid0(VALU_DEP_2) | instskip(SKIP_1) | instid1(VALU_DEP_1)
	v_cmp_lt_u64_e32 vcc_lo, 0xffffff, v[0:1]
	v_add_nc_u32_e32 v2, 15, v5
	v_cndmask_b32_e32 v4, v14, v2, vcc_lo
	v_cndmask_b32_e64 v2, 0, 1, vcc_lo
	s_delay_alu instid0(VALU_DEP_1)
	v_lshrrev_b64 v[2:3], v2, v[0:1]
; %bb.9914:                             ;   in Loop: Header=BB6_8449 Depth=2
	s_and_not1_saveexec_b32 s7, s7
; %bb.9915:                             ;   in Loop: Header=BB6_8449 Depth=2
	v_mov_b64_e32 v[2:3], v[0:1]
	v_bfe_u32 v4, v0, 23, 1
; %bb.9916:                             ;   in Loop: Header=BB6_8449 Depth=2
	s_or_b32 exec_lo, exec_lo, s7
	s_delay_alu instid0(VALU_DEP_2) | instskip(NEXT) | instid1(VALU_DEP_2)
	v_lshrrev_b64 v[2:3], 21, v[2:3]
	v_cmp_gt_i32_e32 vcc_lo, 32, v4
	v_min_i32_e32 v0, 31, v4
	v_cmp_eq_u32_e64 s7, 0, v4
	s_delay_alu instid0(VALU_DEP_2) | instskip(SKIP_1) | instid1(VALU_DEP_2)
	v_dual_cndmask_b32 v3, 0, v3 :: v_dual_lshlrev_b32 v0, 2, v0
	v_cndmask_b32_e32 v2, 3, v2, vcc_lo
	v_and_b32_e32 v0, 0xfc, v0
	s_delay_alu instid0(VALU_DEP_2) | instskip(NEXT) | instid1(VALU_DEP_2)
	v_cmp_eq_u64_e32 vcc_lo, 0, v[2:3]
	v_and_or_b32 v0, v2, 3, v0
	s_and_b32 s7, s7, vcc_lo
	s_delay_alu instid0(VALU_DEP_1) | instid1(SALU_CYCLE_1)
	v_cndmask_b32_e64 v0, v0, 0, s7
	s_delay_alu instid0(VALU_DEP_1)
	v_or_b32_e32 v36, v0, v8
.LBB6_9917:                             ;   in Loop: Header=BB6_8449 Depth=2
	s_or_b32 exec_lo, exec_lo, s41
                                        ; implicit-def: $vgpr8
.LBB6_9918:                             ;   in Loop: Header=BB6_8449 Depth=2
	s_and_not1_saveexec_b32 s7, s40
; %bb.9919:                             ;   in Loop: Header=BB6_8449 Depth=2
	v_or_b32_e32 v36, 0x7b, v8
; %bb.9920:                             ;   in Loop: Header=BB6_8449 Depth=2
	s_or_b32 exec_lo, exec_lo, s7
                                        ; implicit-def: $vgpr2
                                        ; implicit-def: $vgpr3
.LBB6_9921:                             ;   in Loop: Header=BB6_8449 Depth=2
	s_and_not1_saveexec_b32 s7, s29
	s_cbranch_execz .LBB6_9927
; %bb.9922:                             ;   in Loop: Header=BB6_8449 Depth=2
	s_mov_b32 s29, exec_lo
                                        ; implicit-def: $vgpr36
	v_cmpx_ne_u64_e32 0, v[0:1]
	s_xor_b32 s29, exec_lo, s29
; %bb.9923:                             ;   in Loop: Header=BB6_8449 Depth=2
	v_or_b32_e32 v36, 0x7f, v3
                                        ; implicit-def: $vgpr2
; %bb.9924:                             ;   in Loop: Header=BB6_8449 Depth=2
	s_and_not1_saveexec_b32 s29, s29
; %bb.9925:                             ;   in Loop: Header=BB6_8449 Depth=2
	v_cmp_lt_i32_e32 vcc_lo, -1, v2
	v_mov_b32_e32 v0, 0x7c
	s_delay_alu instid0(VALU_DEP_1)
	v_cndmask_b32_e32 v36, 0xfc, v0, vcc_lo
; %bb.9926:                             ;   in Loop: Header=BB6_8449 Depth=2
	s_or_b32 exec_lo, exec_lo, s29
.LBB6_9927:                             ;   in Loop: Header=BB6_8449 Depth=2
	s_delay_alu instid0(SALU_CYCLE_1) | instskip(SKIP_3) | instid1(VALU_DEP_2)
	s_or_b32 exec_lo, exec_lo, s7
	v_lshrrev_b16 v2, 8, v10
	v_mov_b32_e32 v3, 0
	s_mov_b32 s7, exec_lo
	v_cmpx_ne_u16_e32 0, v2
	s_cbranch_execz .LBB6_9937
; %bb.9928:                             ;   in Loop: Header=BB6_8449 Depth=2
	v_bfrev_b32_e32 v3, 1
	s_mov_b32 s29, exec_lo
	v_cmpx_ne_u16_e32 0x80, v2
	s_cbranch_execz .LBB6_9936
; %bb.9929:                             ;   in Loop: Header=BB6_8449 Depth=2
	v_and_b32_e32 v4, 0xffff, v2
	s_delay_alu instid0(VALU_DEP_1) | instskip(SKIP_1) | instid1(VALU_DEP_2)
	v_and_b32_e32 v3, 0x7c, v4
	v_and_b32_e32 v0, 3, v4
	v_cmp_ne_u32_e32 vcc_lo, 0x7c, v3
                                        ; implicit-def: $vgpr3
	s_and_saveexec_b32 s40, vcc_lo
	s_delay_alu instid0(SALU_CYCLE_1)
	s_xor_b32 s40, exec_lo, s40
	s_cbranch_execz .LBB6_9933
; %bb.9930:                             ;   in Loop: Header=BB6_8449 Depth=2
	v_bfe_u32 v3, v4, 2, 5
	s_mov_b32 s41, exec_lo
	s_delay_alu instid0(VALU_DEP_1)
	v_cmpx_eq_u32_e32 0, v3
; %bb.9931:                             ;   in Loop: Header=BB6_8449 Depth=2
	v_clz_i32_u32_e32 v0, v0
	v_mov_b32_e32 v3, v1
	s_delay_alu instid0(VALU_DEP_2) | instskip(NEXT) | instid1(VALU_DEP_1)
	v_min_u32_e32 v0, 32, v0
	v_subrev_nc_u32_e32 v4, 29, v0
	s_delay_alu instid0(VALU_DEP_1) | instskip(NEXT) | instid1(VALU_DEP_1)
	v_lshlrev_b64_e32 v[2:3], v4, v[2:3]
	v_dual_sub_nc_u32 v3, 30, v0 :: v_dual_bitop2_b32 v0, 3, v2 bitop3:0x40
; %bb.9932:                             ;   in Loop: Header=BB6_8449 Depth=2
	s_or_b32 exec_lo, exec_lo, s41
	v_lshlrev_b32_e32 v2, 16, v10
	s_delay_alu instid0(VALU_DEP_1) | instskip(NEXT) | instid1(VALU_DEP_1)
	v_and_b32_e32 v2, 0x80000000, v2
	v_lshl_add_u32 v2, v3, 23, v2
	s_delay_alu instid0(VALU_DEP_1) | instskip(NEXT) | instid1(VALU_DEP_1)
	v_lshl_or_b32 v0, v0, 21, v2
	v_add_nc_u32_e32 v3, 0x38000000, v0
                                        ; implicit-def: $vgpr0
.LBB6_9933:                             ;   in Loop: Header=BB6_8449 Depth=2
	s_and_not1_saveexec_b32 s40, s40
; %bb.9934:                             ;   in Loop: Header=BB6_8449 Depth=2
	v_cmp_lt_i16_e32 vcc_lo, -1, v10
	v_mov_b32_e32 v2, 0x7f800000
	s_delay_alu instid0(VALU_DEP_1) | instskip(SKIP_1) | instid1(VALU_DEP_2)
	v_cndmask_b32_e32 v2, 0xff800000, v2, vcc_lo
	v_cmp_eq_u32_e32 vcc_lo, 0, v0
	v_cndmask_b32_e32 v3, 0x7f800001, v2, vcc_lo
; %bb.9935:                             ;   in Loop: Header=BB6_8449 Depth=2
	s_or_b32 exec_lo, exec_lo, s40
.LBB6_9936:                             ;   in Loop: Header=BB6_8449 Depth=2
	s_delay_alu instid0(SALU_CYCLE_1)
	s_or_b32 exec_lo, exec_lo, s29
.LBB6_9937:                             ;   in Loop: Header=BB6_8449 Depth=2
	s_delay_alu instid0(SALU_CYCLE_1) | instskip(NEXT) | instid1(VALU_DEP_1)
	s_or_b32 exec_lo, exec_lo, s7
	v_dual_mul_f32 v2, s28, v3 :: v_dual_mov_b32 v5, v1
                                        ; implicit-def: $vgpr48
	s_mov_b32 s7, exec_lo
	s_delay_alu instid0(VALU_DEP_1) | instskip(SKIP_2) | instid1(VALU_DEP_3)
	v_and_b32_e32 v4, 0x7f800000, v2
	v_and_b32_e32 v0, 0x7fffff, v2
	v_lshrrev_b32_e32 v3, 24, v2
	v_cmpx_ne_u64_e32 0x7f800000, v[4:5]
	s_xor_b32 s29, exec_lo, s7
	s_cbranch_execz .LBB6_9951
; %bb.9938:                             ;   in Loop: Header=BB6_8449 Depth=2
	v_and_b32_e32 v4, 0x7fffffff, v2
	v_mov_b32_e32 v5, v1
	v_and_b32_e32 v8, 0x80, v3
                                        ; implicit-def: $vgpr48
	s_mov_b32 s7, exec_lo
	s_delay_alu instid0(VALU_DEP_2)
	v_cmpx_gt_u64_e32 0x47600001, v[4:5]
	s_xor_b32 s40, exec_lo, s7
	s_cbranch_execz .LBB6_9948
; %bb.9939:                             ;   in Loop: Header=BB6_8449 Depth=2
	v_mov_b32_e32 v48, 0
	s_mov_b32 s41, exec_lo
	v_cmpx_ne_u32_e32 0, v2
	s_cbranch_execz .LBB6_9947
; %bb.9940:                             ;   in Loop: Header=BB6_8449 Depth=2
	v_bfe_u32 v14, v2, 23, 8
	v_or_b32_e32 v4, 0x800000, v0
	s_mov_b32 s42, exec_lo
	s_delay_alu instid0(VALU_DEP_2) | instskip(SKIP_1) | instid1(VALU_DEP_2)
	v_dual_mov_b32 v5, v1 :: v_dual_sub_nc_u32 v2, 0x71, v14
	v_cmp_gt_u32_e32 vcc_lo, 0x72, v14
	v_cndmask_b32_e32 v2, 0, v2, vcc_lo
	v_cmp_eq_u32_e32 vcc_lo, 0, v14
	s_delay_alu instid0(VALU_DEP_2) | instskip(NEXT) | instid1(VALU_DEP_1)
	v_cndmask_b32_e64 v15, v2, 0x70, vcc_lo
	v_dual_cndmask_b32 v4, v4, v0, vcc_lo :: v_dual_add_nc_u32 v2, 21, v15
	v_add_nc_u32_e32 v16, 20, v15
	s_delay_alu instid0(VALU_DEP_2) | instskip(NEXT) | instid1(VALU_DEP_2)
	v_lshlrev_b64_e64 v[2:3], v2, -1
	v_lshlrev_b64_e64 v[16:17], v16, 1
	s_delay_alu instid0(VALU_DEP_2) | instskip(NEXT) | instid1(VALU_DEP_3)
	v_bfi_b32 v19, v3, 0, 0
	v_bfi_b32 v18, v2, 0, v4
	v_lshrrev_b64 v[2:3], v15, v[4:5]
	s_delay_alu instid0(VALU_DEP_1) | instskip(NEXT) | instid1(VALU_DEP_3)
	v_mov_b64_e32 v[4:5], v[2:3]
	v_cmpx_eq_u64_e64 v[18:19], v[16:17]
; %bb.9941:                             ;   in Loop: Header=BB6_8449 Depth=2
	v_bfe_u32 v4, v2, 21, 1
	v_mov_b32_e32 v5, v1
	s_delay_alu instid0(VALU_DEP_1) | instskip(NEXT) | instid1(VALU_DEP_1)
	v_add_nc_u64_e32 v[4:5], v[2:3], v[4:5]
	v_add_nc_u64_e32 v[4:5], -1, v[4:5]
; %bb.9942:                             ;   in Loop: Header=BB6_8449 Depth=2
	s_or_b32 exec_lo, exec_lo, s42
	v_add_nc_u32_e32 v0, 0xffffff81, v14
	v_lshrrev_b32_e32 v3, 23, v2
	s_mov_b32 s7, exec_lo
	s_delay_alu instid0(VALU_DEP_2) | instskip(NEXT) | instid1(VALU_DEP_1)
	v_cndmask_b32_e64 v0, v0, 0xffffff82, vcc_lo
	v_add3_u32 v5, v15, v0, v3
	v_and_b32_e32 v0, 0x1fffff, v4
                                        ; implicit-def: $vgpr4
	s_delay_alu instid0(VALU_DEP_1) | instskip(NEXT) | instid1(VALU_DEP_1)
	v_dual_add_nc_u32 v14, 14, v5 :: v_dual_add_nc_u32 v0, v0, v2
                                        ; implicit-def: $vgpr2_vgpr3
	v_cmpx_ne_u32_e32 0, v14
	s_xor_b32 s7, exec_lo, s7
; %bb.9943:                             ;   in Loop: Header=BB6_8449 Depth=2
	s_delay_alu instid0(VALU_DEP_2) | instskip(SKIP_1) | instid1(VALU_DEP_1)
	v_cmp_lt_u64_e32 vcc_lo, 0xffffff, v[0:1]
	v_add_nc_u32_e32 v2, 15, v5
	v_cndmask_b32_e32 v4, v14, v2, vcc_lo
	v_cndmask_b32_e64 v2, 0, 1, vcc_lo
	s_delay_alu instid0(VALU_DEP_1)
	v_lshrrev_b64 v[2:3], v2, v[0:1]
; %bb.9944:                             ;   in Loop: Header=BB6_8449 Depth=2
	s_and_not1_saveexec_b32 s7, s7
; %bb.9945:                             ;   in Loop: Header=BB6_8449 Depth=2
	v_mov_b64_e32 v[2:3], v[0:1]
	v_bfe_u32 v4, v0, 23, 1
; %bb.9946:                             ;   in Loop: Header=BB6_8449 Depth=2
	s_or_b32 exec_lo, exec_lo, s7
	s_delay_alu instid0(VALU_DEP_2) | instskip(NEXT) | instid1(VALU_DEP_2)
	v_lshrrev_b64 v[2:3], 21, v[2:3]
	v_cmp_gt_i32_e32 vcc_lo, 32, v4
	v_min_i32_e32 v0, 31, v4
	v_cmp_eq_u32_e64 s7, 0, v4
	s_delay_alu instid0(VALU_DEP_2) | instskip(SKIP_1) | instid1(VALU_DEP_2)
	v_dual_cndmask_b32 v3, 0, v3 :: v_dual_lshlrev_b32 v0, 2, v0
	v_cndmask_b32_e32 v2, 3, v2, vcc_lo
	v_and_b32_e32 v0, 0xfc, v0
	s_delay_alu instid0(VALU_DEP_2) | instskip(NEXT) | instid1(VALU_DEP_2)
	v_cmp_eq_u64_e32 vcc_lo, 0, v[2:3]
	v_and_or_b32 v0, v2, 3, v0
	s_and_b32 s7, s7, vcc_lo
	s_delay_alu instid0(VALU_DEP_1) | instid1(SALU_CYCLE_1)
	v_cndmask_b32_e64 v0, v0, 0, s7
	s_delay_alu instid0(VALU_DEP_1)
	v_or_b32_e32 v48, v0, v8
.LBB6_9947:                             ;   in Loop: Header=BB6_8449 Depth=2
	s_or_b32 exec_lo, exec_lo, s41
                                        ; implicit-def: $vgpr8
.LBB6_9948:                             ;   in Loop: Header=BB6_8449 Depth=2
	s_and_not1_saveexec_b32 s7, s40
; %bb.9949:                             ;   in Loop: Header=BB6_8449 Depth=2
	v_or_b32_e32 v48, 0x7b, v8
; %bb.9950:                             ;   in Loop: Header=BB6_8449 Depth=2
	s_or_b32 exec_lo, exec_lo, s7
                                        ; implicit-def: $vgpr2
                                        ; implicit-def: $vgpr3
.LBB6_9951:                             ;   in Loop: Header=BB6_8449 Depth=2
	s_and_not1_saveexec_b32 s7, s29
	s_cbranch_execz .LBB6_9957
; %bb.9952:                             ;   in Loop: Header=BB6_8449 Depth=2
	s_mov_b32 s29, exec_lo
                                        ; implicit-def: $vgpr48
	v_cmpx_ne_u64_e32 0, v[0:1]
	s_xor_b32 s29, exec_lo, s29
; %bb.9953:                             ;   in Loop: Header=BB6_8449 Depth=2
	v_or_b32_e32 v48, 0x7f, v3
                                        ; implicit-def: $vgpr2
; %bb.9954:                             ;   in Loop: Header=BB6_8449 Depth=2
	s_and_not1_saveexec_b32 s29, s29
; %bb.9955:                             ;   in Loop: Header=BB6_8449 Depth=2
	v_cmp_lt_i32_e32 vcc_lo, -1, v2
	v_mov_b32_e32 v0, 0x7c
	s_delay_alu instid0(VALU_DEP_1)
	v_cndmask_b32_e32 v48, 0xfc, v0, vcc_lo
; %bb.9956:                             ;   in Loop: Header=BB6_8449 Depth=2
	s_or_b32 exec_lo, exec_lo, s29
.LBB6_9957:                             ;   in Loop: Header=BB6_8449 Depth=2
	s_delay_alu instid0(SALU_CYCLE_1) | instskip(SKIP_2) | instid1(VALU_DEP_1)
	s_or_b32 exec_lo, exec_lo, s7
	v_dual_mov_b32 v3, 0 :: v_dual_lshrrev_b32 v0, 16, v10
	s_mov_b32 s7, exec_lo
	v_and_b32_e32 v2, 0xff, v0
	s_delay_alu instid0(VALU_DEP_1)
	v_cmpx_ne_u16_e32 0, v2
	s_cbranch_execz .LBB6_9967
; %bb.9958:                             ;   in Loop: Header=BB6_8449 Depth=2
	v_bfrev_b32_e32 v3, 1
	s_mov_b32 s29, exec_lo
	v_cmpx_ne_u16_e32 0x80, v2
	s_cbranch_execz .LBB6_9966
; %bb.9959:                             ;   in Loop: Header=BB6_8449 Depth=2
	v_and_b32_e32 v3, 0x7c0000, v10
	v_bfe_u32 v2, v10, 16, 2
	s_delay_alu instid0(VALU_DEP_2) | instskip(SKIP_1) | instid1(SALU_CYCLE_1)
	v_cmp_ne_u32_e32 vcc_lo, 0x7c0000, v3
                                        ; implicit-def: $vgpr3
	s_and_saveexec_b32 s40, vcc_lo
	s_xor_b32 s40, exec_lo, s40
	s_cbranch_execz .LBB6_9963
; %bb.9960:                             ;   in Loop: Header=BB6_8449 Depth=2
	v_bfe_u32 v3, v10, 18, 5
	s_mov_b32 s41, exec_lo
	s_delay_alu instid0(VALU_DEP_1)
	v_cmpx_eq_u32_e32 0, v3
; %bb.9961:                             ;   in Loop: Header=BB6_8449 Depth=2
	v_clz_i32_u32_e32 v2, v2
	s_delay_alu instid0(VALU_DEP_1) | instskip(NEXT) | instid1(VALU_DEP_1)
	v_min_u32_e32 v4, 32, v2
	v_subrev_nc_u32_e32 v2, 29, v4
	s_delay_alu instid0(VALU_DEP_1) | instskip(NEXT) | instid1(VALU_DEP_1)
	v_lshlrev_b64_e32 v[2:3], v2, v[0:1]
	v_dual_sub_nc_u32 v3, 30, v4 :: v_dual_bitop2_b32 v2, 3, v2 bitop3:0x40
; %bb.9962:                             ;   in Loop: Header=BB6_8449 Depth=2
	s_or_b32 exec_lo, exec_lo, s41
	v_lshlrev_b32_e32 v0, 24, v0
	s_delay_alu instid0(VALU_DEP_1) | instskip(NEXT) | instid1(VALU_DEP_1)
	v_and_b32_e32 v0, 0x80000000, v0
	v_lshl_add_u32 v0, v3, 23, v0
	s_delay_alu instid0(VALU_DEP_1) | instskip(NEXT) | instid1(VALU_DEP_1)
	v_lshl_or_b32 v0, v2, 21, v0
                                        ; implicit-def: $vgpr2
	v_add_nc_u32_e32 v3, 0x38000000, v0
                                        ; implicit-def: $vgpr0
.LBB6_9963:                             ;   in Loop: Header=BB6_8449 Depth=2
	s_and_not1_saveexec_b32 s40, s40
; %bb.9964:                             ;   in Loop: Header=BB6_8449 Depth=2
	v_bfe_i32 v0, v0, 0, 8
	s_delay_alu instid0(VALU_DEP_1) | instskip(SKIP_1) | instid1(VALU_DEP_1)
	v_cmp_lt_i16_e32 vcc_lo, -1, v0
	v_mov_b32_e32 v0, 0x7f800000
	v_cndmask_b32_e32 v0, 0xff800000, v0, vcc_lo
	v_cmp_eq_u32_e32 vcc_lo, 0, v2
	s_delay_alu instid0(VALU_DEP_2)
	v_cndmask_b32_e32 v3, 0x7f800001, v0, vcc_lo
; %bb.9965:                             ;   in Loop: Header=BB6_8449 Depth=2
	s_or_b32 exec_lo, exec_lo, s40
.LBB6_9966:                             ;   in Loop: Header=BB6_8449 Depth=2
	s_delay_alu instid0(SALU_CYCLE_1)
	s_or_b32 exec_lo, exec_lo, s29
.LBB6_9967:                             ;   in Loop: Header=BB6_8449 Depth=2
	s_delay_alu instid0(SALU_CYCLE_1) | instskip(NEXT) | instid1(VALU_DEP_1)
	s_or_b32 exec_lo, exec_lo, s7
	v_dual_mul_f32 v2, s28, v3 :: v_dual_mov_b32 v5, v1
                                        ; implicit-def: $vgpr51
	s_mov_b32 s7, exec_lo
	s_delay_alu instid0(VALU_DEP_1) | instskip(SKIP_2) | instid1(VALU_DEP_3)
	v_and_b32_e32 v4, 0x7f800000, v2
	v_and_b32_e32 v0, 0x7fffff, v2
	v_lshrrev_b32_e32 v3, 24, v2
	v_cmpx_ne_u64_e32 0x7f800000, v[4:5]
	s_xor_b32 s29, exec_lo, s7
	s_cbranch_execz .LBB6_9981
; %bb.9968:                             ;   in Loop: Header=BB6_8449 Depth=2
	v_and_b32_e32 v4, 0x7fffffff, v2
	v_mov_b32_e32 v5, v1
	v_and_b32_e32 v8, 0x80, v3
                                        ; implicit-def: $vgpr51
	s_mov_b32 s7, exec_lo
	s_delay_alu instid0(VALU_DEP_2)
	v_cmpx_gt_u64_e32 0x47600001, v[4:5]
	s_xor_b32 s40, exec_lo, s7
	s_cbranch_execz .LBB6_9978
; %bb.9969:                             ;   in Loop: Header=BB6_8449 Depth=2
	v_mov_b32_e32 v51, 0
	s_mov_b32 s41, exec_lo
	v_cmpx_ne_u32_e32 0, v2
	s_cbranch_execz .LBB6_9977
; %bb.9970:                             ;   in Loop: Header=BB6_8449 Depth=2
	v_bfe_u32 v14, v2, 23, 8
	v_or_b32_e32 v4, 0x800000, v0
	s_mov_b32 s42, exec_lo
	s_delay_alu instid0(VALU_DEP_2) | instskip(SKIP_1) | instid1(VALU_DEP_2)
	v_dual_mov_b32 v5, v1 :: v_dual_sub_nc_u32 v2, 0x71, v14
	v_cmp_gt_u32_e32 vcc_lo, 0x72, v14
	v_cndmask_b32_e32 v2, 0, v2, vcc_lo
	v_cmp_eq_u32_e32 vcc_lo, 0, v14
	s_delay_alu instid0(VALU_DEP_2) | instskip(NEXT) | instid1(VALU_DEP_1)
	v_cndmask_b32_e64 v15, v2, 0x70, vcc_lo
	v_dual_cndmask_b32 v4, v4, v0, vcc_lo :: v_dual_add_nc_u32 v2, 21, v15
	v_add_nc_u32_e32 v16, 20, v15
	s_delay_alu instid0(VALU_DEP_2) | instskip(NEXT) | instid1(VALU_DEP_2)
	v_lshlrev_b64_e64 v[2:3], v2, -1
	v_lshlrev_b64_e64 v[16:17], v16, 1
	s_delay_alu instid0(VALU_DEP_2) | instskip(NEXT) | instid1(VALU_DEP_3)
	v_bfi_b32 v19, v3, 0, 0
	v_bfi_b32 v18, v2, 0, v4
	v_lshrrev_b64 v[2:3], v15, v[4:5]
	s_delay_alu instid0(VALU_DEP_1) | instskip(NEXT) | instid1(VALU_DEP_3)
	v_mov_b64_e32 v[4:5], v[2:3]
	v_cmpx_eq_u64_e64 v[18:19], v[16:17]
; %bb.9971:                             ;   in Loop: Header=BB6_8449 Depth=2
	v_bfe_u32 v4, v2, 21, 1
	v_mov_b32_e32 v5, v1
	s_delay_alu instid0(VALU_DEP_1) | instskip(NEXT) | instid1(VALU_DEP_1)
	v_add_nc_u64_e32 v[4:5], v[2:3], v[4:5]
	v_add_nc_u64_e32 v[4:5], -1, v[4:5]
; %bb.9972:                             ;   in Loop: Header=BB6_8449 Depth=2
	s_or_b32 exec_lo, exec_lo, s42
	v_add_nc_u32_e32 v0, 0xffffff81, v14
	v_lshrrev_b32_e32 v3, 23, v2
	s_mov_b32 s7, exec_lo
	s_delay_alu instid0(VALU_DEP_2) | instskip(NEXT) | instid1(VALU_DEP_1)
	v_cndmask_b32_e64 v0, v0, 0xffffff82, vcc_lo
	v_add3_u32 v5, v15, v0, v3
	v_and_b32_e32 v0, 0x1fffff, v4
                                        ; implicit-def: $vgpr4
	s_delay_alu instid0(VALU_DEP_1) | instskip(NEXT) | instid1(VALU_DEP_1)
	v_dual_add_nc_u32 v14, 14, v5 :: v_dual_add_nc_u32 v0, v0, v2
                                        ; implicit-def: $vgpr2_vgpr3
	v_cmpx_ne_u32_e32 0, v14
	s_xor_b32 s7, exec_lo, s7
; %bb.9973:                             ;   in Loop: Header=BB6_8449 Depth=2
	s_delay_alu instid0(VALU_DEP_2) | instskip(SKIP_1) | instid1(VALU_DEP_1)
	v_cmp_lt_u64_e32 vcc_lo, 0xffffff, v[0:1]
	v_add_nc_u32_e32 v2, 15, v5
	v_cndmask_b32_e32 v4, v14, v2, vcc_lo
	v_cndmask_b32_e64 v2, 0, 1, vcc_lo
	s_delay_alu instid0(VALU_DEP_1)
	v_lshrrev_b64 v[2:3], v2, v[0:1]
; %bb.9974:                             ;   in Loop: Header=BB6_8449 Depth=2
	s_and_not1_saveexec_b32 s7, s7
; %bb.9975:                             ;   in Loop: Header=BB6_8449 Depth=2
	v_mov_b64_e32 v[2:3], v[0:1]
	v_bfe_u32 v4, v0, 23, 1
; %bb.9976:                             ;   in Loop: Header=BB6_8449 Depth=2
	s_or_b32 exec_lo, exec_lo, s7
	s_delay_alu instid0(VALU_DEP_2) | instskip(NEXT) | instid1(VALU_DEP_2)
	v_lshrrev_b64 v[2:3], 21, v[2:3]
	v_cmp_gt_i32_e32 vcc_lo, 32, v4
	v_min_i32_e32 v0, 31, v4
	v_cmp_eq_u32_e64 s7, 0, v4
	s_delay_alu instid0(VALU_DEP_2) | instskip(SKIP_1) | instid1(VALU_DEP_2)
	v_dual_cndmask_b32 v3, 0, v3 :: v_dual_lshlrev_b32 v0, 2, v0
	v_cndmask_b32_e32 v2, 3, v2, vcc_lo
	v_and_b32_e32 v0, 0xfc, v0
	s_delay_alu instid0(VALU_DEP_2) | instskip(NEXT) | instid1(VALU_DEP_2)
	v_cmp_eq_u64_e32 vcc_lo, 0, v[2:3]
	v_and_or_b32 v0, v2, 3, v0
	s_and_b32 s7, s7, vcc_lo
	s_delay_alu instid0(VALU_DEP_1) | instid1(SALU_CYCLE_1)
	v_cndmask_b32_e64 v0, v0, 0, s7
	s_delay_alu instid0(VALU_DEP_1)
	v_or_b32_e32 v51, v0, v8
.LBB6_9977:                             ;   in Loop: Header=BB6_8449 Depth=2
	s_or_b32 exec_lo, exec_lo, s41
                                        ; implicit-def: $vgpr8
.LBB6_9978:                             ;   in Loop: Header=BB6_8449 Depth=2
	s_and_not1_saveexec_b32 s7, s40
; %bb.9979:                             ;   in Loop: Header=BB6_8449 Depth=2
	v_or_b32_e32 v51, 0x7b, v8
; %bb.9980:                             ;   in Loop: Header=BB6_8449 Depth=2
	s_or_b32 exec_lo, exec_lo, s7
                                        ; implicit-def: $vgpr2
                                        ; implicit-def: $vgpr3
.LBB6_9981:                             ;   in Loop: Header=BB6_8449 Depth=2
	s_and_not1_saveexec_b32 s7, s29
	s_cbranch_execz .LBB6_9987
; %bb.9982:                             ;   in Loop: Header=BB6_8449 Depth=2
	s_mov_b32 s29, exec_lo
                                        ; implicit-def: $vgpr51
	v_cmpx_ne_u64_e32 0, v[0:1]
	s_xor_b32 s29, exec_lo, s29
; %bb.9983:                             ;   in Loop: Header=BB6_8449 Depth=2
	v_or_b32_e32 v51, 0x7f, v3
                                        ; implicit-def: $vgpr2
; %bb.9984:                             ;   in Loop: Header=BB6_8449 Depth=2
	s_and_not1_saveexec_b32 s29, s29
; %bb.9985:                             ;   in Loop: Header=BB6_8449 Depth=2
	v_cmp_lt_i32_e32 vcc_lo, -1, v2
	v_mov_b32_e32 v0, 0x7c
	s_delay_alu instid0(VALU_DEP_1)
	v_cndmask_b32_e32 v51, 0xfc, v0, vcc_lo
; %bb.9986:                             ;   in Loop: Header=BB6_8449 Depth=2
	s_or_b32 exec_lo, exec_lo, s29
.LBB6_9987:                             ;   in Loop: Header=BB6_8449 Depth=2
	s_delay_alu instid0(SALU_CYCLE_1)
	s_or_b32 exec_lo, exec_lo, s7
	v_mov_b32_e32 v2, 0
	s_mov_b32 s7, exec_lo
	v_cmpx_lt_u32_e32 0xffffff, v10
	s_cbranch_execz .LBB6_9997
; %bb.9988:                             ;   in Loop: Header=BB6_8449 Depth=2
	v_lshrrev_b32_e32 v0, 24, v10
	v_bfrev_b32_e32 v2, 1
	s_mov_b32 s29, exec_lo
	s_delay_alu instid0(VALU_DEP_2)
	v_cmpx_ne_u32_e32 0x80, v0
	s_cbranch_execz .LBB6_9996
; %bb.9989:                             ;   in Loop: Header=BB6_8449 Depth=2
	v_and_b32_e32 v2, 0x7c000000, v10
	v_bfe_u32 v3, v10, 24, 2
	s_delay_alu instid0(VALU_DEP_2) | instskip(SKIP_1) | instid1(SALU_CYCLE_1)
	v_cmp_ne_u32_e32 vcc_lo, 0x7c000000, v2
                                        ; implicit-def: $vgpr2
	s_and_saveexec_b32 s40, vcc_lo
	s_xor_b32 s40, exec_lo, s40
	s_cbranch_execz .LBB6_9993
; %bb.9990:                             ;   in Loop: Header=BB6_8449 Depth=2
	v_bfe_u32 v2, v10, 26, 5
	s_mov_b32 s41, exec_lo
	s_delay_alu instid0(VALU_DEP_1)
	v_cmpx_eq_u32_e32 0, v2
; %bb.9991:                             ;   in Loop: Header=BB6_8449 Depth=2
	v_clz_i32_u32_e32 v2, v3
	s_delay_alu instid0(VALU_DEP_1) | instskip(NEXT) | instid1(VALU_DEP_1)
	v_min_u32_e32 v2, 32, v2
	v_subrev_nc_u32_e32 v3, 29, v2
	s_delay_alu instid0(VALU_DEP_1) | instskip(NEXT) | instid1(VALU_DEP_1)
	v_lshlrev_b64_e32 v[4:5], v3, v[0:1]
	v_dual_sub_nc_u32 v2, 30, v2 :: v_dual_bitop2_b32 v3, 3, v4 bitop3:0x40
; %bb.9992:                             ;   in Loop: Header=BB6_8449 Depth=2
	s_or_b32 exec_lo, exec_lo, s41
	v_and_b32_e32 v0, 0x80000000, v10
	s_delay_alu instid0(VALU_DEP_1) | instskip(NEXT) | instid1(VALU_DEP_1)
	v_lshl_add_u32 v0, v2, 23, v0
	v_lshl_or_b32 v0, v3, 21, v0
                                        ; implicit-def: $vgpr3
	s_delay_alu instid0(VALU_DEP_1)
	v_add_nc_u32_e32 v2, 0x38000000, v0
.LBB6_9993:                             ;   in Loop: Header=BB6_8449 Depth=2
	s_and_not1_saveexec_b32 s40, s40
; %bb.9994:                             ;   in Loop: Header=BB6_8449 Depth=2
	v_cmp_lt_i32_e32 vcc_lo, -1, v10
	v_mov_b32_e32 v0, 0x7f800000
	s_delay_alu instid0(VALU_DEP_1) | instskip(SKIP_1) | instid1(VALU_DEP_2)
	v_cndmask_b32_e32 v0, 0xff800000, v0, vcc_lo
	v_cmp_eq_u32_e32 vcc_lo, 0, v3
	v_cndmask_b32_e32 v2, 0x7f800001, v0, vcc_lo
; %bb.9995:                             ;   in Loop: Header=BB6_8449 Depth=2
	s_or_b32 exec_lo, exec_lo, s40
.LBB6_9996:                             ;   in Loop: Header=BB6_8449 Depth=2
	s_delay_alu instid0(SALU_CYCLE_1)
	s_or_b32 exec_lo, exec_lo, s29
.LBB6_9997:                             ;   in Loop: Header=BB6_8449 Depth=2
	s_delay_alu instid0(SALU_CYCLE_1) | instskip(NEXT) | instid1(VALU_DEP_1)
	s_or_b32 exec_lo, exec_lo, s7
	v_dual_mul_f32 v2, s28, v2 :: v_dual_mov_b32 v5, v1
                                        ; implicit-def: $vgpr54
	s_mov_b32 s7, exec_lo
	s_delay_alu instid0(VALU_DEP_1) | instskip(SKIP_2) | instid1(VALU_DEP_3)
	v_and_b32_e32 v4, 0x7f800000, v2
	v_and_b32_e32 v0, 0x7fffff, v2
	v_lshrrev_b32_e32 v3, 24, v2
	v_cmpx_ne_u64_e32 0x7f800000, v[4:5]
	s_xor_b32 s29, exec_lo, s7
	s_cbranch_execz .LBB6_10011
; %bb.9998:                             ;   in Loop: Header=BB6_8449 Depth=2
	v_and_b32_e32 v4, 0x7fffffff, v2
	v_mov_b32_e32 v5, v1
	v_and_b32_e32 v8, 0x80, v3
                                        ; implicit-def: $vgpr54
	s_mov_b32 s7, exec_lo
	s_delay_alu instid0(VALU_DEP_2)
	v_cmpx_gt_u64_e32 0x47600001, v[4:5]
	s_xor_b32 s40, exec_lo, s7
	s_cbranch_execz .LBB6_10008
; %bb.9999:                             ;   in Loop: Header=BB6_8449 Depth=2
	v_mov_b32_e32 v54, 0
	s_mov_b32 s41, exec_lo
	v_cmpx_ne_u32_e32 0, v2
	s_cbranch_execz .LBB6_10007
; %bb.10000:                            ;   in Loop: Header=BB6_8449 Depth=2
	v_bfe_u32 v14, v2, 23, 8
	v_or_b32_e32 v3, 0x800000, v0
	s_delay_alu instid0(VALU_DEP_2) | instskip(SKIP_2) | instid1(VALU_DEP_2)
	v_cmp_gt_u32_e64 s7, 0x72, v14
	v_sub_nc_u32_e32 v2, 0x71, v14
	v_cmp_eq_u32_e32 vcc_lo, 0, v14
	v_cndmask_b32_e64 v2, 0, v2, s7
	s_delay_alu instid0(VALU_DEP_1) | instskip(SKIP_1) | instid1(VALU_DEP_2)
	v_cndmask_b32_e64 v15, v2, 0x70, vcc_lo
	v_dual_cndmask_b32 v2, v3, v0 :: v_dual_mov_b32 v3, v1
	v_add_nc_u32_e32 v0, 21, v15
	s_delay_alu instid0(VALU_DEP_1) | instskip(SKIP_1) | instid1(VALU_DEP_1)
	v_lshlrev_b64_e64 v[4:5], v0, -1
	v_add_nc_u32_e32 v0, 20, v15
	v_lshlrev_b64_e64 v[16:17], v0, 1
	s_delay_alu instid0(VALU_DEP_3) | instskip(SKIP_2) | instid1(VALU_DEP_1)
	v_bfi_b32 v4, v4, 0, v2
	v_lshrrev_b64 v[2:3], v15, v[2:3]
	v_bfi_b32 v5, v5, 0, 0
	v_cmp_eq_u64_e64 s7, v[4:5], v[16:17]
	s_delay_alu instid0(VALU_DEP_3)
	v_mov_b64_e32 v[4:5], v[2:3]
	s_and_saveexec_b32 s42, s7
; %bb.10001:                            ;   in Loop: Header=BB6_8449 Depth=2
	v_bfe_u32 v4, v2, 21, 1
	v_mov_b32_e32 v5, v1
	s_delay_alu instid0(VALU_DEP_1) | instskip(NEXT) | instid1(VALU_DEP_1)
	v_add_nc_u64_e32 v[4:5], v[2:3], v[4:5]
	v_add_nc_u64_e32 v[4:5], -1, v[4:5]
; %bb.10002:                            ;   in Loop: Header=BB6_8449 Depth=2
	s_or_b32 exec_lo, exec_lo, s42
	v_add_nc_u32_e32 v0, 0xffffff81, v14
	v_lshrrev_b32_e32 v3, 23, v2
	s_mov_b32 s7, exec_lo
	s_delay_alu instid0(VALU_DEP_2) | instskip(NEXT) | instid1(VALU_DEP_1)
	v_cndmask_b32_e64 v0, v0, 0xffffff82, vcc_lo
	v_add3_u32 v5, v15, v0, v3
	v_and_b32_e32 v0, 0x1fffff, v4
                                        ; implicit-def: $vgpr4
	s_delay_alu instid0(VALU_DEP_1) | instskip(NEXT) | instid1(VALU_DEP_1)
	v_dual_add_nc_u32 v14, 14, v5 :: v_dual_add_nc_u32 v0, v0, v2
                                        ; implicit-def: $vgpr2_vgpr3
	v_cmpx_ne_u32_e32 0, v14
	s_xor_b32 s7, exec_lo, s7
; %bb.10003:                            ;   in Loop: Header=BB6_8449 Depth=2
	s_delay_alu instid0(VALU_DEP_2) | instskip(SKIP_1) | instid1(VALU_DEP_1)
	v_cmp_lt_u64_e32 vcc_lo, 0xffffff, v[0:1]
	v_add_nc_u32_e32 v2, 15, v5
	v_cndmask_b32_e32 v4, v14, v2, vcc_lo
	v_cndmask_b32_e64 v2, 0, 1, vcc_lo
	s_delay_alu instid0(VALU_DEP_1)
	v_lshrrev_b64 v[2:3], v2, v[0:1]
; %bb.10004:                            ;   in Loop: Header=BB6_8449 Depth=2
	s_and_not1_saveexec_b32 s7, s7
; %bb.10005:                            ;   in Loop: Header=BB6_8449 Depth=2
	v_mov_b64_e32 v[2:3], v[0:1]
	v_bfe_u32 v4, v0, 23, 1
; %bb.10006:                            ;   in Loop: Header=BB6_8449 Depth=2
	s_or_b32 exec_lo, exec_lo, s7
	s_delay_alu instid0(VALU_DEP_2) | instskip(NEXT) | instid1(VALU_DEP_2)
	v_lshrrev_b64 v[2:3], 21, v[2:3]
	v_cmp_gt_i32_e32 vcc_lo, 32, v4
	v_min_i32_e32 v0, 31, v4
	v_cmp_eq_u32_e64 s7, 0, v4
	s_delay_alu instid0(VALU_DEP_2) | instskip(SKIP_1) | instid1(VALU_DEP_2)
	v_dual_cndmask_b32 v3, 0, v3 :: v_dual_lshlrev_b32 v0, 2, v0
	v_cndmask_b32_e32 v2, 3, v2, vcc_lo
	v_and_b32_e32 v0, 0xfc, v0
	s_delay_alu instid0(VALU_DEP_2) | instskip(NEXT) | instid1(VALU_DEP_2)
	v_cmp_eq_u64_e32 vcc_lo, 0, v[2:3]
	v_and_or_b32 v0, v2, 3, v0
	s_and_b32 s7, s7, vcc_lo
	s_delay_alu instid0(VALU_DEP_1) | instid1(SALU_CYCLE_1)
	v_cndmask_b32_e64 v0, v0, 0, s7
	s_delay_alu instid0(VALU_DEP_1)
	v_or_b32_e32 v54, v0, v8
.LBB6_10007:                            ;   in Loop: Header=BB6_8449 Depth=2
	s_or_b32 exec_lo, exec_lo, s41
                                        ; implicit-def: $vgpr8
.LBB6_10008:                            ;   in Loop: Header=BB6_8449 Depth=2
	s_and_not1_saveexec_b32 s7, s40
; %bb.10009:                            ;   in Loop: Header=BB6_8449 Depth=2
	v_or_b32_e32 v54, 0x7b, v8
; %bb.10010:                            ;   in Loop: Header=BB6_8449 Depth=2
	s_or_b32 exec_lo, exec_lo, s7
                                        ; implicit-def: $vgpr2
                                        ; implicit-def: $vgpr3
.LBB6_10011:                            ;   in Loop: Header=BB6_8449 Depth=2
	s_and_not1_saveexec_b32 s7, s29
	s_cbranch_execz .LBB6_10017
; %bb.10012:                            ;   in Loop: Header=BB6_8449 Depth=2
	s_mov_b32 s29, exec_lo
                                        ; implicit-def: $vgpr54
	v_cmpx_ne_u64_e32 0, v[0:1]
	s_xor_b32 s29, exec_lo, s29
; %bb.10013:                            ;   in Loop: Header=BB6_8449 Depth=2
	v_or_b32_e32 v54, 0x7f, v3
                                        ; implicit-def: $vgpr2
; %bb.10014:                            ;   in Loop: Header=BB6_8449 Depth=2
	s_and_not1_saveexec_b32 s29, s29
; %bb.10015:                            ;   in Loop: Header=BB6_8449 Depth=2
	v_cmp_lt_i32_e32 vcc_lo, -1, v2
	v_mov_b32_e32 v0, 0x7c
	s_delay_alu instid0(VALU_DEP_1)
	v_cndmask_b32_e32 v54, 0xfc, v0, vcc_lo
; %bb.10016:                            ;   in Loop: Header=BB6_8449 Depth=2
	s_or_b32 exec_lo, exec_lo, s29
.LBB6_10017:                            ;   in Loop: Header=BB6_8449 Depth=2
	s_delay_alu instid0(SALU_CYCLE_1) | instskip(SKIP_3) | instid1(VALU_DEP_2)
	s_or_b32 exec_lo, exec_lo, s7
	v_and_b32_e32 v2, 0xff, v11
	v_dual_mov_b32 v0, v11 :: v_dual_mov_b32 v3, 0
	s_mov_b32 s7, exec_lo
	v_cmpx_ne_u16_e32 0, v2
	s_cbranch_execz .LBB6_10027
; %bb.10018:                            ;   in Loop: Header=BB6_8449 Depth=2
	v_bfrev_b32_e32 v3, 1
	s_mov_b32 s29, exec_lo
	v_cmpx_ne_u16_e32 0x80, v2
	s_cbranch_execz .LBB6_10026
; %bb.10019:                            ;   in Loop: Header=BB6_8449 Depth=2
	v_and_b32_e32 v3, 0x7c, v11
	v_and_b32_e32 v2, 3, v11
	s_delay_alu instid0(VALU_DEP_2) | instskip(SKIP_1) | instid1(SALU_CYCLE_1)
	v_cmp_ne_u32_e32 vcc_lo, 0x7c, v3
                                        ; implicit-def: $vgpr3
	s_and_saveexec_b32 s40, vcc_lo
	s_xor_b32 s40, exec_lo, s40
	s_cbranch_execz .LBB6_10023
; %bb.10020:                            ;   in Loop: Header=BB6_8449 Depth=2
	v_bfe_u32 v3, v11, 2, 5
	s_mov_b32 s41, exec_lo
	s_delay_alu instid0(VALU_DEP_1)
	v_cmpx_eq_u32_e32 0, v3
; %bb.10021:                            ;   in Loop: Header=BB6_8449 Depth=2
	v_clz_i32_u32_e32 v2, v2
	s_delay_alu instid0(VALU_DEP_1) | instskip(NEXT) | instid1(VALU_DEP_1)
	v_min_u32_e32 v4, 32, v2
	v_subrev_nc_u32_e32 v2, 29, v4
	s_delay_alu instid0(VALU_DEP_1) | instskip(NEXT) | instid1(VALU_DEP_1)
	v_lshlrev_b64_e32 v[2:3], v2, v[0:1]
	v_dual_sub_nc_u32 v3, 30, v4 :: v_dual_bitop2_b32 v2, 3, v2 bitop3:0x40
; %bb.10022:                            ;   in Loop: Header=BB6_8449 Depth=2
	s_or_b32 exec_lo, exec_lo, s41
	v_lshlrev_b32_e32 v4, 24, v11
	s_delay_alu instid0(VALU_DEP_1) | instskip(NEXT) | instid1(VALU_DEP_1)
	v_and_b32_e32 v4, 0x80000000, v4
	v_lshl_add_u32 v3, v3, 23, v4
	s_delay_alu instid0(VALU_DEP_1) | instskip(NEXT) | instid1(VALU_DEP_1)
	v_lshl_or_b32 v2, v2, 21, v3
	v_add_nc_u32_e32 v3, 0x38000000, v2
                                        ; implicit-def: $vgpr2
.LBB6_10023:                            ;   in Loop: Header=BB6_8449 Depth=2
	s_and_not1_saveexec_b32 s40, s40
; %bb.10024:                            ;   in Loop: Header=BB6_8449 Depth=2
	v_bfe_i32 v3, v11, 0, 8
	s_delay_alu instid0(VALU_DEP_1) | instskip(SKIP_1) | instid1(VALU_DEP_1)
	v_cmp_lt_i16_e32 vcc_lo, -1, v3
	v_mov_b32_e32 v3, 0x7f800000
	v_cndmask_b32_e32 v3, 0xff800000, v3, vcc_lo
	v_cmp_eq_u32_e32 vcc_lo, 0, v2
	s_delay_alu instid0(VALU_DEP_2)
	v_cndmask_b32_e32 v3, 0x7f800001, v3, vcc_lo
; %bb.10025:                            ;   in Loop: Header=BB6_8449 Depth=2
	s_or_b32 exec_lo, exec_lo, s40
.LBB6_10026:                            ;   in Loop: Header=BB6_8449 Depth=2
	s_delay_alu instid0(SALU_CYCLE_1)
	s_or_b32 exec_lo, exec_lo, s29
.LBB6_10027:                            ;   in Loop: Header=BB6_8449 Depth=2
	s_delay_alu instid0(SALU_CYCLE_1) | instskip(NEXT) | instid1(VALU_DEP_1)
	s_or_b32 exec_lo, exec_lo, s7
	v_dual_mul_f32 v4, s28, v3 :: v_dual_mov_b32 v15, v1
	v_mov_b32_e32 v3, v1
                                        ; implicit-def: $vgpr30
	s_mov_b32 s7, exec_lo
	s_delay_alu instid0(VALU_DEP_2) | instskip(SKIP_2) | instid1(VALU_DEP_3)
	v_and_b32_e32 v14, 0x7f800000, v4
	v_and_b32_e32 v2, 0x7fffff, v4
	v_lshrrev_b32_e32 v5, 24, v4
	v_cmpx_ne_u64_e32 0x7f800000, v[14:15]
	s_xor_b32 s29, exec_lo, s7
	s_cbranch_execz .LBB6_10041
; %bb.10028:                            ;   in Loop: Header=BB6_8449 Depth=2
	v_and_b32_e32 v14, 0x7fffffff, v4
	v_mov_b32_e32 v15, v1
	v_and_b32_e32 v8, 0x80, v5
                                        ; implicit-def: $vgpr30
	s_mov_b32 s7, exec_lo
	s_delay_alu instid0(VALU_DEP_2)
	v_cmpx_gt_u64_e32 0x47600001, v[14:15]
	s_xor_b32 s40, exec_lo, s7
	s_cbranch_execz .LBB6_10038
; %bb.10029:                            ;   in Loop: Header=BB6_8449 Depth=2
	v_mov_b32_e32 v30, 0
	s_mov_b32 s41, exec_lo
	v_cmpx_ne_u32_e32 0, v4
	s_cbranch_execz .LBB6_10037
; %bb.10030:                            ;   in Loop: Header=BB6_8449 Depth=2
	v_bfe_u32 v14, v4, 23, 8
	v_or_b32_e32 v5, 0x800000, v2
	s_delay_alu instid0(VALU_DEP_2) | instskip(SKIP_2) | instid1(VALU_DEP_2)
	v_cmp_gt_u32_e64 s7, 0x72, v14
	v_sub_nc_u32_e32 v4, 0x71, v14
	v_cmp_eq_u32_e32 vcc_lo, 0, v14
	v_dual_cndmask_b32 v4, 0, v4, s7 :: v_dual_cndmask_b32 v2, v5, v2, vcc_lo
	s_delay_alu instid0(VALU_DEP_1) | instskip(NEXT) | instid1(VALU_DEP_1)
	v_cndmask_b32_e64 v15, v4, 0x70, vcc_lo
	v_dual_add_nc_u32 v4, 21, v15 :: v_dual_add_nc_u32 v16, 20, v15
	s_delay_alu instid0(VALU_DEP_1) | instskip(NEXT) | instid1(VALU_DEP_2)
	v_lshlrev_b64_e64 v[4:5], v4, -1
	v_lshlrev_b64_e64 v[16:17], v16, 1
	s_delay_alu instid0(VALU_DEP_2) | instskip(SKIP_1) | instid1(VALU_DEP_4)
	v_bfi_b32 v4, v4, 0, v2
	v_lshrrev_b64 v[2:3], v15, v[2:3]
	v_bfi_b32 v5, v5, 0, 0
	s_delay_alu instid0(VALU_DEP_1) | instskip(NEXT) | instid1(VALU_DEP_3)
	v_cmp_eq_u64_e64 s7, v[4:5], v[16:17]
	v_mov_b64_e32 v[4:5], v[2:3]
	s_and_saveexec_b32 s42, s7
; %bb.10031:                            ;   in Loop: Header=BB6_8449 Depth=2
	v_bfe_u32 v4, v2, 21, 1
	v_mov_b32_e32 v5, v1
	s_delay_alu instid0(VALU_DEP_1) | instskip(NEXT) | instid1(VALU_DEP_1)
	v_add_nc_u64_e32 v[4:5], v[2:3], v[4:5]
	v_add_nc_u64_e32 v[4:5], -1, v[4:5]
; %bb.10032:                            ;   in Loop: Header=BB6_8449 Depth=2
	s_or_b32 exec_lo, exec_lo, s42
	v_add_nc_u32_e32 v3, 0xffffff81, v14
	v_lshrrev_b32_e32 v5, 23, v2
	s_mov_b32 s7, exec_lo
	s_delay_alu instid0(VALU_DEP_2) | instskip(NEXT) | instid1(VALU_DEP_1)
	v_cndmask_b32_e64 v3, v3, 0xffffff82, vcc_lo
	v_add3_u32 v5, v15, v3, v5
	v_and_b32_e32 v3, 0x1fffff, v4
                                        ; implicit-def: $vgpr4
	s_delay_alu instid0(VALU_DEP_1) | instskip(SKIP_1) | instid1(VALU_DEP_2)
	v_dual_add_nc_u32 v14, 14, v5 :: v_dual_add_nc_u32 v2, v3, v2
	v_mov_b32_e32 v3, v1
	v_cmpx_ne_u32_e32 0, v14
	s_xor_b32 s7, exec_lo, s7
; %bb.10033:                            ;   in Loop: Header=BB6_8449 Depth=2
	s_delay_alu instid0(VALU_DEP_2) | instskip(SKIP_2) | instid1(VALU_DEP_2)
	v_cmp_lt_u64_e32 vcc_lo, 0xffffff, v[2:3]
	v_add_nc_u32_e32 v4, 15, v5
	v_cndmask_b32_e64 v5, 0, 1, vcc_lo
	v_cndmask_b32_e32 v4, v14, v4, vcc_lo
	s_delay_alu instid0(VALU_DEP_2)
	v_lshrrev_b64 v[2:3], v5, v[2:3]
; %bb.10034:                            ;   in Loop: Header=BB6_8449 Depth=2
	s_and_not1_saveexec_b32 s7, s7
; %bb.10035:                            ;   in Loop: Header=BB6_8449 Depth=2
	s_delay_alu instid0(VALU_DEP_1)
	v_bfe_u32 v4, v2, 23, 1
; %bb.10036:                            ;   in Loop: Header=BB6_8449 Depth=2
	s_or_b32 exec_lo, exec_lo, s7
	s_delay_alu instid0(VALU_DEP_2) | instskip(NEXT) | instid1(VALU_DEP_2)
	v_lshrrev_b64 v[2:3], 21, v[2:3]
	v_cmp_gt_i32_e32 vcc_lo, 32, v4
	v_min_i32_e32 v5, 31, v4
	v_cmp_eq_u32_e64 s7, 0, v4
	s_delay_alu instid0(VALU_DEP_2) | instskip(SKIP_1) | instid1(VALU_DEP_2)
	v_dual_cndmask_b32 v3, 0, v3, vcc_lo :: v_dual_lshlrev_b32 v5, 2, v5
	v_cndmask_b32_e32 v2, 3, v2, vcc_lo
	v_and_b32_e32 v5, 0xfc, v5
	s_delay_alu instid0(VALU_DEP_2) | instskip(NEXT) | instid1(VALU_DEP_2)
	v_cmp_eq_u64_e32 vcc_lo, 0, v[2:3]
	v_and_or_b32 v2, v2, 3, v5
	s_and_b32 s7, s7, vcc_lo
	s_delay_alu instid0(VALU_DEP_1) | instid1(SALU_CYCLE_1)
	v_cndmask_b32_e64 v2, v2, 0, s7
	s_delay_alu instid0(VALU_DEP_1)
	v_or_b32_e32 v30, v2, v8
.LBB6_10037:                            ;   in Loop: Header=BB6_8449 Depth=2
	s_or_b32 exec_lo, exec_lo, s41
                                        ; implicit-def: $vgpr8
.LBB6_10038:                            ;   in Loop: Header=BB6_8449 Depth=2
	s_and_not1_saveexec_b32 s7, s40
; %bb.10039:                            ;   in Loop: Header=BB6_8449 Depth=2
	v_or_b32_e32 v30, 0x7b, v8
; %bb.10040:                            ;   in Loop: Header=BB6_8449 Depth=2
	s_or_b32 exec_lo, exec_lo, s7
                                        ; implicit-def: $vgpr4
                                        ; implicit-def: $vgpr2_vgpr3
                                        ; implicit-def: $vgpr5
.LBB6_10041:                            ;   in Loop: Header=BB6_8449 Depth=2
	s_and_not1_saveexec_b32 s7, s29
	s_cbranch_execz .LBB6_10047
; %bb.10042:                            ;   in Loop: Header=BB6_8449 Depth=2
	s_mov_b32 s29, exec_lo
                                        ; implicit-def: $vgpr30
	v_cmpx_ne_u64_e32 0, v[2:3]
	s_xor_b32 s29, exec_lo, s29
; %bb.10043:                            ;   in Loop: Header=BB6_8449 Depth=2
	v_or_b32_e32 v30, 0x7f, v5
                                        ; implicit-def: $vgpr4
; %bb.10044:                            ;   in Loop: Header=BB6_8449 Depth=2
	s_and_not1_saveexec_b32 s29, s29
; %bb.10045:                            ;   in Loop: Header=BB6_8449 Depth=2
	v_cmp_lt_i32_e32 vcc_lo, -1, v4
	v_mov_b32_e32 v2, 0x7c
	s_delay_alu instid0(VALU_DEP_1)
	v_cndmask_b32_e32 v30, 0xfc, v2, vcc_lo
; %bb.10046:                            ;   in Loop: Header=BB6_8449 Depth=2
	s_or_b32 exec_lo, exec_lo, s29
.LBB6_10047:                            ;   in Loop: Header=BB6_8449 Depth=2
	s_delay_alu instid0(SALU_CYCLE_1) | instskip(SKIP_3) | instid1(VALU_DEP_2)
	s_or_b32 exec_lo, exec_lo, s7
	v_lshrrev_b16 v2, 8, v0
	v_mov_b32_e32 v4, 0
	s_mov_b32 s7, exec_lo
	v_cmpx_ne_u16_e32 0, v2
	s_cbranch_execz .LBB6_10057
; %bb.10048:                            ;   in Loop: Header=BB6_8449 Depth=2
	v_bfrev_b32_e32 v4, 1
	s_mov_b32 s29, exec_lo
	v_cmpx_ne_u16_e32 0x80, v2
	s_cbranch_execz .LBB6_10056
; %bb.10049:                            ;   in Loop: Header=BB6_8449 Depth=2
	v_and_b32_e32 v5, 0xffff, v2
	s_delay_alu instid0(VALU_DEP_1) | instskip(SKIP_1) | instid1(VALU_DEP_2)
	v_and_b32_e32 v4, 0x7c, v5
	v_and_b32_e32 v3, 3, v5
	v_cmp_ne_u32_e32 vcc_lo, 0x7c, v4
                                        ; implicit-def: $vgpr4
	s_and_saveexec_b32 s40, vcc_lo
	s_delay_alu instid0(SALU_CYCLE_1)
	s_xor_b32 s40, exec_lo, s40
	s_cbranch_execz .LBB6_10053
; %bb.10050:                            ;   in Loop: Header=BB6_8449 Depth=2
	v_bfe_u32 v4, v5, 2, 5
	s_mov_b32 s41, exec_lo
	s_delay_alu instid0(VALU_DEP_1)
	v_cmpx_eq_u32_e32 0, v4
	s_cbranch_execz .LBB6_10052
; %bb.10051:                            ;   in Loop: Header=BB6_8449 Depth=2
	v_clz_i32_u32_e32 v3, v3
	s_delay_alu instid0(VALU_DEP_1) | instskip(SKIP_1) | instid1(VALU_DEP_2)
	v_min_u32_e32 v4, 32, v3
	v_mov_b32_e32 v3, v1
	v_subrev_nc_u32_e32 v5, 29, v4
	v_sub_nc_u32_e32 v4, 30, v4
	s_delay_alu instid0(VALU_DEP_2) | instskip(NEXT) | instid1(VALU_DEP_1)
	v_lshlrev_b64_e32 v[2:3], v5, v[2:3]
	v_and_b32_e32 v3, 3, v2
.LBB6_10052:                            ;   in Loop: Header=BB6_8449 Depth=2
	s_or_b32 exec_lo, exec_lo, s41
	v_lshlrev_b32_e32 v0, 16, v0
	s_delay_alu instid0(VALU_DEP_1) | instskip(NEXT) | instid1(VALU_DEP_1)
	v_and_b32_e32 v0, 0x80000000, v0
	v_lshl_add_u32 v0, v4, 23, v0
	s_delay_alu instid0(VALU_DEP_1) | instskip(NEXT) | instid1(VALU_DEP_1)
	v_lshl_or_b32 v0, v3, 21, v0
                                        ; implicit-def: $vgpr3
	v_add_nc_u32_e32 v4, 0x38000000, v0
.LBB6_10053:                            ;   in Loop: Header=BB6_8449 Depth=2
	s_and_not1_saveexec_b32 s40, s40
; %bb.10054:                            ;   in Loop: Header=BB6_8449 Depth=2
	v_cmp_lt_i16_e32 vcc_lo, -1, v0
	v_mov_b32_e32 v0, 0x7f800000
	s_delay_alu instid0(VALU_DEP_1) | instskip(SKIP_1) | instid1(VALU_DEP_2)
	v_cndmask_b32_e32 v0, 0xff800000, v0, vcc_lo
	v_cmp_eq_u32_e32 vcc_lo, 0, v3
	v_cndmask_b32_e32 v4, 0x7f800001, v0, vcc_lo
; %bb.10055:                            ;   in Loop: Header=BB6_8449 Depth=2
	s_or_b32 exec_lo, exec_lo, s40
.LBB6_10056:                            ;   in Loop: Header=BB6_8449 Depth=2
	s_delay_alu instid0(SALU_CYCLE_1)
	s_or_b32 exec_lo, exec_lo, s29
.LBB6_10057:                            ;   in Loop: Header=BB6_8449 Depth=2
	s_delay_alu instid0(SALU_CYCLE_1) | instskip(NEXT) | instid1(VALU_DEP_1)
	s_or_b32 exec_lo, exec_lo, s7
	v_dual_mul_f32 v2, s28, v4 :: v_dual_mov_b32 v5, v1
                                        ; implicit-def: $vgpr35
	s_mov_b32 s7, exec_lo
	s_delay_alu instid0(VALU_DEP_1) | instskip(SKIP_2) | instid1(VALU_DEP_3)
	v_and_b32_e32 v4, 0x7f800000, v2
	v_and_b32_e32 v0, 0x7fffff, v2
	v_lshrrev_b32_e32 v3, 24, v2
	v_cmpx_ne_u64_e32 0x7f800000, v[4:5]
	s_xor_b32 s29, exec_lo, s7
	s_cbranch_execz .LBB6_10071
; %bb.10058:                            ;   in Loop: Header=BB6_8449 Depth=2
	v_and_b32_e32 v4, 0x7fffffff, v2
	v_mov_b32_e32 v5, v1
	v_and_b32_e32 v8, 0x80, v3
                                        ; implicit-def: $vgpr35
	s_mov_b32 s7, exec_lo
	s_delay_alu instid0(VALU_DEP_2)
	v_cmpx_gt_u64_e32 0x47600001, v[4:5]
	s_xor_b32 s40, exec_lo, s7
	s_cbranch_execz .LBB6_10068
; %bb.10059:                            ;   in Loop: Header=BB6_8449 Depth=2
	v_mov_b32_e32 v35, 0
	s_mov_b32 s41, exec_lo
	v_cmpx_ne_u32_e32 0, v2
	s_cbranch_execz .LBB6_10067
; %bb.10060:                            ;   in Loop: Header=BB6_8449 Depth=2
	v_bfe_u32 v14, v2, 23, 8
	v_or_b32_e32 v3, 0x800000, v0
	s_delay_alu instid0(VALU_DEP_2) | instskip(SKIP_2) | instid1(VALU_DEP_2)
	v_cmp_gt_u32_e64 s7, 0x72, v14
	v_sub_nc_u32_e32 v2, 0x71, v14
	v_cmp_eq_u32_e32 vcc_lo, 0, v14
	v_cndmask_b32_e64 v2, 0, v2, s7
	s_delay_alu instid0(VALU_DEP_1) | instskip(SKIP_1) | instid1(VALU_DEP_2)
	v_cndmask_b32_e64 v15, v2, 0x70, vcc_lo
	v_dual_cndmask_b32 v2, v3, v0 :: v_dual_mov_b32 v3, v1
	v_add_nc_u32_e32 v0, 21, v15
	s_delay_alu instid0(VALU_DEP_1) | instskip(SKIP_1) | instid1(VALU_DEP_1)
	v_lshlrev_b64_e64 v[4:5], v0, -1
	v_add_nc_u32_e32 v0, 20, v15
	v_lshlrev_b64_e64 v[16:17], v0, 1
	s_delay_alu instid0(VALU_DEP_3) | instskip(SKIP_2) | instid1(VALU_DEP_1)
	v_bfi_b32 v4, v4, 0, v2
	v_lshrrev_b64 v[2:3], v15, v[2:3]
	v_bfi_b32 v5, v5, 0, 0
	v_cmp_eq_u64_e64 s7, v[4:5], v[16:17]
	s_delay_alu instid0(VALU_DEP_3)
	v_mov_b64_e32 v[4:5], v[2:3]
	s_and_saveexec_b32 s42, s7
; %bb.10061:                            ;   in Loop: Header=BB6_8449 Depth=2
	v_bfe_u32 v4, v2, 21, 1
	v_mov_b32_e32 v5, v1
	s_delay_alu instid0(VALU_DEP_1) | instskip(NEXT) | instid1(VALU_DEP_1)
	v_add_nc_u64_e32 v[4:5], v[2:3], v[4:5]
	v_add_nc_u64_e32 v[4:5], -1, v[4:5]
; %bb.10062:                            ;   in Loop: Header=BB6_8449 Depth=2
	s_or_b32 exec_lo, exec_lo, s42
	v_add_nc_u32_e32 v0, 0xffffff81, v14
	v_lshrrev_b32_e32 v3, 23, v2
	s_mov_b32 s7, exec_lo
	s_delay_alu instid0(VALU_DEP_2) | instskip(NEXT) | instid1(VALU_DEP_1)
	v_cndmask_b32_e64 v0, v0, 0xffffff82, vcc_lo
	v_add3_u32 v5, v15, v0, v3
	v_and_b32_e32 v0, 0x1fffff, v4
                                        ; implicit-def: $vgpr4
	s_delay_alu instid0(VALU_DEP_1) | instskip(NEXT) | instid1(VALU_DEP_1)
	v_dual_add_nc_u32 v14, 14, v5 :: v_dual_add_nc_u32 v0, v0, v2
                                        ; implicit-def: $vgpr2_vgpr3
	v_cmpx_ne_u32_e32 0, v14
	s_xor_b32 s7, exec_lo, s7
; %bb.10063:                            ;   in Loop: Header=BB6_8449 Depth=2
	s_delay_alu instid0(VALU_DEP_2) | instskip(SKIP_1) | instid1(VALU_DEP_1)
	v_cmp_lt_u64_e32 vcc_lo, 0xffffff, v[0:1]
	v_add_nc_u32_e32 v2, 15, v5
	v_cndmask_b32_e32 v4, v14, v2, vcc_lo
	v_cndmask_b32_e64 v2, 0, 1, vcc_lo
	s_delay_alu instid0(VALU_DEP_1)
	v_lshrrev_b64 v[2:3], v2, v[0:1]
; %bb.10064:                            ;   in Loop: Header=BB6_8449 Depth=2
	s_and_not1_saveexec_b32 s7, s7
; %bb.10065:                            ;   in Loop: Header=BB6_8449 Depth=2
	v_mov_b64_e32 v[2:3], v[0:1]
	v_bfe_u32 v4, v0, 23, 1
; %bb.10066:                            ;   in Loop: Header=BB6_8449 Depth=2
	s_or_b32 exec_lo, exec_lo, s7
	s_delay_alu instid0(VALU_DEP_2) | instskip(NEXT) | instid1(VALU_DEP_2)
	v_lshrrev_b64 v[2:3], 21, v[2:3]
	v_cmp_gt_i32_e32 vcc_lo, 32, v4
	v_min_i32_e32 v0, 31, v4
	v_cmp_eq_u32_e64 s7, 0, v4
	s_delay_alu instid0(VALU_DEP_2) | instskip(SKIP_1) | instid1(VALU_DEP_2)
	v_dual_cndmask_b32 v3, 0, v3 :: v_dual_lshlrev_b32 v0, 2, v0
	v_cndmask_b32_e32 v2, 3, v2, vcc_lo
	v_and_b32_e32 v0, 0xfc, v0
	s_delay_alu instid0(VALU_DEP_2) | instskip(NEXT) | instid1(VALU_DEP_2)
	v_cmp_eq_u64_e32 vcc_lo, 0, v[2:3]
	v_and_or_b32 v0, v2, 3, v0
	s_and_b32 s7, s7, vcc_lo
	s_delay_alu instid0(VALU_DEP_1) | instid1(SALU_CYCLE_1)
	v_cndmask_b32_e64 v0, v0, 0, s7
	s_delay_alu instid0(VALU_DEP_1)
	v_or_b32_e32 v35, v0, v8
.LBB6_10067:                            ;   in Loop: Header=BB6_8449 Depth=2
	s_or_b32 exec_lo, exec_lo, s41
                                        ; implicit-def: $vgpr8
.LBB6_10068:                            ;   in Loop: Header=BB6_8449 Depth=2
	s_and_not1_saveexec_b32 s7, s40
; %bb.10069:                            ;   in Loop: Header=BB6_8449 Depth=2
	v_or_b32_e32 v35, 0x7b, v8
; %bb.10070:                            ;   in Loop: Header=BB6_8449 Depth=2
	s_or_b32 exec_lo, exec_lo, s7
                                        ; implicit-def: $vgpr2
                                        ; implicit-def: $vgpr3
.LBB6_10071:                            ;   in Loop: Header=BB6_8449 Depth=2
	s_and_not1_saveexec_b32 s7, s29
	s_cbranch_execz .LBB6_10077
; %bb.10072:                            ;   in Loop: Header=BB6_8449 Depth=2
	s_mov_b32 s29, exec_lo
                                        ; implicit-def: $vgpr35
	v_cmpx_ne_u64_e32 0, v[0:1]
	s_xor_b32 s29, exec_lo, s29
; %bb.10073:                            ;   in Loop: Header=BB6_8449 Depth=2
	v_or_b32_e32 v35, 0x7f, v3
                                        ; implicit-def: $vgpr2
; %bb.10074:                            ;   in Loop: Header=BB6_8449 Depth=2
	s_and_not1_saveexec_b32 s29, s29
; %bb.10075:                            ;   in Loop: Header=BB6_8449 Depth=2
	v_cmp_lt_i32_e32 vcc_lo, -1, v2
	v_mov_b32_e32 v0, 0x7c
	s_delay_alu instid0(VALU_DEP_1)
	v_cndmask_b32_e32 v35, 0xfc, v0, vcc_lo
; %bb.10076:                            ;   in Loop: Header=BB6_8449 Depth=2
	s_or_b32 exec_lo, exec_lo, s29
.LBB6_10077:                            ;   in Loop: Header=BB6_8449 Depth=2
	s_delay_alu instid0(SALU_CYCLE_1) | instskip(SKIP_2) | instid1(VALU_DEP_1)
	s_or_b32 exec_lo, exec_lo, s7
	v_dual_mov_b32 v3, 0 :: v_dual_lshrrev_b32 v0, 16, v11
	s_mov_b32 s7, exec_lo
	v_and_b32_e32 v2, 0xff, v0
	s_delay_alu instid0(VALU_DEP_1)
	v_cmpx_ne_u16_e32 0, v2
	s_cbranch_execz .LBB6_10087
; %bb.10078:                            ;   in Loop: Header=BB6_8449 Depth=2
	v_bfrev_b32_e32 v3, 1
	s_mov_b32 s29, exec_lo
	v_cmpx_ne_u16_e32 0x80, v2
	s_cbranch_execz .LBB6_10086
; %bb.10079:                            ;   in Loop: Header=BB6_8449 Depth=2
	v_and_b32_e32 v3, 0x7c0000, v11
	v_bfe_u32 v2, v11, 16, 2
	s_delay_alu instid0(VALU_DEP_2) | instskip(SKIP_1) | instid1(SALU_CYCLE_1)
	v_cmp_ne_u32_e32 vcc_lo, 0x7c0000, v3
                                        ; implicit-def: $vgpr3
	s_and_saveexec_b32 s40, vcc_lo
	s_xor_b32 s40, exec_lo, s40
	s_cbranch_execz .LBB6_10083
; %bb.10080:                            ;   in Loop: Header=BB6_8449 Depth=2
	v_bfe_u32 v3, v11, 18, 5
	s_mov_b32 s41, exec_lo
	s_delay_alu instid0(VALU_DEP_1)
	v_cmpx_eq_u32_e32 0, v3
; %bb.10081:                            ;   in Loop: Header=BB6_8449 Depth=2
	v_clz_i32_u32_e32 v2, v2
	s_delay_alu instid0(VALU_DEP_1) | instskip(NEXT) | instid1(VALU_DEP_1)
	v_min_u32_e32 v4, 32, v2
	v_subrev_nc_u32_e32 v2, 29, v4
	s_delay_alu instid0(VALU_DEP_1) | instskip(NEXT) | instid1(VALU_DEP_1)
	v_lshlrev_b64_e32 v[2:3], v2, v[0:1]
	v_dual_sub_nc_u32 v3, 30, v4 :: v_dual_bitop2_b32 v2, 3, v2 bitop3:0x40
; %bb.10082:                            ;   in Loop: Header=BB6_8449 Depth=2
	s_or_b32 exec_lo, exec_lo, s41
	v_lshlrev_b32_e32 v0, 24, v0
	s_delay_alu instid0(VALU_DEP_1) | instskip(NEXT) | instid1(VALU_DEP_1)
	v_and_b32_e32 v0, 0x80000000, v0
	v_lshl_add_u32 v0, v3, 23, v0
	s_delay_alu instid0(VALU_DEP_1) | instskip(NEXT) | instid1(VALU_DEP_1)
	v_lshl_or_b32 v0, v2, 21, v0
                                        ; implicit-def: $vgpr2
	v_add_nc_u32_e32 v3, 0x38000000, v0
                                        ; implicit-def: $vgpr0
.LBB6_10083:                            ;   in Loop: Header=BB6_8449 Depth=2
	s_and_not1_saveexec_b32 s40, s40
; %bb.10084:                            ;   in Loop: Header=BB6_8449 Depth=2
	v_bfe_i32 v0, v0, 0, 8
	s_delay_alu instid0(VALU_DEP_1) | instskip(SKIP_1) | instid1(VALU_DEP_1)
	v_cmp_lt_i16_e32 vcc_lo, -1, v0
	v_mov_b32_e32 v0, 0x7f800000
	v_cndmask_b32_e32 v0, 0xff800000, v0, vcc_lo
	v_cmp_eq_u32_e32 vcc_lo, 0, v2
	s_delay_alu instid0(VALU_DEP_2)
	v_cndmask_b32_e32 v3, 0x7f800001, v0, vcc_lo
; %bb.10085:                            ;   in Loop: Header=BB6_8449 Depth=2
	s_or_b32 exec_lo, exec_lo, s40
.LBB6_10086:                            ;   in Loop: Header=BB6_8449 Depth=2
	s_delay_alu instid0(SALU_CYCLE_1)
	s_or_b32 exec_lo, exec_lo, s29
.LBB6_10087:                            ;   in Loop: Header=BB6_8449 Depth=2
	s_delay_alu instid0(SALU_CYCLE_1) | instskip(NEXT) | instid1(VALU_DEP_1)
	s_or_b32 exec_lo, exec_lo, s7
	v_dual_mul_f32 v2, s28, v3 :: v_dual_mov_b32 v5, v1
                                        ; implicit-def: $vgpr38
	s_mov_b32 s7, exec_lo
	s_delay_alu instid0(VALU_DEP_1) | instskip(SKIP_2) | instid1(VALU_DEP_3)
	v_and_b32_e32 v4, 0x7f800000, v2
	v_and_b32_e32 v0, 0x7fffff, v2
	v_lshrrev_b32_e32 v3, 24, v2
	v_cmpx_ne_u64_e32 0x7f800000, v[4:5]
	s_xor_b32 s29, exec_lo, s7
	s_cbranch_execz .LBB6_10101
; %bb.10088:                            ;   in Loop: Header=BB6_8449 Depth=2
	v_and_b32_e32 v4, 0x7fffffff, v2
	v_mov_b32_e32 v5, v1
	v_and_b32_e32 v8, 0x80, v3
                                        ; implicit-def: $vgpr38
	s_mov_b32 s7, exec_lo
	s_delay_alu instid0(VALU_DEP_2)
	v_cmpx_gt_u64_e32 0x47600001, v[4:5]
	s_xor_b32 s40, exec_lo, s7
	s_cbranch_execz .LBB6_10098
; %bb.10089:                            ;   in Loop: Header=BB6_8449 Depth=2
	v_mov_b32_e32 v38, 0
	s_mov_b32 s41, exec_lo
	v_cmpx_ne_u32_e32 0, v2
	s_cbranch_execz .LBB6_10097
; %bb.10090:                            ;   in Loop: Header=BB6_8449 Depth=2
	v_bfe_u32 v14, v2, 23, 8
	v_or_b32_e32 v3, 0x800000, v0
	s_delay_alu instid0(VALU_DEP_2) | instskip(SKIP_2) | instid1(VALU_DEP_2)
	v_cmp_gt_u32_e64 s7, 0x72, v14
	v_sub_nc_u32_e32 v2, 0x71, v14
	v_cmp_eq_u32_e32 vcc_lo, 0, v14
	v_cndmask_b32_e64 v2, 0, v2, s7
	s_delay_alu instid0(VALU_DEP_1) | instskip(SKIP_1) | instid1(VALU_DEP_2)
	v_cndmask_b32_e64 v15, v2, 0x70, vcc_lo
	v_dual_cndmask_b32 v2, v3, v0 :: v_dual_mov_b32 v3, v1
	v_add_nc_u32_e32 v0, 21, v15
	s_delay_alu instid0(VALU_DEP_1) | instskip(SKIP_1) | instid1(VALU_DEP_1)
	v_lshlrev_b64_e64 v[4:5], v0, -1
	v_add_nc_u32_e32 v0, 20, v15
	v_lshlrev_b64_e64 v[16:17], v0, 1
	s_delay_alu instid0(VALU_DEP_3) | instskip(SKIP_2) | instid1(VALU_DEP_1)
	v_bfi_b32 v4, v4, 0, v2
	v_lshrrev_b64 v[2:3], v15, v[2:3]
	v_bfi_b32 v5, v5, 0, 0
	v_cmp_eq_u64_e64 s7, v[4:5], v[16:17]
	s_delay_alu instid0(VALU_DEP_3)
	v_mov_b64_e32 v[4:5], v[2:3]
	s_and_saveexec_b32 s42, s7
; %bb.10091:                            ;   in Loop: Header=BB6_8449 Depth=2
	v_bfe_u32 v4, v2, 21, 1
	v_mov_b32_e32 v5, v1
	s_delay_alu instid0(VALU_DEP_1) | instskip(NEXT) | instid1(VALU_DEP_1)
	v_add_nc_u64_e32 v[4:5], v[2:3], v[4:5]
	v_add_nc_u64_e32 v[4:5], -1, v[4:5]
; %bb.10092:                            ;   in Loop: Header=BB6_8449 Depth=2
	s_or_b32 exec_lo, exec_lo, s42
	v_add_nc_u32_e32 v0, 0xffffff81, v14
	v_lshrrev_b32_e32 v3, 23, v2
	s_mov_b32 s7, exec_lo
	s_delay_alu instid0(VALU_DEP_2) | instskip(NEXT) | instid1(VALU_DEP_1)
	v_cndmask_b32_e64 v0, v0, 0xffffff82, vcc_lo
	v_add3_u32 v5, v15, v0, v3
	v_and_b32_e32 v0, 0x1fffff, v4
                                        ; implicit-def: $vgpr4
	s_delay_alu instid0(VALU_DEP_1) | instskip(NEXT) | instid1(VALU_DEP_1)
	v_dual_add_nc_u32 v14, 14, v5 :: v_dual_add_nc_u32 v0, v0, v2
                                        ; implicit-def: $vgpr2_vgpr3
	v_cmpx_ne_u32_e32 0, v14
	s_xor_b32 s7, exec_lo, s7
; %bb.10093:                            ;   in Loop: Header=BB6_8449 Depth=2
	s_delay_alu instid0(VALU_DEP_2) | instskip(SKIP_1) | instid1(VALU_DEP_1)
	v_cmp_lt_u64_e32 vcc_lo, 0xffffff, v[0:1]
	v_add_nc_u32_e32 v2, 15, v5
	v_cndmask_b32_e32 v4, v14, v2, vcc_lo
	v_cndmask_b32_e64 v2, 0, 1, vcc_lo
	s_delay_alu instid0(VALU_DEP_1)
	v_lshrrev_b64 v[2:3], v2, v[0:1]
; %bb.10094:                            ;   in Loop: Header=BB6_8449 Depth=2
	s_and_not1_saveexec_b32 s7, s7
; %bb.10095:                            ;   in Loop: Header=BB6_8449 Depth=2
	v_mov_b64_e32 v[2:3], v[0:1]
	v_bfe_u32 v4, v0, 23, 1
; %bb.10096:                            ;   in Loop: Header=BB6_8449 Depth=2
	s_or_b32 exec_lo, exec_lo, s7
	s_delay_alu instid0(VALU_DEP_2) | instskip(NEXT) | instid1(VALU_DEP_2)
	v_lshrrev_b64 v[2:3], 21, v[2:3]
	v_cmp_gt_i32_e32 vcc_lo, 32, v4
	v_min_i32_e32 v0, 31, v4
	v_cmp_eq_u32_e64 s7, 0, v4
	s_delay_alu instid0(VALU_DEP_2) | instskip(SKIP_1) | instid1(VALU_DEP_2)
	v_dual_cndmask_b32 v3, 0, v3 :: v_dual_lshlrev_b32 v0, 2, v0
	v_cndmask_b32_e32 v2, 3, v2, vcc_lo
	v_and_b32_e32 v0, 0xfc, v0
	s_delay_alu instid0(VALU_DEP_2) | instskip(NEXT) | instid1(VALU_DEP_2)
	v_cmp_eq_u64_e32 vcc_lo, 0, v[2:3]
	v_and_or_b32 v0, v2, 3, v0
	s_and_b32 s7, s7, vcc_lo
	s_delay_alu instid0(VALU_DEP_1) | instid1(SALU_CYCLE_1)
	v_cndmask_b32_e64 v0, v0, 0, s7
	s_delay_alu instid0(VALU_DEP_1)
	v_or_b32_e32 v38, v0, v8
.LBB6_10097:                            ;   in Loop: Header=BB6_8449 Depth=2
	s_or_b32 exec_lo, exec_lo, s41
                                        ; implicit-def: $vgpr8
.LBB6_10098:                            ;   in Loop: Header=BB6_8449 Depth=2
	s_and_not1_saveexec_b32 s7, s40
; %bb.10099:                            ;   in Loop: Header=BB6_8449 Depth=2
	v_or_b32_e32 v38, 0x7b, v8
; %bb.10100:                            ;   in Loop: Header=BB6_8449 Depth=2
	s_or_b32 exec_lo, exec_lo, s7
                                        ; implicit-def: $vgpr2
                                        ; implicit-def: $vgpr3
.LBB6_10101:                            ;   in Loop: Header=BB6_8449 Depth=2
	s_and_not1_saveexec_b32 s7, s29
	s_cbranch_execz .LBB6_10107
; %bb.10102:                            ;   in Loop: Header=BB6_8449 Depth=2
	s_mov_b32 s29, exec_lo
                                        ; implicit-def: $vgpr38
	v_cmpx_ne_u64_e32 0, v[0:1]
	s_xor_b32 s29, exec_lo, s29
; %bb.10103:                            ;   in Loop: Header=BB6_8449 Depth=2
	v_or_b32_e32 v38, 0x7f, v3
                                        ; implicit-def: $vgpr2
; %bb.10104:                            ;   in Loop: Header=BB6_8449 Depth=2
	s_and_not1_saveexec_b32 s29, s29
; %bb.10105:                            ;   in Loop: Header=BB6_8449 Depth=2
	v_cmp_lt_i32_e32 vcc_lo, -1, v2
	v_mov_b32_e32 v0, 0x7c
	s_delay_alu instid0(VALU_DEP_1)
	v_cndmask_b32_e32 v38, 0xfc, v0, vcc_lo
; %bb.10106:                            ;   in Loop: Header=BB6_8449 Depth=2
	s_or_b32 exec_lo, exec_lo, s29
.LBB6_10107:                            ;   in Loop: Header=BB6_8449 Depth=2
	s_delay_alu instid0(SALU_CYCLE_1)
	s_or_b32 exec_lo, exec_lo, s7
	v_mov_b32_e32 v2, 0
	s_mov_b32 s7, exec_lo
	v_cmpx_lt_u64_e64 s[12:13], v[10:11]
	s_cbranch_execz .LBB6_10117
; %bb.10108:                            ;   in Loop: Header=BB6_8449 Depth=2
	v_lshrrev_b32_e32 v0, 24, v11
	v_bfrev_b32_e32 v2, 1
	s_mov_b32 s29, exec_lo
	s_delay_alu instid0(VALU_DEP_2)
	v_cmpx_ne_u32_e32 0x80, v0
	s_cbranch_execz .LBB6_10116
; %bb.10109:                            ;   in Loop: Header=BB6_8449 Depth=2
	v_and_b32_e32 v2, 0x7c000000, v11
	v_bfe_u32 v3, v11, 24, 2
	s_delay_alu instid0(VALU_DEP_2) | instskip(SKIP_1) | instid1(SALU_CYCLE_1)
	v_cmp_ne_u32_e32 vcc_lo, 0x7c000000, v2
                                        ; implicit-def: $vgpr2
	s_and_saveexec_b32 s40, vcc_lo
	s_xor_b32 s40, exec_lo, s40
	s_cbranch_execz .LBB6_10113
; %bb.10110:                            ;   in Loop: Header=BB6_8449 Depth=2
	v_bfe_u32 v2, v11, 26, 5
	s_mov_b32 s41, exec_lo
	s_delay_alu instid0(VALU_DEP_1)
	v_cmpx_eq_u32_e32 0, v2
; %bb.10111:                            ;   in Loop: Header=BB6_8449 Depth=2
	v_clz_i32_u32_e32 v2, v3
	s_delay_alu instid0(VALU_DEP_1) | instskip(NEXT) | instid1(VALU_DEP_1)
	v_min_u32_e32 v2, 32, v2
	v_subrev_nc_u32_e32 v3, 29, v2
	s_delay_alu instid0(VALU_DEP_1) | instskip(NEXT) | instid1(VALU_DEP_1)
	v_lshlrev_b64_e32 v[4:5], v3, v[0:1]
	v_dual_sub_nc_u32 v2, 30, v2 :: v_dual_bitop2_b32 v3, 3, v4 bitop3:0x40
; %bb.10112:                            ;   in Loop: Header=BB6_8449 Depth=2
	s_or_b32 exec_lo, exec_lo, s41
	v_and_b32_e32 v0, 0x80000000, v11
	s_delay_alu instid0(VALU_DEP_1) | instskip(NEXT) | instid1(VALU_DEP_1)
	v_lshl_add_u32 v0, v2, 23, v0
	v_lshl_or_b32 v0, v3, 21, v0
                                        ; implicit-def: $vgpr3
	s_delay_alu instid0(VALU_DEP_1)
	v_add_nc_u32_e32 v2, 0x38000000, v0
.LBB6_10113:                            ;   in Loop: Header=BB6_8449 Depth=2
	s_and_not1_saveexec_b32 s40, s40
; %bb.10114:                            ;   in Loop: Header=BB6_8449 Depth=2
	v_cmp_lt_i64_e32 vcc_lo, -1, v[10:11]
	v_mov_b32_e32 v0, 0x7f800000
	s_delay_alu instid0(VALU_DEP_1) | instskip(SKIP_1) | instid1(VALU_DEP_2)
	v_cndmask_b32_e32 v0, 0xff800000, v0, vcc_lo
	v_cmp_eq_u32_e32 vcc_lo, 0, v3
	v_cndmask_b32_e32 v2, 0x7f800001, v0, vcc_lo
; %bb.10115:                            ;   in Loop: Header=BB6_8449 Depth=2
	s_or_b32 exec_lo, exec_lo, s40
.LBB6_10116:                            ;   in Loop: Header=BB6_8449 Depth=2
	s_delay_alu instid0(SALU_CYCLE_1)
	s_or_b32 exec_lo, exec_lo, s29
.LBB6_10117:                            ;   in Loop: Header=BB6_8449 Depth=2
	s_delay_alu instid0(SALU_CYCLE_1) | instskip(NEXT) | instid1(VALU_DEP_1)
	s_or_b32 exec_lo, exec_lo, s7
	v_dual_mul_f32 v2, s28, v2 :: v_dual_mov_b32 v5, v1
                                        ; implicit-def: $vgpr50
	s_mov_b32 s7, exec_lo
	s_delay_alu instid0(VALU_DEP_1) | instskip(SKIP_2) | instid1(VALU_DEP_3)
	v_and_b32_e32 v4, 0x7f800000, v2
	v_and_b32_e32 v0, 0x7fffff, v2
	v_lshrrev_b32_e32 v3, 24, v2
	v_cmpx_ne_u64_e32 0x7f800000, v[4:5]
	s_xor_b32 s29, exec_lo, s7
	s_cbranch_execz .LBB6_10131
; %bb.10118:                            ;   in Loop: Header=BB6_8449 Depth=2
	v_and_b32_e32 v4, 0x7fffffff, v2
	v_mov_b32_e32 v5, v1
	v_and_b32_e32 v8, 0x80, v3
                                        ; implicit-def: $vgpr50
	s_mov_b32 s7, exec_lo
	s_delay_alu instid0(VALU_DEP_2)
	v_cmpx_gt_u64_e32 0x47600001, v[4:5]
	s_xor_b32 s40, exec_lo, s7
	s_cbranch_execz .LBB6_10128
; %bb.10119:                            ;   in Loop: Header=BB6_8449 Depth=2
	v_mov_b32_e32 v50, 0
	s_mov_b32 s41, exec_lo
	v_cmpx_ne_u32_e32 0, v2
	s_cbranch_execz .LBB6_10127
; %bb.10120:                            ;   in Loop: Header=BB6_8449 Depth=2
	v_bfe_u32 v10, v2, 23, 8
	v_or_b32_e32 v3, 0x800000, v0
	s_delay_alu instid0(VALU_DEP_2) | instskip(SKIP_2) | instid1(VALU_DEP_2)
	v_cmp_gt_u32_e64 s7, 0x72, v10
	v_sub_nc_u32_e32 v2, 0x71, v10
	v_cmp_eq_u32_e32 vcc_lo, 0, v10
	v_cndmask_b32_e64 v2, 0, v2, s7
	s_delay_alu instid0(VALU_DEP_1) | instskip(SKIP_1) | instid1(VALU_DEP_2)
	v_cndmask_b32_e64 v11, v2, 0x70, vcc_lo
	v_dual_cndmask_b32 v2, v3, v0 :: v_dual_mov_b32 v3, v1
	v_add_nc_u32_e32 v0, 21, v11
	s_delay_alu instid0(VALU_DEP_1) | instskip(SKIP_1) | instid1(VALU_DEP_1)
	v_lshlrev_b64_e64 v[4:5], v0, -1
	v_add_nc_u32_e32 v0, 20, v11
	v_lshlrev_b64_e64 v[14:15], v0, 1
	s_delay_alu instid0(VALU_DEP_3) | instskip(SKIP_2) | instid1(VALU_DEP_1)
	v_bfi_b32 v4, v4, 0, v2
	v_lshrrev_b64 v[2:3], v11, v[2:3]
	v_bfi_b32 v5, v5, 0, 0
	v_cmp_eq_u64_e64 s7, v[4:5], v[14:15]
	s_delay_alu instid0(VALU_DEP_3)
	v_mov_b64_e32 v[4:5], v[2:3]
	s_and_saveexec_b32 s42, s7
; %bb.10121:                            ;   in Loop: Header=BB6_8449 Depth=2
	v_bfe_u32 v4, v2, 21, 1
	v_mov_b32_e32 v5, v1
	s_delay_alu instid0(VALU_DEP_1) | instskip(NEXT) | instid1(VALU_DEP_1)
	v_add_nc_u64_e32 v[4:5], v[2:3], v[4:5]
	v_add_nc_u64_e32 v[4:5], -1, v[4:5]
; %bb.10122:                            ;   in Loop: Header=BB6_8449 Depth=2
	s_or_b32 exec_lo, exec_lo, s42
	v_add_nc_u32_e32 v0, 0xffffff81, v10
	v_lshrrev_b32_e32 v3, 23, v2
	s_mov_b32 s7, exec_lo
	s_delay_alu instid0(VALU_DEP_2) | instskip(NEXT) | instid1(VALU_DEP_1)
	v_cndmask_b32_e64 v0, v0, 0xffffff82, vcc_lo
	v_add3_u32 v5, v11, v0, v3
	v_and_b32_e32 v0, 0x1fffff, v4
                                        ; implicit-def: $vgpr4
	s_delay_alu instid0(VALU_DEP_1) | instskip(NEXT) | instid1(VALU_DEP_1)
	v_dual_add_nc_u32 v10, 14, v5 :: v_dual_add_nc_u32 v0, v0, v2
                                        ; implicit-def: $vgpr2_vgpr3
	v_cmpx_ne_u32_e32 0, v10
	s_xor_b32 s7, exec_lo, s7
; %bb.10123:                            ;   in Loop: Header=BB6_8449 Depth=2
	s_delay_alu instid0(VALU_DEP_2) | instskip(SKIP_1) | instid1(VALU_DEP_1)
	v_cmp_lt_u64_e32 vcc_lo, 0xffffff, v[0:1]
	v_add_nc_u32_e32 v2, 15, v5
	v_cndmask_b32_e32 v4, v10, v2, vcc_lo
	v_cndmask_b32_e64 v2, 0, 1, vcc_lo
	s_delay_alu instid0(VALU_DEP_1)
	v_lshrrev_b64 v[2:3], v2, v[0:1]
; %bb.10124:                            ;   in Loop: Header=BB6_8449 Depth=2
	s_and_not1_saveexec_b32 s7, s7
; %bb.10125:                            ;   in Loop: Header=BB6_8449 Depth=2
	v_mov_b64_e32 v[2:3], v[0:1]
	v_bfe_u32 v4, v0, 23, 1
; %bb.10126:                            ;   in Loop: Header=BB6_8449 Depth=2
	s_or_b32 exec_lo, exec_lo, s7
	s_delay_alu instid0(VALU_DEP_2) | instskip(NEXT) | instid1(VALU_DEP_2)
	v_lshrrev_b64 v[2:3], 21, v[2:3]
	v_cmp_gt_i32_e32 vcc_lo, 32, v4
	v_min_i32_e32 v0, 31, v4
	v_cmp_eq_u32_e64 s7, 0, v4
	s_delay_alu instid0(VALU_DEP_2) | instskip(SKIP_1) | instid1(VALU_DEP_2)
	v_dual_cndmask_b32 v3, 0, v3 :: v_dual_lshlrev_b32 v0, 2, v0
	v_cndmask_b32_e32 v2, 3, v2, vcc_lo
	v_and_b32_e32 v0, 0xfc, v0
	s_delay_alu instid0(VALU_DEP_2) | instskip(NEXT) | instid1(VALU_DEP_2)
	v_cmp_eq_u64_e32 vcc_lo, 0, v[2:3]
	v_and_or_b32 v0, v2, 3, v0
	s_and_b32 s7, s7, vcc_lo
	s_delay_alu instid0(VALU_DEP_1) | instid1(SALU_CYCLE_1)
	v_cndmask_b32_e64 v0, v0, 0, s7
	s_delay_alu instid0(VALU_DEP_1)
	v_or_b32_e32 v50, v0, v8
.LBB6_10127:                            ;   in Loop: Header=BB6_8449 Depth=2
	s_or_b32 exec_lo, exec_lo, s41
                                        ; implicit-def: $vgpr8
.LBB6_10128:                            ;   in Loop: Header=BB6_8449 Depth=2
	s_and_not1_saveexec_b32 s7, s40
; %bb.10129:                            ;   in Loop: Header=BB6_8449 Depth=2
	v_or_b32_e32 v50, 0x7b, v8
; %bb.10130:                            ;   in Loop: Header=BB6_8449 Depth=2
	s_or_b32 exec_lo, exec_lo, s7
                                        ; implicit-def: $vgpr2
                                        ; implicit-def: $vgpr3
.LBB6_10131:                            ;   in Loop: Header=BB6_8449 Depth=2
	s_and_not1_saveexec_b32 s7, s29
	s_cbranch_execz .LBB6_10137
; %bb.10132:                            ;   in Loop: Header=BB6_8449 Depth=2
	s_mov_b32 s29, exec_lo
                                        ; implicit-def: $vgpr50
	v_cmpx_ne_u64_e32 0, v[0:1]
	s_xor_b32 s29, exec_lo, s29
; %bb.10133:                            ;   in Loop: Header=BB6_8449 Depth=2
	v_or_b32_e32 v50, 0x7f, v3
                                        ; implicit-def: $vgpr2
; %bb.10134:                            ;   in Loop: Header=BB6_8449 Depth=2
	s_and_not1_saveexec_b32 s29, s29
; %bb.10135:                            ;   in Loop: Header=BB6_8449 Depth=2
	v_cmp_lt_i32_e32 vcc_lo, -1, v2
	v_mov_b32_e32 v0, 0x7c
	s_delay_alu instid0(VALU_DEP_1)
	v_cndmask_b32_e32 v50, 0xfc, v0, vcc_lo
; %bb.10136:                            ;   in Loop: Header=BB6_8449 Depth=2
	s_or_b32 exec_lo, exec_lo, s29
.LBB6_10137:                            ;   in Loop: Header=BB6_8449 Depth=2
	s_delay_alu instid0(SALU_CYCLE_1) | instskip(SKIP_1) | instid1(VALU_DEP_1)
	s_or_b32 exec_lo, exec_lo, s7
	v_and_b32_e32 v0, 0xff, v12
	v_cmp_ne_u16_e32 vcc_lo, 0, v0
	v_mov_b32_e32 v0, 0
	s_and_saveexec_b32 s7, vcc_lo
	s_cbranch_execz .LBB6_10147
; %bb.10138:                            ;   in Loop: Header=BB6_8449 Depth=2
	v_bfe_i32 v3, v12, 0, 8
	v_bfrev_b32_e32 v0, 1
	s_mov_b32 s29, exec_lo
	s_delay_alu instid0(VALU_DEP_2)
	v_cmpx_ne_u16_e32 0xff80, v3
	s_cbranch_execz .LBB6_10146
; %bb.10139:                            ;   in Loop: Header=BB6_8449 Depth=2
	v_and_b32_e32 v0, 0x7c, v12
	v_and_b32_e32 v2, 3, v12
	s_delay_alu instid0(VALU_DEP_2) | instskip(SKIP_1) | instid1(SALU_CYCLE_1)
	v_cmp_ne_u32_e32 vcc_lo, 0x7c, v0
                                        ; implicit-def: $vgpr0
	s_and_saveexec_b32 s40, vcc_lo
	s_xor_b32 s40, exec_lo, s40
	s_cbranch_execz .LBB6_10143
; %bb.10140:                            ;   in Loop: Header=BB6_8449 Depth=2
	v_bfe_u32 v0, v12, 2, 5
	s_mov_b32 s41, exec_lo
	s_delay_alu instid0(VALU_DEP_1)
	v_cmpx_eq_u32_e32 0, v0
; %bb.10141:                            ;   in Loop: Header=BB6_8449 Depth=2
	v_clz_i32_u32_e32 v0, v2
	s_delay_alu instid0(VALU_DEP_1) | instskip(NEXT) | instid1(VALU_DEP_1)
	v_min_u32_e32 v0, 32, v0
	v_subrev_nc_u32_e32 v2, 29, v0
	s_delay_alu instid0(VALU_DEP_1) | instskip(NEXT) | instid1(VALU_DEP_1)
	v_lshlrev_b64_e32 v[2:3], v2, v[12:13]
	v_dual_sub_nc_u32 v0, 30, v0 :: v_dual_bitop2_b32 v2, 3, v2 bitop3:0x40
; %bb.10142:                            ;   in Loop: Header=BB6_8449 Depth=2
	s_or_b32 exec_lo, exec_lo, s41
	v_lshlrev_b32_e32 v3, 24, v12
	s_delay_alu instid0(VALU_DEP_1) | instskip(NEXT) | instid1(VALU_DEP_1)
	v_and_b32_e32 v3, 0x80000000, v3
	v_lshl_add_u32 v0, v0, 23, v3
                                        ; implicit-def: $vgpr3
	s_delay_alu instid0(VALU_DEP_1) | instskip(NEXT) | instid1(VALU_DEP_1)
	v_lshl_or_b32 v0, v2, 21, v0
                                        ; implicit-def: $vgpr2
	v_add_nc_u32_e32 v0, 0x38000000, v0
.LBB6_10143:                            ;   in Loop: Header=BB6_8449 Depth=2
	s_and_not1_saveexec_b32 s40, s40
; %bb.10144:                            ;   in Loop: Header=BB6_8449 Depth=2
	v_cmp_lt_i16_e32 vcc_lo, -1, v3
	v_mov_b32_e32 v0, 0x7f800000
	s_delay_alu instid0(VALU_DEP_1) | instskip(SKIP_1) | instid1(VALU_DEP_2)
	v_cndmask_b32_e32 v0, 0xff800000, v0, vcc_lo
	v_cmp_eq_u32_e32 vcc_lo, 0, v2
	v_cndmask_b32_e32 v0, 0x7f800001, v0, vcc_lo
; %bb.10145:                            ;   in Loop: Header=BB6_8449 Depth=2
	s_or_b32 exec_lo, exec_lo, s40
.LBB6_10146:                            ;   in Loop: Header=BB6_8449 Depth=2
	s_delay_alu instid0(SALU_CYCLE_1)
	s_or_b32 exec_lo, exec_lo, s29
.LBB6_10147:                            ;   in Loop: Header=BB6_8449 Depth=2
	s_delay_alu instid0(SALU_CYCLE_1) | instskip(NEXT) | instid1(VALU_DEP_1)
	s_or_b32 exec_lo, exec_lo, s7
	v_dual_mul_f32 v2, s28, v0 :: v_dual_mov_b32 v5, v1
                                        ; implicit-def: $vgpr26
	s_mov_b32 s7, exec_lo
	s_delay_alu instid0(VALU_DEP_1) | instskip(SKIP_2) | instid1(VALU_DEP_3)
	v_and_b32_e32 v4, 0x7f800000, v2
	v_and_b32_e32 v0, 0x7fffff, v2
	v_lshrrev_b32_e32 v3, 24, v2
	v_cmpx_ne_u64_e32 0x7f800000, v[4:5]
	s_xor_b32 s29, exec_lo, s7
	s_cbranch_execz .LBB6_10161
; %bb.10148:                            ;   in Loop: Header=BB6_8449 Depth=2
	v_and_b32_e32 v4, 0x7fffffff, v2
	v_mov_b32_e32 v5, v1
	v_and_b32_e32 v8, 0x80, v3
                                        ; implicit-def: $vgpr26
	s_mov_b32 s7, exec_lo
	s_delay_alu instid0(VALU_DEP_2)
	v_cmpx_gt_u64_e32 0x47600001, v[4:5]
	s_xor_b32 s40, exec_lo, s7
	s_cbranch_execz .LBB6_10158
; %bb.10149:                            ;   in Loop: Header=BB6_8449 Depth=2
	v_mov_b32_e32 v26, 0
	s_mov_b32 s41, exec_lo
	v_cmpx_ne_u32_e32 0, v2
	s_cbranch_execz .LBB6_10157
; %bb.10150:                            ;   in Loop: Header=BB6_8449 Depth=2
	v_bfe_u32 v10, v2, 23, 8
	v_or_b32_e32 v3, 0x800000, v0
	s_delay_alu instid0(VALU_DEP_2) | instskip(SKIP_2) | instid1(VALU_DEP_2)
	v_cmp_gt_u32_e64 s7, 0x72, v10
	v_sub_nc_u32_e32 v2, 0x71, v10
	v_cmp_eq_u32_e32 vcc_lo, 0, v10
	v_cndmask_b32_e64 v2, 0, v2, s7
	s_delay_alu instid0(VALU_DEP_1) | instskip(SKIP_1) | instid1(VALU_DEP_2)
	v_cndmask_b32_e64 v11, v2, 0x70, vcc_lo
	v_dual_cndmask_b32 v2, v3, v0 :: v_dual_mov_b32 v3, v1
	v_add_nc_u32_e32 v0, 21, v11
	s_delay_alu instid0(VALU_DEP_1) | instskip(SKIP_1) | instid1(VALU_DEP_1)
	v_lshlrev_b64_e64 v[4:5], v0, -1
	v_add_nc_u32_e32 v0, 20, v11
	v_lshlrev_b64_e64 v[14:15], v0, 1
	s_delay_alu instid0(VALU_DEP_3) | instskip(SKIP_2) | instid1(VALU_DEP_1)
	v_bfi_b32 v4, v4, 0, v2
	v_lshrrev_b64 v[2:3], v11, v[2:3]
	v_bfi_b32 v5, v5, 0, 0
	v_cmp_eq_u64_e64 s7, v[4:5], v[14:15]
	s_delay_alu instid0(VALU_DEP_3)
	v_mov_b64_e32 v[4:5], v[2:3]
	s_and_saveexec_b32 s42, s7
; %bb.10151:                            ;   in Loop: Header=BB6_8449 Depth=2
	v_bfe_u32 v4, v2, 21, 1
	v_mov_b32_e32 v5, v1
	s_delay_alu instid0(VALU_DEP_1) | instskip(NEXT) | instid1(VALU_DEP_1)
	v_add_nc_u64_e32 v[4:5], v[2:3], v[4:5]
	v_add_nc_u64_e32 v[4:5], -1, v[4:5]
; %bb.10152:                            ;   in Loop: Header=BB6_8449 Depth=2
	s_or_b32 exec_lo, exec_lo, s42
	v_add_nc_u32_e32 v0, 0xffffff81, v10
	v_lshrrev_b32_e32 v3, 23, v2
	s_mov_b32 s7, exec_lo
	s_delay_alu instid0(VALU_DEP_2) | instskip(NEXT) | instid1(VALU_DEP_1)
	v_cndmask_b32_e64 v0, v0, 0xffffff82, vcc_lo
	v_add3_u32 v5, v11, v0, v3
	v_and_b32_e32 v0, 0x1fffff, v4
                                        ; implicit-def: $vgpr4
	s_delay_alu instid0(VALU_DEP_1) | instskip(NEXT) | instid1(VALU_DEP_1)
	v_dual_add_nc_u32 v10, 14, v5 :: v_dual_add_nc_u32 v0, v0, v2
                                        ; implicit-def: $vgpr2_vgpr3
	v_cmpx_ne_u32_e32 0, v10
	s_xor_b32 s7, exec_lo, s7
; %bb.10153:                            ;   in Loop: Header=BB6_8449 Depth=2
	s_delay_alu instid0(VALU_DEP_2) | instskip(SKIP_1) | instid1(VALU_DEP_1)
	v_cmp_lt_u64_e32 vcc_lo, 0xffffff, v[0:1]
	v_add_nc_u32_e32 v2, 15, v5
	v_cndmask_b32_e32 v4, v10, v2, vcc_lo
	v_cndmask_b32_e64 v2, 0, 1, vcc_lo
	s_delay_alu instid0(VALU_DEP_1)
	v_lshrrev_b64 v[2:3], v2, v[0:1]
; %bb.10154:                            ;   in Loop: Header=BB6_8449 Depth=2
	s_and_not1_saveexec_b32 s7, s7
; %bb.10155:                            ;   in Loop: Header=BB6_8449 Depth=2
	v_mov_b64_e32 v[2:3], v[0:1]
	v_bfe_u32 v4, v0, 23, 1
; %bb.10156:                            ;   in Loop: Header=BB6_8449 Depth=2
	s_or_b32 exec_lo, exec_lo, s7
	s_delay_alu instid0(VALU_DEP_2) | instskip(NEXT) | instid1(VALU_DEP_2)
	v_lshrrev_b64 v[2:3], 21, v[2:3]
	v_cmp_gt_i32_e32 vcc_lo, 32, v4
	v_min_i32_e32 v0, 31, v4
	v_cmp_eq_u32_e64 s7, 0, v4
	s_delay_alu instid0(VALU_DEP_2) | instskip(SKIP_1) | instid1(VALU_DEP_2)
	v_dual_cndmask_b32 v3, 0, v3 :: v_dual_lshlrev_b32 v0, 2, v0
	v_cndmask_b32_e32 v2, 3, v2, vcc_lo
	v_and_b32_e32 v0, 0xfc, v0
	s_delay_alu instid0(VALU_DEP_2) | instskip(NEXT) | instid1(VALU_DEP_2)
	v_cmp_eq_u64_e32 vcc_lo, 0, v[2:3]
	v_and_or_b32 v0, v2, 3, v0
	s_and_b32 s7, s7, vcc_lo
	s_delay_alu instid0(VALU_DEP_1) | instid1(SALU_CYCLE_1)
	v_cndmask_b32_e64 v0, v0, 0, s7
	s_delay_alu instid0(VALU_DEP_1)
	v_or_b32_e32 v26, v0, v8
.LBB6_10157:                            ;   in Loop: Header=BB6_8449 Depth=2
	s_or_b32 exec_lo, exec_lo, s41
                                        ; implicit-def: $vgpr8
.LBB6_10158:                            ;   in Loop: Header=BB6_8449 Depth=2
	s_and_not1_saveexec_b32 s7, s40
; %bb.10159:                            ;   in Loop: Header=BB6_8449 Depth=2
	v_or_b32_e32 v26, 0x7b, v8
; %bb.10160:                            ;   in Loop: Header=BB6_8449 Depth=2
	s_or_b32 exec_lo, exec_lo, s7
                                        ; implicit-def: $vgpr2
                                        ; implicit-def: $vgpr3
.LBB6_10161:                            ;   in Loop: Header=BB6_8449 Depth=2
	s_and_not1_saveexec_b32 s7, s29
	s_cbranch_execz .LBB6_10167
; %bb.10162:                            ;   in Loop: Header=BB6_8449 Depth=2
	s_mov_b32 s29, exec_lo
                                        ; implicit-def: $vgpr26
	v_cmpx_ne_u64_e32 0, v[0:1]
	s_xor_b32 s29, exec_lo, s29
; %bb.10163:                            ;   in Loop: Header=BB6_8449 Depth=2
	v_or_b32_e32 v26, 0x7f, v3
                                        ; implicit-def: $vgpr2
; %bb.10164:                            ;   in Loop: Header=BB6_8449 Depth=2
	s_and_not1_saveexec_b32 s29, s29
; %bb.10165:                            ;   in Loop: Header=BB6_8449 Depth=2
	v_cmp_lt_i32_e32 vcc_lo, -1, v2
	v_mov_b32_e32 v0, 0x7c
	s_delay_alu instid0(VALU_DEP_1)
	v_cndmask_b32_e32 v26, 0xfc, v0, vcc_lo
; %bb.10166:                            ;   in Loop: Header=BB6_8449 Depth=2
	s_or_b32 exec_lo, exec_lo, s29
.LBB6_10167:                            ;   in Loop: Header=BB6_8449 Depth=2
	s_delay_alu instid0(SALU_CYCLE_1) | instskip(SKIP_3) | instid1(VALU_DEP_2)
	s_or_b32 exec_lo, exec_lo, s7
	v_lshrrev_b16 v2, 8, v12
	v_mov_b32_e32 v3, 0
	s_mov_b32 s7, exec_lo
	v_cmpx_ne_u16_e32 0, v2
	s_cbranch_execz .LBB6_10177
; %bb.10168:                            ;   in Loop: Header=BB6_8449 Depth=2
	v_bfrev_b32_e32 v3, 1
	s_mov_b32 s29, exec_lo
	v_cmpx_ne_u16_e32 0x80, v2
	s_cbranch_execz .LBB6_10176
; %bb.10169:                            ;   in Loop: Header=BB6_8449 Depth=2
	v_and_b32_e32 v4, 0xffff, v2
	s_delay_alu instid0(VALU_DEP_1) | instskip(SKIP_1) | instid1(VALU_DEP_2)
	v_and_b32_e32 v3, 0x7c, v4
	v_and_b32_e32 v0, 3, v4
	v_cmp_ne_u32_e32 vcc_lo, 0x7c, v3
                                        ; implicit-def: $vgpr3
	s_and_saveexec_b32 s40, vcc_lo
	s_delay_alu instid0(SALU_CYCLE_1)
	s_xor_b32 s40, exec_lo, s40
	s_cbranch_execz .LBB6_10173
; %bb.10170:                            ;   in Loop: Header=BB6_8449 Depth=2
	v_bfe_u32 v3, v4, 2, 5
	s_mov_b32 s41, exec_lo
	s_delay_alu instid0(VALU_DEP_1)
	v_cmpx_eq_u32_e32 0, v3
; %bb.10171:                            ;   in Loop: Header=BB6_8449 Depth=2
	v_clz_i32_u32_e32 v0, v0
	v_mov_b32_e32 v3, v1
	s_delay_alu instid0(VALU_DEP_2) | instskip(NEXT) | instid1(VALU_DEP_1)
	v_min_u32_e32 v0, 32, v0
	v_subrev_nc_u32_e32 v4, 29, v0
	s_delay_alu instid0(VALU_DEP_1) | instskip(NEXT) | instid1(VALU_DEP_1)
	v_lshlrev_b64_e32 v[2:3], v4, v[2:3]
	v_dual_sub_nc_u32 v3, 30, v0 :: v_dual_bitop2_b32 v0, 3, v2 bitop3:0x40
; %bb.10172:                            ;   in Loop: Header=BB6_8449 Depth=2
	s_or_b32 exec_lo, exec_lo, s41
	v_lshlrev_b32_e32 v2, 16, v12
	s_delay_alu instid0(VALU_DEP_1) | instskip(NEXT) | instid1(VALU_DEP_1)
	v_and_b32_e32 v2, 0x80000000, v2
	v_lshl_add_u32 v2, v3, 23, v2
	s_delay_alu instid0(VALU_DEP_1) | instskip(NEXT) | instid1(VALU_DEP_1)
	v_lshl_or_b32 v0, v0, 21, v2
	v_add_nc_u32_e32 v3, 0x38000000, v0
                                        ; implicit-def: $vgpr0
.LBB6_10173:                            ;   in Loop: Header=BB6_8449 Depth=2
	s_and_not1_saveexec_b32 s40, s40
; %bb.10174:                            ;   in Loop: Header=BB6_8449 Depth=2
	v_cmp_lt_i16_e32 vcc_lo, -1, v12
	v_mov_b32_e32 v2, 0x7f800000
	s_delay_alu instid0(VALU_DEP_1) | instskip(SKIP_1) | instid1(VALU_DEP_2)
	v_cndmask_b32_e32 v2, 0xff800000, v2, vcc_lo
	v_cmp_eq_u32_e32 vcc_lo, 0, v0
	v_cndmask_b32_e32 v3, 0x7f800001, v2, vcc_lo
; %bb.10175:                            ;   in Loop: Header=BB6_8449 Depth=2
	s_or_b32 exec_lo, exec_lo, s40
.LBB6_10176:                            ;   in Loop: Header=BB6_8449 Depth=2
	s_delay_alu instid0(SALU_CYCLE_1)
	s_or_b32 exec_lo, exec_lo, s29
.LBB6_10177:                            ;   in Loop: Header=BB6_8449 Depth=2
	s_delay_alu instid0(SALU_CYCLE_1) | instskip(NEXT) | instid1(VALU_DEP_1)
	s_or_b32 exec_lo, exec_lo, s7
	v_dual_mul_f32 v2, s28, v3 :: v_dual_mov_b32 v5, v1
                                        ; implicit-def: $vgpr31
	s_mov_b32 s7, exec_lo
	s_delay_alu instid0(VALU_DEP_1) | instskip(SKIP_2) | instid1(VALU_DEP_3)
	v_and_b32_e32 v4, 0x7f800000, v2
	v_and_b32_e32 v0, 0x7fffff, v2
	v_lshrrev_b32_e32 v3, 24, v2
	v_cmpx_ne_u64_e32 0x7f800000, v[4:5]
	s_xor_b32 s29, exec_lo, s7
	s_cbranch_execz .LBB6_10191
; %bb.10178:                            ;   in Loop: Header=BB6_8449 Depth=2
	v_and_b32_e32 v4, 0x7fffffff, v2
	v_mov_b32_e32 v5, v1
	v_and_b32_e32 v8, 0x80, v3
                                        ; implicit-def: $vgpr31
	s_mov_b32 s7, exec_lo
	s_delay_alu instid0(VALU_DEP_2)
	v_cmpx_gt_u64_e32 0x47600001, v[4:5]
	s_xor_b32 s40, exec_lo, s7
	s_cbranch_execz .LBB6_10188
; %bb.10179:                            ;   in Loop: Header=BB6_8449 Depth=2
	v_mov_b32_e32 v31, 0
	s_mov_b32 s41, exec_lo
	v_cmpx_ne_u32_e32 0, v2
	s_cbranch_execz .LBB6_10187
; %bb.10180:                            ;   in Loop: Header=BB6_8449 Depth=2
	v_bfe_u32 v10, v2, 23, 8
	v_or_b32_e32 v3, 0x800000, v0
	s_delay_alu instid0(VALU_DEP_2) | instskip(SKIP_2) | instid1(VALU_DEP_2)
	v_cmp_gt_u32_e64 s7, 0x72, v10
	v_sub_nc_u32_e32 v2, 0x71, v10
	v_cmp_eq_u32_e32 vcc_lo, 0, v10
	v_cndmask_b32_e64 v2, 0, v2, s7
	s_delay_alu instid0(VALU_DEP_1) | instskip(SKIP_1) | instid1(VALU_DEP_2)
	v_cndmask_b32_e64 v11, v2, 0x70, vcc_lo
	v_dual_cndmask_b32 v2, v3, v0 :: v_dual_mov_b32 v3, v1
	v_add_nc_u32_e32 v0, 21, v11
	s_delay_alu instid0(VALU_DEP_1) | instskip(SKIP_1) | instid1(VALU_DEP_1)
	v_lshlrev_b64_e64 v[4:5], v0, -1
	v_add_nc_u32_e32 v0, 20, v11
	v_lshlrev_b64_e64 v[14:15], v0, 1
	s_delay_alu instid0(VALU_DEP_3) | instskip(SKIP_2) | instid1(VALU_DEP_1)
	v_bfi_b32 v4, v4, 0, v2
	v_lshrrev_b64 v[2:3], v11, v[2:3]
	v_bfi_b32 v5, v5, 0, 0
	v_cmp_eq_u64_e64 s7, v[4:5], v[14:15]
	s_delay_alu instid0(VALU_DEP_3)
	v_mov_b64_e32 v[4:5], v[2:3]
	s_and_saveexec_b32 s42, s7
; %bb.10181:                            ;   in Loop: Header=BB6_8449 Depth=2
	v_bfe_u32 v4, v2, 21, 1
	v_mov_b32_e32 v5, v1
	s_delay_alu instid0(VALU_DEP_1) | instskip(NEXT) | instid1(VALU_DEP_1)
	v_add_nc_u64_e32 v[4:5], v[2:3], v[4:5]
	v_add_nc_u64_e32 v[4:5], -1, v[4:5]
; %bb.10182:                            ;   in Loop: Header=BB6_8449 Depth=2
	s_or_b32 exec_lo, exec_lo, s42
	v_add_nc_u32_e32 v0, 0xffffff81, v10
	v_lshrrev_b32_e32 v3, 23, v2
	s_mov_b32 s7, exec_lo
	s_delay_alu instid0(VALU_DEP_2) | instskip(NEXT) | instid1(VALU_DEP_1)
	v_cndmask_b32_e64 v0, v0, 0xffffff82, vcc_lo
	v_add3_u32 v5, v11, v0, v3
	v_and_b32_e32 v0, 0x1fffff, v4
                                        ; implicit-def: $vgpr4
	s_delay_alu instid0(VALU_DEP_1) | instskip(NEXT) | instid1(VALU_DEP_1)
	v_dual_add_nc_u32 v10, 14, v5 :: v_dual_add_nc_u32 v0, v0, v2
                                        ; implicit-def: $vgpr2_vgpr3
	v_cmpx_ne_u32_e32 0, v10
	s_xor_b32 s7, exec_lo, s7
; %bb.10183:                            ;   in Loop: Header=BB6_8449 Depth=2
	s_delay_alu instid0(VALU_DEP_2) | instskip(SKIP_1) | instid1(VALU_DEP_1)
	v_cmp_lt_u64_e32 vcc_lo, 0xffffff, v[0:1]
	v_add_nc_u32_e32 v2, 15, v5
	v_cndmask_b32_e32 v4, v10, v2, vcc_lo
	v_cndmask_b32_e64 v2, 0, 1, vcc_lo
	s_delay_alu instid0(VALU_DEP_1)
	v_lshrrev_b64 v[2:3], v2, v[0:1]
; %bb.10184:                            ;   in Loop: Header=BB6_8449 Depth=2
	s_and_not1_saveexec_b32 s7, s7
; %bb.10185:                            ;   in Loop: Header=BB6_8449 Depth=2
	v_mov_b64_e32 v[2:3], v[0:1]
	v_bfe_u32 v4, v0, 23, 1
; %bb.10186:                            ;   in Loop: Header=BB6_8449 Depth=2
	s_or_b32 exec_lo, exec_lo, s7
	s_delay_alu instid0(VALU_DEP_2) | instskip(NEXT) | instid1(VALU_DEP_2)
	v_lshrrev_b64 v[2:3], 21, v[2:3]
	v_cmp_gt_i32_e32 vcc_lo, 32, v4
	v_min_i32_e32 v0, 31, v4
	v_cmp_eq_u32_e64 s7, 0, v4
	s_delay_alu instid0(VALU_DEP_2) | instskip(SKIP_1) | instid1(VALU_DEP_2)
	v_dual_cndmask_b32 v3, 0, v3 :: v_dual_lshlrev_b32 v0, 2, v0
	v_cndmask_b32_e32 v2, 3, v2, vcc_lo
	v_and_b32_e32 v0, 0xfc, v0
	s_delay_alu instid0(VALU_DEP_2) | instskip(NEXT) | instid1(VALU_DEP_2)
	v_cmp_eq_u64_e32 vcc_lo, 0, v[2:3]
	v_and_or_b32 v0, v2, 3, v0
	s_and_b32 s7, s7, vcc_lo
	s_delay_alu instid0(VALU_DEP_1) | instid1(SALU_CYCLE_1)
	v_cndmask_b32_e64 v0, v0, 0, s7
	s_delay_alu instid0(VALU_DEP_1)
	v_or_b32_e32 v31, v0, v8
.LBB6_10187:                            ;   in Loop: Header=BB6_8449 Depth=2
	s_or_b32 exec_lo, exec_lo, s41
                                        ; implicit-def: $vgpr8
.LBB6_10188:                            ;   in Loop: Header=BB6_8449 Depth=2
	s_and_not1_saveexec_b32 s7, s40
; %bb.10189:                            ;   in Loop: Header=BB6_8449 Depth=2
	v_or_b32_e32 v31, 0x7b, v8
; %bb.10190:                            ;   in Loop: Header=BB6_8449 Depth=2
	s_or_b32 exec_lo, exec_lo, s7
                                        ; implicit-def: $vgpr2
                                        ; implicit-def: $vgpr3
.LBB6_10191:                            ;   in Loop: Header=BB6_8449 Depth=2
	s_and_not1_saveexec_b32 s7, s29
	s_cbranch_execz .LBB6_10197
; %bb.10192:                            ;   in Loop: Header=BB6_8449 Depth=2
	s_mov_b32 s29, exec_lo
                                        ; implicit-def: $vgpr31
	v_cmpx_ne_u64_e32 0, v[0:1]
	s_xor_b32 s29, exec_lo, s29
; %bb.10193:                            ;   in Loop: Header=BB6_8449 Depth=2
	v_or_b32_e32 v31, 0x7f, v3
                                        ; implicit-def: $vgpr2
; %bb.10194:                            ;   in Loop: Header=BB6_8449 Depth=2
	s_and_not1_saveexec_b32 s29, s29
; %bb.10195:                            ;   in Loop: Header=BB6_8449 Depth=2
	v_cmp_lt_i32_e32 vcc_lo, -1, v2
	v_mov_b32_e32 v0, 0x7c
	s_delay_alu instid0(VALU_DEP_1)
	v_cndmask_b32_e32 v31, 0xfc, v0, vcc_lo
; %bb.10196:                            ;   in Loop: Header=BB6_8449 Depth=2
	s_or_b32 exec_lo, exec_lo, s29
.LBB6_10197:                            ;   in Loop: Header=BB6_8449 Depth=2
	s_delay_alu instid0(SALU_CYCLE_1) | instskip(SKIP_2) | instid1(VALU_DEP_1)
	s_or_b32 exec_lo, exec_lo, s7
	v_dual_mov_b32 v3, 0 :: v_dual_lshrrev_b32 v0, 16, v12
	s_mov_b32 s7, exec_lo
	v_and_b32_e32 v2, 0xff, v0
	s_delay_alu instid0(VALU_DEP_1)
	v_cmpx_ne_u16_e32 0, v2
	s_cbranch_execz .LBB6_10207
; %bb.10198:                            ;   in Loop: Header=BB6_8449 Depth=2
	v_bfrev_b32_e32 v3, 1
	s_mov_b32 s29, exec_lo
	v_cmpx_ne_u16_e32 0x80, v2
	s_cbranch_execz .LBB6_10206
; %bb.10199:                            ;   in Loop: Header=BB6_8449 Depth=2
	v_and_b32_e32 v3, 0x7c0000, v12
	v_bfe_u32 v2, v12, 16, 2
	s_delay_alu instid0(VALU_DEP_2) | instskip(SKIP_1) | instid1(SALU_CYCLE_1)
	v_cmp_ne_u32_e32 vcc_lo, 0x7c0000, v3
                                        ; implicit-def: $vgpr3
	s_and_saveexec_b32 s40, vcc_lo
	s_xor_b32 s40, exec_lo, s40
	s_cbranch_execz .LBB6_10203
; %bb.10200:                            ;   in Loop: Header=BB6_8449 Depth=2
	v_bfe_u32 v3, v12, 18, 5
	s_mov_b32 s41, exec_lo
	s_delay_alu instid0(VALU_DEP_1)
	v_cmpx_eq_u32_e32 0, v3
; %bb.10201:                            ;   in Loop: Header=BB6_8449 Depth=2
	v_clz_i32_u32_e32 v2, v2
	s_delay_alu instid0(VALU_DEP_1) | instskip(NEXT) | instid1(VALU_DEP_1)
	v_min_u32_e32 v4, 32, v2
	v_subrev_nc_u32_e32 v2, 29, v4
	s_delay_alu instid0(VALU_DEP_1) | instskip(NEXT) | instid1(VALU_DEP_1)
	v_lshlrev_b64_e32 v[2:3], v2, v[0:1]
	v_dual_sub_nc_u32 v3, 30, v4 :: v_dual_bitop2_b32 v2, 3, v2 bitop3:0x40
; %bb.10202:                            ;   in Loop: Header=BB6_8449 Depth=2
	s_or_b32 exec_lo, exec_lo, s41
	v_lshlrev_b32_e32 v0, 24, v0
	s_delay_alu instid0(VALU_DEP_1) | instskip(NEXT) | instid1(VALU_DEP_1)
	v_and_b32_e32 v0, 0x80000000, v0
	v_lshl_add_u32 v0, v3, 23, v0
	s_delay_alu instid0(VALU_DEP_1) | instskip(NEXT) | instid1(VALU_DEP_1)
	v_lshl_or_b32 v0, v2, 21, v0
                                        ; implicit-def: $vgpr2
	v_add_nc_u32_e32 v3, 0x38000000, v0
                                        ; implicit-def: $vgpr0
.LBB6_10203:                            ;   in Loop: Header=BB6_8449 Depth=2
	s_and_not1_saveexec_b32 s40, s40
; %bb.10204:                            ;   in Loop: Header=BB6_8449 Depth=2
	v_bfe_i32 v0, v0, 0, 8
	s_delay_alu instid0(VALU_DEP_1) | instskip(SKIP_1) | instid1(VALU_DEP_1)
	v_cmp_lt_i16_e32 vcc_lo, -1, v0
	v_mov_b32_e32 v0, 0x7f800000
	v_cndmask_b32_e32 v0, 0xff800000, v0, vcc_lo
	v_cmp_eq_u32_e32 vcc_lo, 0, v2
	s_delay_alu instid0(VALU_DEP_2)
	v_cndmask_b32_e32 v3, 0x7f800001, v0, vcc_lo
; %bb.10205:                            ;   in Loop: Header=BB6_8449 Depth=2
	s_or_b32 exec_lo, exec_lo, s40
.LBB6_10206:                            ;   in Loop: Header=BB6_8449 Depth=2
	s_delay_alu instid0(SALU_CYCLE_1)
	s_or_b32 exec_lo, exec_lo, s29
.LBB6_10207:                            ;   in Loop: Header=BB6_8449 Depth=2
	s_delay_alu instid0(SALU_CYCLE_1) | instskip(NEXT) | instid1(VALU_DEP_1)
	s_or_b32 exec_lo, exec_lo, s7
	v_dual_mul_f32 v2, s28, v3 :: v_dual_mov_b32 v5, v1
                                        ; implicit-def: $vgpr34
	s_mov_b32 s7, exec_lo
	s_delay_alu instid0(VALU_DEP_1) | instskip(SKIP_2) | instid1(VALU_DEP_3)
	v_and_b32_e32 v4, 0x7f800000, v2
	v_and_b32_e32 v0, 0x7fffff, v2
	v_lshrrev_b32_e32 v3, 24, v2
	v_cmpx_ne_u64_e32 0x7f800000, v[4:5]
	s_xor_b32 s29, exec_lo, s7
	s_cbranch_execz .LBB6_10221
; %bb.10208:                            ;   in Loop: Header=BB6_8449 Depth=2
	v_and_b32_e32 v4, 0x7fffffff, v2
	v_mov_b32_e32 v5, v1
	v_and_b32_e32 v8, 0x80, v3
                                        ; implicit-def: $vgpr34
	s_mov_b32 s7, exec_lo
	s_delay_alu instid0(VALU_DEP_2)
	v_cmpx_gt_u64_e32 0x47600001, v[4:5]
	s_xor_b32 s40, exec_lo, s7
	s_cbranch_execz .LBB6_10218
; %bb.10209:                            ;   in Loop: Header=BB6_8449 Depth=2
	v_mov_b32_e32 v34, 0
	s_mov_b32 s41, exec_lo
	v_cmpx_ne_u32_e32 0, v2
	s_cbranch_execz .LBB6_10217
; %bb.10210:                            ;   in Loop: Header=BB6_8449 Depth=2
	v_bfe_u32 v10, v2, 23, 8
	v_or_b32_e32 v3, 0x800000, v0
	s_delay_alu instid0(VALU_DEP_2) | instskip(SKIP_2) | instid1(VALU_DEP_2)
	v_cmp_gt_u32_e64 s7, 0x72, v10
	v_sub_nc_u32_e32 v2, 0x71, v10
	v_cmp_eq_u32_e32 vcc_lo, 0, v10
	v_cndmask_b32_e64 v2, 0, v2, s7
	s_delay_alu instid0(VALU_DEP_1) | instskip(SKIP_1) | instid1(VALU_DEP_2)
	v_cndmask_b32_e64 v11, v2, 0x70, vcc_lo
	v_dual_cndmask_b32 v2, v3, v0 :: v_dual_mov_b32 v3, v1
	v_add_nc_u32_e32 v0, 21, v11
	s_delay_alu instid0(VALU_DEP_1) | instskip(SKIP_1) | instid1(VALU_DEP_1)
	v_lshlrev_b64_e64 v[4:5], v0, -1
	v_add_nc_u32_e32 v0, 20, v11
	v_lshlrev_b64_e64 v[14:15], v0, 1
	s_delay_alu instid0(VALU_DEP_3) | instskip(SKIP_2) | instid1(VALU_DEP_1)
	v_bfi_b32 v4, v4, 0, v2
	v_lshrrev_b64 v[2:3], v11, v[2:3]
	v_bfi_b32 v5, v5, 0, 0
	v_cmp_eq_u64_e64 s7, v[4:5], v[14:15]
	s_delay_alu instid0(VALU_DEP_3)
	v_mov_b64_e32 v[4:5], v[2:3]
	s_and_saveexec_b32 s42, s7
; %bb.10211:                            ;   in Loop: Header=BB6_8449 Depth=2
	v_bfe_u32 v4, v2, 21, 1
	v_mov_b32_e32 v5, v1
	s_delay_alu instid0(VALU_DEP_1) | instskip(NEXT) | instid1(VALU_DEP_1)
	v_add_nc_u64_e32 v[4:5], v[2:3], v[4:5]
	v_add_nc_u64_e32 v[4:5], -1, v[4:5]
; %bb.10212:                            ;   in Loop: Header=BB6_8449 Depth=2
	s_or_b32 exec_lo, exec_lo, s42
	v_add_nc_u32_e32 v0, 0xffffff81, v10
	v_lshrrev_b32_e32 v3, 23, v2
	s_mov_b32 s7, exec_lo
	s_delay_alu instid0(VALU_DEP_2) | instskip(NEXT) | instid1(VALU_DEP_1)
	v_cndmask_b32_e64 v0, v0, 0xffffff82, vcc_lo
	v_add3_u32 v10, v11, v0, v3
	v_and_b32_e32 v0, 0x1fffff, v4
                                        ; implicit-def: $vgpr4
	s_delay_alu instid0(VALU_DEP_2) | instskip(NEXT) | instid1(VALU_DEP_2)
	v_add_nc_u32_e32 v5, 14, v10
	v_add_nc_u32_e32 v0, v0, v2
                                        ; implicit-def: $vgpr2_vgpr3
	s_delay_alu instid0(VALU_DEP_2)
	v_cmpx_ne_u32_e32 0, v5
	s_xor_b32 s7, exec_lo, s7
; %bb.10213:                            ;   in Loop: Header=BB6_8449 Depth=2
	s_delay_alu instid0(VALU_DEP_2) | instskip(SKIP_1) | instid1(VALU_DEP_1)
	v_cmp_lt_u64_e32 vcc_lo, 0xffffff, v[0:1]
	v_add_nc_u32_e32 v2, 15, v10
	v_cndmask_b32_e32 v4, v5, v2, vcc_lo
	v_cndmask_b32_e64 v2, 0, 1, vcc_lo
	s_delay_alu instid0(VALU_DEP_1)
	v_lshrrev_b64 v[2:3], v2, v[0:1]
; %bb.10214:                            ;   in Loop: Header=BB6_8449 Depth=2
	s_and_not1_saveexec_b32 s7, s7
; %bb.10215:                            ;   in Loop: Header=BB6_8449 Depth=2
	v_mov_b64_e32 v[2:3], v[0:1]
	v_bfe_u32 v4, v0, 23, 1
; %bb.10216:                            ;   in Loop: Header=BB6_8449 Depth=2
	s_or_b32 exec_lo, exec_lo, s7
	s_delay_alu instid0(VALU_DEP_2) | instskip(NEXT) | instid1(VALU_DEP_2)
	v_lshrrev_b64 v[2:3], 21, v[2:3]
	v_cmp_gt_i32_e32 vcc_lo, 32, v4
	v_min_i32_e32 v0, 31, v4
	v_cmp_eq_u32_e64 s7, 0, v4
	s_delay_alu instid0(VALU_DEP_2) | instskip(SKIP_1) | instid1(VALU_DEP_2)
	v_dual_cndmask_b32 v3, 0, v3 :: v_dual_lshlrev_b32 v0, 2, v0
	v_cndmask_b32_e32 v2, 3, v2, vcc_lo
	v_and_b32_e32 v0, 0xfc, v0
	s_delay_alu instid0(VALU_DEP_2) | instskip(NEXT) | instid1(VALU_DEP_2)
	v_cmp_eq_u64_e32 vcc_lo, 0, v[2:3]
	v_and_or_b32 v0, v2, 3, v0
	s_and_b32 s7, s7, vcc_lo
	s_delay_alu instid0(VALU_DEP_1) | instid1(SALU_CYCLE_1)
	v_cndmask_b32_e64 v0, v0, 0, s7
	s_delay_alu instid0(VALU_DEP_1)
	v_or_b32_e32 v34, v0, v8
.LBB6_10217:                            ;   in Loop: Header=BB6_8449 Depth=2
	s_or_b32 exec_lo, exec_lo, s41
                                        ; implicit-def: $vgpr8
.LBB6_10218:                            ;   in Loop: Header=BB6_8449 Depth=2
	s_and_not1_saveexec_b32 s7, s40
; %bb.10219:                            ;   in Loop: Header=BB6_8449 Depth=2
	v_or_b32_e32 v34, 0x7b, v8
; %bb.10220:                            ;   in Loop: Header=BB6_8449 Depth=2
	s_or_b32 exec_lo, exec_lo, s7
                                        ; implicit-def: $vgpr2
                                        ; implicit-def: $vgpr3
.LBB6_10221:                            ;   in Loop: Header=BB6_8449 Depth=2
	s_and_not1_saveexec_b32 s7, s29
	s_cbranch_execz .LBB6_10227
; %bb.10222:                            ;   in Loop: Header=BB6_8449 Depth=2
	s_mov_b32 s29, exec_lo
                                        ; implicit-def: $vgpr34
	v_cmpx_ne_u64_e32 0, v[0:1]
	s_xor_b32 s29, exec_lo, s29
; %bb.10223:                            ;   in Loop: Header=BB6_8449 Depth=2
	v_or_b32_e32 v34, 0x7f, v3
                                        ; implicit-def: $vgpr2
; %bb.10224:                            ;   in Loop: Header=BB6_8449 Depth=2
	s_and_not1_saveexec_b32 s29, s29
; %bb.10225:                            ;   in Loop: Header=BB6_8449 Depth=2
	v_cmp_lt_i32_e32 vcc_lo, -1, v2
	v_mov_b32_e32 v0, 0x7c
	s_delay_alu instid0(VALU_DEP_1)
	v_cndmask_b32_e32 v34, 0xfc, v0, vcc_lo
; %bb.10226:                            ;   in Loop: Header=BB6_8449 Depth=2
	s_or_b32 exec_lo, exec_lo, s29
.LBB6_10227:                            ;   in Loop: Header=BB6_8449 Depth=2
	s_delay_alu instid0(SALU_CYCLE_1)
	s_or_b32 exec_lo, exec_lo, s7
	v_mov_b32_e32 v2, 0
	s_mov_b32 s7, exec_lo
	v_cmpx_lt_u32_e32 0xffffff, v12
	s_cbranch_execz .LBB6_10237
; %bb.10228:                            ;   in Loop: Header=BB6_8449 Depth=2
	v_lshrrev_b32_e32 v0, 24, v12
	v_bfrev_b32_e32 v2, 1
	s_mov_b32 s29, exec_lo
	s_delay_alu instid0(VALU_DEP_2)
	v_cmpx_ne_u32_e32 0x80, v0
	s_cbranch_execz .LBB6_10236
; %bb.10229:                            ;   in Loop: Header=BB6_8449 Depth=2
	v_and_b32_e32 v2, 0x7c000000, v12
	v_bfe_u32 v3, v12, 24, 2
	s_delay_alu instid0(VALU_DEP_2) | instskip(SKIP_1) | instid1(SALU_CYCLE_1)
	v_cmp_ne_u32_e32 vcc_lo, 0x7c000000, v2
                                        ; implicit-def: $vgpr2
	s_and_saveexec_b32 s40, vcc_lo
	s_xor_b32 s40, exec_lo, s40
	s_cbranch_execz .LBB6_10233
; %bb.10230:                            ;   in Loop: Header=BB6_8449 Depth=2
	v_bfe_u32 v2, v12, 26, 5
	s_mov_b32 s41, exec_lo
	s_delay_alu instid0(VALU_DEP_1)
	v_cmpx_eq_u32_e32 0, v2
; %bb.10231:                            ;   in Loop: Header=BB6_8449 Depth=2
	v_clz_i32_u32_e32 v2, v3
	s_delay_alu instid0(VALU_DEP_1) | instskip(NEXT) | instid1(VALU_DEP_1)
	v_min_u32_e32 v2, 32, v2
	v_subrev_nc_u32_e32 v3, 29, v2
	s_delay_alu instid0(VALU_DEP_1) | instskip(NEXT) | instid1(VALU_DEP_1)
	v_lshlrev_b64_e32 v[4:5], v3, v[0:1]
	v_dual_sub_nc_u32 v2, 30, v2 :: v_dual_bitop2_b32 v3, 3, v4 bitop3:0x40
; %bb.10232:                            ;   in Loop: Header=BB6_8449 Depth=2
	s_or_b32 exec_lo, exec_lo, s41
	v_and_b32_e32 v0, 0x80000000, v12
	s_delay_alu instid0(VALU_DEP_1) | instskip(NEXT) | instid1(VALU_DEP_1)
	v_lshl_add_u32 v0, v2, 23, v0
	v_lshl_or_b32 v0, v3, 21, v0
                                        ; implicit-def: $vgpr3
	s_delay_alu instid0(VALU_DEP_1)
	v_add_nc_u32_e32 v2, 0x38000000, v0
.LBB6_10233:                            ;   in Loop: Header=BB6_8449 Depth=2
	s_and_not1_saveexec_b32 s40, s40
; %bb.10234:                            ;   in Loop: Header=BB6_8449 Depth=2
	v_cmp_lt_i32_e32 vcc_lo, -1, v12
	v_mov_b32_e32 v0, 0x7f800000
	s_delay_alu instid0(VALU_DEP_1) | instskip(SKIP_1) | instid1(VALU_DEP_2)
	v_cndmask_b32_e32 v0, 0xff800000, v0, vcc_lo
	v_cmp_eq_u32_e32 vcc_lo, 0, v3
	v_cndmask_b32_e32 v2, 0x7f800001, v0, vcc_lo
; %bb.10235:                            ;   in Loop: Header=BB6_8449 Depth=2
	s_or_b32 exec_lo, exec_lo, s40
.LBB6_10236:                            ;   in Loop: Header=BB6_8449 Depth=2
	s_delay_alu instid0(SALU_CYCLE_1)
	s_or_b32 exec_lo, exec_lo, s29
.LBB6_10237:                            ;   in Loop: Header=BB6_8449 Depth=2
	s_delay_alu instid0(SALU_CYCLE_1) | instskip(NEXT) | instid1(VALU_DEP_1)
	s_or_b32 exec_lo, exec_lo, s7
	v_dual_mul_f32 v2, s28, v2 :: v_dual_mov_b32 v5, v1
                                        ; implicit-def: $vgpr37
	s_mov_b32 s7, exec_lo
	s_delay_alu instid0(VALU_DEP_1) | instskip(SKIP_2) | instid1(VALU_DEP_3)
	v_and_b32_e32 v4, 0x7f800000, v2
	v_and_b32_e32 v0, 0x7fffff, v2
	v_lshrrev_b32_e32 v3, 24, v2
	v_cmpx_ne_u64_e32 0x7f800000, v[4:5]
	s_xor_b32 s29, exec_lo, s7
	s_cbranch_execz .LBB6_10251
; %bb.10238:                            ;   in Loop: Header=BB6_8449 Depth=2
	v_and_b32_e32 v4, 0x7fffffff, v2
	v_mov_b32_e32 v5, v1
	v_and_b32_e32 v8, 0x80, v3
                                        ; implicit-def: $vgpr37
	s_mov_b32 s7, exec_lo
	s_delay_alu instid0(VALU_DEP_2)
	v_cmpx_gt_u64_e32 0x47600001, v[4:5]
	s_xor_b32 s40, exec_lo, s7
	s_cbranch_execz .LBB6_10248
; %bb.10239:                            ;   in Loop: Header=BB6_8449 Depth=2
	v_mov_b32_e32 v37, 0
	s_mov_b32 s41, exec_lo
	v_cmpx_ne_u32_e32 0, v2
	s_cbranch_execz .LBB6_10247
; %bb.10240:                            ;   in Loop: Header=BB6_8449 Depth=2
	v_bfe_u32 v10, v2, 23, 8
	v_or_b32_e32 v3, 0x800000, v0
	s_delay_alu instid0(VALU_DEP_2) | instskip(SKIP_2) | instid1(VALU_DEP_2)
	v_cmp_gt_u32_e64 s7, 0x72, v10
	v_sub_nc_u32_e32 v2, 0x71, v10
	v_cmp_eq_u32_e32 vcc_lo, 0, v10
	v_cndmask_b32_e64 v2, 0, v2, s7
	s_delay_alu instid0(VALU_DEP_1) | instskip(SKIP_1) | instid1(VALU_DEP_2)
	v_cndmask_b32_e64 v11, v2, 0x70, vcc_lo
	v_dual_cndmask_b32 v2, v3, v0 :: v_dual_mov_b32 v3, v1
	v_add_nc_u32_e32 v0, 21, v11
	s_delay_alu instid0(VALU_DEP_1) | instskip(SKIP_1) | instid1(VALU_DEP_1)
	v_lshlrev_b64_e64 v[4:5], v0, -1
	v_add_nc_u32_e32 v0, 20, v11
	v_lshlrev_b64_e64 v[14:15], v0, 1
	s_delay_alu instid0(VALU_DEP_3) | instskip(SKIP_2) | instid1(VALU_DEP_1)
	v_bfi_b32 v4, v4, 0, v2
	v_lshrrev_b64 v[2:3], v11, v[2:3]
	v_bfi_b32 v5, v5, 0, 0
	v_cmp_eq_u64_e64 s7, v[4:5], v[14:15]
	s_delay_alu instid0(VALU_DEP_3)
	v_mov_b64_e32 v[4:5], v[2:3]
	s_and_saveexec_b32 s42, s7
; %bb.10241:                            ;   in Loop: Header=BB6_8449 Depth=2
	v_bfe_u32 v4, v2, 21, 1
	v_mov_b32_e32 v5, v1
	s_delay_alu instid0(VALU_DEP_1) | instskip(NEXT) | instid1(VALU_DEP_1)
	v_add_nc_u64_e32 v[4:5], v[2:3], v[4:5]
	v_add_nc_u64_e32 v[4:5], -1, v[4:5]
; %bb.10242:                            ;   in Loop: Header=BB6_8449 Depth=2
	s_or_b32 exec_lo, exec_lo, s42
	v_add_nc_u32_e32 v0, 0xffffff81, v10
	v_lshrrev_b32_e32 v3, 23, v2
	s_mov_b32 s7, exec_lo
	s_delay_alu instid0(VALU_DEP_2) | instskip(NEXT) | instid1(VALU_DEP_1)
	v_cndmask_b32_e64 v0, v0, 0xffffff82, vcc_lo
	v_add3_u32 v10, v11, v0, v3
	v_and_b32_e32 v0, 0x1fffff, v4
                                        ; implicit-def: $vgpr4
	s_delay_alu instid0(VALU_DEP_2) | instskip(NEXT) | instid1(VALU_DEP_2)
	v_add_nc_u32_e32 v5, 14, v10
	v_add_nc_u32_e32 v0, v0, v2
                                        ; implicit-def: $vgpr2_vgpr3
	s_delay_alu instid0(VALU_DEP_2)
	v_cmpx_ne_u32_e32 0, v5
	s_xor_b32 s7, exec_lo, s7
; %bb.10243:                            ;   in Loop: Header=BB6_8449 Depth=2
	s_delay_alu instid0(VALU_DEP_2) | instskip(SKIP_1) | instid1(VALU_DEP_1)
	v_cmp_lt_u64_e32 vcc_lo, 0xffffff, v[0:1]
	v_add_nc_u32_e32 v2, 15, v10
	v_cndmask_b32_e32 v4, v5, v2, vcc_lo
	v_cndmask_b32_e64 v2, 0, 1, vcc_lo
	s_delay_alu instid0(VALU_DEP_1)
	v_lshrrev_b64 v[2:3], v2, v[0:1]
; %bb.10244:                            ;   in Loop: Header=BB6_8449 Depth=2
	s_and_not1_saveexec_b32 s7, s7
; %bb.10245:                            ;   in Loop: Header=BB6_8449 Depth=2
	v_mov_b64_e32 v[2:3], v[0:1]
	v_bfe_u32 v4, v0, 23, 1
; %bb.10246:                            ;   in Loop: Header=BB6_8449 Depth=2
	s_or_b32 exec_lo, exec_lo, s7
	s_delay_alu instid0(VALU_DEP_2) | instskip(NEXT) | instid1(VALU_DEP_2)
	v_lshrrev_b64 v[2:3], 21, v[2:3]
	v_cmp_gt_i32_e32 vcc_lo, 32, v4
	v_min_i32_e32 v0, 31, v4
	v_cmp_eq_u32_e64 s7, 0, v4
	s_delay_alu instid0(VALU_DEP_2) | instskip(SKIP_1) | instid1(VALU_DEP_2)
	v_dual_cndmask_b32 v3, 0, v3 :: v_dual_lshlrev_b32 v0, 2, v0
	v_cndmask_b32_e32 v2, 3, v2, vcc_lo
	v_and_b32_e32 v0, 0xfc, v0
	s_delay_alu instid0(VALU_DEP_2) | instskip(NEXT) | instid1(VALU_DEP_2)
	v_cmp_eq_u64_e32 vcc_lo, 0, v[2:3]
	v_and_or_b32 v0, v2, 3, v0
	s_and_b32 s7, s7, vcc_lo
	s_delay_alu instid0(VALU_DEP_1) | instid1(SALU_CYCLE_1)
	v_cndmask_b32_e64 v0, v0, 0, s7
	s_delay_alu instid0(VALU_DEP_1)
	v_or_b32_e32 v37, v0, v8
.LBB6_10247:                            ;   in Loop: Header=BB6_8449 Depth=2
	s_or_b32 exec_lo, exec_lo, s41
                                        ; implicit-def: $vgpr8
.LBB6_10248:                            ;   in Loop: Header=BB6_8449 Depth=2
	s_and_not1_saveexec_b32 s7, s40
; %bb.10249:                            ;   in Loop: Header=BB6_8449 Depth=2
	v_or_b32_e32 v37, 0x7b, v8
; %bb.10250:                            ;   in Loop: Header=BB6_8449 Depth=2
	s_or_b32 exec_lo, exec_lo, s7
                                        ; implicit-def: $vgpr2
                                        ; implicit-def: $vgpr3
.LBB6_10251:                            ;   in Loop: Header=BB6_8449 Depth=2
	s_and_not1_saveexec_b32 s7, s29
	s_cbranch_execz .LBB6_10257
; %bb.10252:                            ;   in Loop: Header=BB6_8449 Depth=2
	s_mov_b32 s29, exec_lo
                                        ; implicit-def: $vgpr37
	v_cmpx_ne_u64_e32 0, v[0:1]
	s_xor_b32 s29, exec_lo, s29
; %bb.10253:                            ;   in Loop: Header=BB6_8449 Depth=2
	v_or_b32_e32 v37, 0x7f, v3
                                        ; implicit-def: $vgpr2
; %bb.10254:                            ;   in Loop: Header=BB6_8449 Depth=2
	s_and_not1_saveexec_b32 s29, s29
; %bb.10255:                            ;   in Loop: Header=BB6_8449 Depth=2
	v_cmp_lt_i32_e32 vcc_lo, -1, v2
	v_mov_b32_e32 v0, 0x7c
	s_delay_alu instid0(VALU_DEP_1)
	v_cndmask_b32_e32 v37, 0xfc, v0, vcc_lo
; %bb.10256:                            ;   in Loop: Header=BB6_8449 Depth=2
	s_or_b32 exec_lo, exec_lo, s29
.LBB6_10257:                            ;   in Loop: Header=BB6_8449 Depth=2
	s_delay_alu instid0(SALU_CYCLE_1) | instskip(SKIP_3) | instid1(VALU_DEP_2)
	s_or_b32 exec_lo, exec_lo, s7
	v_and_b32_e32 v2, 0xff, v13
	v_dual_mov_b32 v0, v13 :: v_dual_mov_b32 v3, 0
	s_mov_b32 s7, exec_lo
	v_cmpx_ne_u16_e32 0, v2
	s_cbranch_execz .LBB6_10267
; %bb.10258:                            ;   in Loop: Header=BB6_8449 Depth=2
	v_bfrev_b32_e32 v3, 1
	s_mov_b32 s29, exec_lo
	v_cmpx_ne_u16_e32 0x80, v2
	s_cbranch_execz .LBB6_10266
; %bb.10259:                            ;   in Loop: Header=BB6_8449 Depth=2
	v_and_b32_e32 v3, 0x7c, v13
	v_and_b32_e32 v2, 3, v13
	s_delay_alu instid0(VALU_DEP_2) | instskip(SKIP_1) | instid1(SALU_CYCLE_1)
	v_cmp_ne_u32_e32 vcc_lo, 0x7c, v3
                                        ; implicit-def: $vgpr3
	s_and_saveexec_b32 s40, vcc_lo
	s_xor_b32 s40, exec_lo, s40
	s_cbranch_execz .LBB6_10263
; %bb.10260:                            ;   in Loop: Header=BB6_8449 Depth=2
	v_bfe_u32 v3, v13, 2, 5
	s_mov_b32 s41, exec_lo
	s_delay_alu instid0(VALU_DEP_1)
	v_cmpx_eq_u32_e32 0, v3
; %bb.10261:                            ;   in Loop: Header=BB6_8449 Depth=2
	v_clz_i32_u32_e32 v2, v2
	s_delay_alu instid0(VALU_DEP_1) | instskip(NEXT) | instid1(VALU_DEP_1)
	v_min_u32_e32 v4, 32, v2
	v_subrev_nc_u32_e32 v2, 29, v4
	s_delay_alu instid0(VALU_DEP_1) | instskip(NEXT) | instid1(VALU_DEP_1)
	v_lshlrev_b64_e32 v[2:3], v2, v[0:1]
	v_dual_sub_nc_u32 v3, 30, v4 :: v_dual_bitop2_b32 v2, 3, v2 bitop3:0x40
; %bb.10262:                            ;   in Loop: Header=BB6_8449 Depth=2
	s_or_b32 exec_lo, exec_lo, s41
	v_lshlrev_b32_e32 v4, 24, v13
	s_delay_alu instid0(VALU_DEP_1) | instskip(NEXT) | instid1(VALU_DEP_1)
	v_and_b32_e32 v4, 0x80000000, v4
	v_lshl_add_u32 v3, v3, 23, v4
	s_delay_alu instid0(VALU_DEP_1) | instskip(NEXT) | instid1(VALU_DEP_1)
	v_lshl_or_b32 v2, v2, 21, v3
	v_add_nc_u32_e32 v3, 0x38000000, v2
                                        ; implicit-def: $vgpr2
.LBB6_10263:                            ;   in Loop: Header=BB6_8449 Depth=2
	s_and_not1_saveexec_b32 s40, s40
; %bb.10264:                            ;   in Loop: Header=BB6_8449 Depth=2
	v_bfe_i32 v3, v13, 0, 8
	s_delay_alu instid0(VALU_DEP_1) | instskip(SKIP_1) | instid1(VALU_DEP_1)
	v_cmp_lt_i16_e32 vcc_lo, -1, v3
	v_mov_b32_e32 v3, 0x7f800000
	v_cndmask_b32_e32 v3, 0xff800000, v3, vcc_lo
	v_cmp_eq_u32_e32 vcc_lo, 0, v2
	s_delay_alu instid0(VALU_DEP_2)
	v_cndmask_b32_e32 v3, 0x7f800001, v3, vcc_lo
; %bb.10265:                            ;   in Loop: Header=BB6_8449 Depth=2
	s_or_b32 exec_lo, exec_lo, s40
.LBB6_10266:                            ;   in Loop: Header=BB6_8449 Depth=2
	s_delay_alu instid0(SALU_CYCLE_1)
	s_or_b32 exec_lo, exec_lo, s29
.LBB6_10267:                            ;   in Loop: Header=BB6_8449 Depth=2
	s_delay_alu instid0(SALU_CYCLE_1) | instskip(NEXT) | instid1(VALU_DEP_1)
	s_or_b32 exec_lo, exec_lo, s7
	v_dual_mul_f32 v4, s28, v3 :: v_dual_mov_b32 v11, v1
	v_mov_b32_e32 v3, v1
                                        ; implicit-def: $vgpr8
	s_mov_b32 s7, exec_lo
	s_delay_alu instid0(VALU_DEP_2) | instskip(SKIP_2) | instid1(VALU_DEP_3)
	v_and_b32_e32 v10, 0x7f800000, v4
	v_and_b32_e32 v2, 0x7fffff, v4
	v_lshrrev_b32_e32 v5, 24, v4
	v_cmpx_ne_u64_e32 0x7f800000, v[10:11]
	s_xor_b32 s29, exec_lo, s7
	s_cbranch_execz .LBB6_10281
; %bb.10268:                            ;   in Loop: Header=BB6_8449 Depth=2
	v_and_b32_e32 v10, 0x7fffffff, v4
	v_mov_b32_e32 v11, v1
                                        ; implicit-def: $vgpr8
	s_delay_alu instid0(VALU_DEP_1) | instskip(SKIP_2) | instid1(SALU_CYCLE_1)
	v_cmp_gt_u64_e32 vcc_lo, 0x47600001, v[10:11]
	v_and_b32_e32 v10, 0x80, v5
	s_and_saveexec_b32 s7, vcc_lo
	s_xor_b32 s40, exec_lo, s7
	s_cbranch_execz .LBB6_10278
; %bb.10269:                            ;   in Loop: Header=BB6_8449 Depth=2
	v_mov_b32_e32 v8, 0
	s_mov_b32 s41, exec_lo
	v_cmpx_ne_u32_e32 0, v4
	s_cbranch_execz .LBB6_10277
; %bb.10270:                            ;   in Loop: Header=BB6_8449 Depth=2
	v_bfe_u32 v8, v4, 23, 8
	v_or_b32_e32 v5, 0x800000, v2
	s_delay_alu instid0(VALU_DEP_2) | instskip(SKIP_2) | instid1(VALU_DEP_2)
	v_cmp_gt_u32_e64 s7, 0x72, v8
	v_sub_nc_u32_e32 v4, 0x71, v8
	v_cmp_eq_u32_e32 vcc_lo, 0, v8
	v_dual_cndmask_b32 v4, 0, v4, s7 :: v_dual_cndmask_b32 v2, v5, v2, vcc_lo
	s_delay_alu instid0(VALU_DEP_1) | instskip(NEXT) | instid1(VALU_DEP_1)
	v_cndmask_b32_e64 v11, v4, 0x70, vcc_lo
	v_dual_add_nc_u32 v4, 21, v11 :: v_dual_add_nc_u32 v14, 20, v11
	s_delay_alu instid0(VALU_DEP_1) | instskip(NEXT) | instid1(VALU_DEP_2)
	v_lshlrev_b64_e64 v[4:5], v4, -1
	v_lshlrev_b64_e64 v[14:15], v14, 1
	s_delay_alu instid0(VALU_DEP_2) | instskip(SKIP_1) | instid1(VALU_DEP_4)
	v_bfi_b32 v4, v4, 0, v2
	v_lshrrev_b64 v[2:3], v11, v[2:3]
	v_bfi_b32 v5, v5, 0, 0
	s_delay_alu instid0(VALU_DEP_1) | instskip(NEXT) | instid1(VALU_DEP_3)
	v_cmp_eq_u64_e64 s7, v[4:5], v[14:15]
	v_mov_b64_e32 v[4:5], v[2:3]
	s_and_saveexec_b32 s42, s7
; %bb.10271:                            ;   in Loop: Header=BB6_8449 Depth=2
	v_bfe_u32 v4, v2, 21, 1
	v_mov_b32_e32 v5, v1
	s_delay_alu instid0(VALU_DEP_1) | instskip(NEXT) | instid1(VALU_DEP_1)
	v_add_nc_u64_e32 v[4:5], v[2:3], v[4:5]
	v_add_nc_u64_e32 v[4:5], -1, v[4:5]
; %bb.10272:                            ;   in Loop: Header=BB6_8449 Depth=2
	s_or_b32 exec_lo, exec_lo, s42
	v_add_nc_u32_e32 v3, 0xffffff81, v8
	v_lshrrev_b32_e32 v5, 23, v2
	s_mov_b32 s7, exec_lo
	s_delay_alu instid0(VALU_DEP_2) | instskip(NEXT) | instid1(VALU_DEP_1)
	v_cndmask_b32_e64 v3, v3, 0xffffff82, vcc_lo
	v_add3_u32 v8, v11, v3, v5
	v_and_b32_e32 v3, 0x1fffff, v4
                                        ; implicit-def: $vgpr4
	s_delay_alu instid0(VALU_DEP_1) | instskip(SKIP_1) | instid1(VALU_DEP_2)
	v_dual_add_nc_u32 v5, 14, v8 :: v_dual_add_nc_u32 v2, v3, v2
	v_mov_b32_e32 v3, v1
	v_cmpx_ne_u32_e32 0, v5
	s_xor_b32 s7, exec_lo, s7
; %bb.10273:                            ;   in Loop: Header=BB6_8449 Depth=2
	s_delay_alu instid0(VALU_DEP_2) | instskip(SKIP_1) | instid1(VALU_DEP_1)
	v_cmp_lt_u64_e32 vcc_lo, 0xffffff, v[2:3]
	v_add_nc_u32_e32 v4, 15, v8
	v_cndmask_b32_e32 v4, v5, v4, vcc_lo
	v_cndmask_b32_e64 v5, 0, 1, vcc_lo
	s_delay_alu instid0(VALU_DEP_1)
	v_lshrrev_b64 v[2:3], v5, v[2:3]
; %bb.10274:                            ;   in Loop: Header=BB6_8449 Depth=2
	s_and_not1_saveexec_b32 s7, s7
; %bb.10275:                            ;   in Loop: Header=BB6_8449 Depth=2
	s_delay_alu instid0(VALU_DEP_1)
	v_bfe_u32 v4, v2, 23, 1
; %bb.10276:                            ;   in Loop: Header=BB6_8449 Depth=2
	s_or_b32 exec_lo, exec_lo, s7
	s_delay_alu instid0(VALU_DEP_2) | instskip(NEXT) | instid1(VALU_DEP_2)
	v_lshrrev_b64 v[2:3], 21, v[2:3]
	v_cmp_gt_i32_e32 vcc_lo, 32, v4
	v_min_i32_e32 v5, 31, v4
	v_cmp_eq_u32_e64 s7, 0, v4
	s_delay_alu instid0(VALU_DEP_2) | instskip(SKIP_1) | instid1(VALU_DEP_2)
	v_dual_cndmask_b32 v3, 0, v3, vcc_lo :: v_dual_lshlrev_b32 v5, 2, v5
	v_cndmask_b32_e32 v2, 3, v2, vcc_lo
	v_and_b32_e32 v5, 0xfc, v5
	s_delay_alu instid0(VALU_DEP_2) | instskip(NEXT) | instid1(VALU_DEP_2)
	v_cmp_eq_u64_e32 vcc_lo, 0, v[2:3]
	v_and_or_b32 v2, v2, 3, v5
	s_and_b32 s7, s7, vcc_lo
	s_delay_alu instid0(VALU_DEP_1) | instid1(SALU_CYCLE_1)
	v_cndmask_b32_e64 v2, v2, 0, s7
	s_delay_alu instid0(VALU_DEP_1)
	v_or_b32_e32 v8, v2, v10
.LBB6_10277:                            ;   in Loop: Header=BB6_8449 Depth=2
	s_or_b32 exec_lo, exec_lo, s41
                                        ; implicit-def: $vgpr10
.LBB6_10278:                            ;   in Loop: Header=BB6_8449 Depth=2
	s_and_not1_saveexec_b32 s7, s40
; %bb.10279:                            ;   in Loop: Header=BB6_8449 Depth=2
	v_or_b32_e32 v8, 0x7b, v10
; %bb.10280:                            ;   in Loop: Header=BB6_8449 Depth=2
	s_or_b32 exec_lo, exec_lo, s7
                                        ; implicit-def: $vgpr4
                                        ; implicit-def: $vgpr2_vgpr3
                                        ; implicit-def: $vgpr5
.LBB6_10281:                            ;   in Loop: Header=BB6_8449 Depth=2
	s_and_not1_saveexec_b32 s7, s29
	s_cbranch_execz .LBB6_10287
; %bb.10282:                            ;   in Loop: Header=BB6_8449 Depth=2
	s_mov_b32 s29, exec_lo
                                        ; implicit-def: $vgpr8
	v_cmpx_ne_u64_e32 0, v[2:3]
	s_xor_b32 s29, exec_lo, s29
; %bb.10283:                            ;   in Loop: Header=BB6_8449 Depth=2
	v_or_b32_e32 v8, 0x7f, v5
                                        ; implicit-def: $vgpr4
; %bb.10284:                            ;   in Loop: Header=BB6_8449 Depth=2
	s_and_not1_saveexec_b32 s29, s29
; %bb.10285:                            ;   in Loop: Header=BB6_8449 Depth=2
	v_cmp_lt_i32_e32 vcc_lo, -1, v4
	v_mov_b32_e32 v2, 0x7c
	s_delay_alu instid0(VALU_DEP_1)
	v_cndmask_b32_e32 v8, 0xfc, v2, vcc_lo
; %bb.10286:                            ;   in Loop: Header=BB6_8449 Depth=2
	s_or_b32 exec_lo, exec_lo, s29
.LBB6_10287:                            ;   in Loop: Header=BB6_8449 Depth=2
	s_delay_alu instid0(SALU_CYCLE_1) | instskip(SKIP_3) | instid1(VALU_DEP_2)
	s_or_b32 exec_lo, exec_lo, s7
	v_lshrrev_b16 v2, 8, v0
	v_mov_b32_e32 v4, 0
	s_mov_b32 s7, exec_lo
	v_cmpx_ne_u16_e32 0, v2
	s_cbranch_execz .LBB6_10297
; %bb.10288:                            ;   in Loop: Header=BB6_8449 Depth=2
	v_bfrev_b32_e32 v4, 1
	s_mov_b32 s29, exec_lo
	v_cmpx_ne_u16_e32 0x80, v2
	s_cbranch_execz .LBB6_10296
; %bb.10289:                            ;   in Loop: Header=BB6_8449 Depth=2
	v_and_b32_e32 v5, 0xffff, v2
	s_delay_alu instid0(VALU_DEP_1) | instskip(SKIP_1) | instid1(VALU_DEP_2)
	v_and_b32_e32 v4, 0x7c, v5
	v_and_b32_e32 v3, 3, v5
	v_cmp_ne_u32_e32 vcc_lo, 0x7c, v4
                                        ; implicit-def: $vgpr4
	s_and_saveexec_b32 s40, vcc_lo
	s_delay_alu instid0(SALU_CYCLE_1)
	s_xor_b32 s40, exec_lo, s40
	s_cbranch_execz .LBB6_10293
; %bb.10290:                            ;   in Loop: Header=BB6_8449 Depth=2
	v_bfe_u32 v4, v5, 2, 5
	s_mov_b32 s41, exec_lo
	s_delay_alu instid0(VALU_DEP_1)
	v_cmpx_eq_u32_e32 0, v4
	s_cbranch_execz .LBB6_10292
; %bb.10291:                            ;   in Loop: Header=BB6_8449 Depth=2
	v_clz_i32_u32_e32 v3, v3
	s_delay_alu instid0(VALU_DEP_1) | instskip(SKIP_1) | instid1(VALU_DEP_2)
	v_min_u32_e32 v4, 32, v3
	v_mov_b32_e32 v3, v1
	v_subrev_nc_u32_e32 v5, 29, v4
	v_sub_nc_u32_e32 v4, 30, v4
	s_delay_alu instid0(VALU_DEP_2) | instskip(NEXT) | instid1(VALU_DEP_1)
	v_lshlrev_b64_e32 v[2:3], v5, v[2:3]
	v_and_b32_e32 v3, 3, v2
.LBB6_10292:                            ;   in Loop: Header=BB6_8449 Depth=2
	s_or_b32 exec_lo, exec_lo, s41
	v_lshlrev_b32_e32 v0, 16, v0
	s_delay_alu instid0(VALU_DEP_1) | instskip(NEXT) | instid1(VALU_DEP_1)
	v_and_b32_e32 v0, 0x80000000, v0
	v_lshl_add_u32 v0, v4, 23, v0
	s_delay_alu instid0(VALU_DEP_1) | instskip(NEXT) | instid1(VALU_DEP_1)
	v_lshl_or_b32 v0, v3, 21, v0
                                        ; implicit-def: $vgpr3
	v_add_nc_u32_e32 v4, 0x38000000, v0
.LBB6_10293:                            ;   in Loop: Header=BB6_8449 Depth=2
	s_and_not1_saveexec_b32 s40, s40
; %bb.10294:                            ;   in Loop: Header=BB6_8449 Depth=2
	v_cmp_lt_i16_e32 vcc_lo, -1, v0
	v_mov_b32_e32 v0, 0x7f800000
	s_delay_alu instid0(VALU_DEP_1) | instskip(SKIP_1) | instid1(VALU_DEP_2)
	v_cndmask_b32_e32 v0, 0xff800000, v0, vcc_lo
	v_cmp_eq_u32_e32 vcc_lo, 0, v3
	v_cndmask_b32_e32 v4, 0x7f800001, v0, vcc_lo
; %bb.10295:                            ;   in Loop: Header=BB6_8449 Depth=2
	s_or_b32 exec_lo, exec_lo, s40
.LBB6_10296:                            ;   in Loop: Header=BB6_8449 Depth=2
	s_delay_alu instid0(SALU_CYCLE_1)
	s_or_b32 exec_lo, exec_lo, s29
.LBB6_10297:                            ;   in Loop: Header=BB6_8449 Depth=2
	s_delay_alu instid0(SALU_CYCLE_1) | instskip(NEXT) | instid1(VALU_DEP_1)
	s_or_b32 exec_lo, exec_lo, s7
	v_dual_mul_f32 v2, s28, v4 :: v_dual_mov_b32 v5, v1
                                        ; implicit-def: $vgpr27
	s_mov_b32 s7, exec_lo
	s_delay_alu instid0(VALU_DEP_1) | instskip(SKIP_2) | instid1(VALU_DEP_3)
	v_and_b32_e32 v4, 0x7f800000, v2
	v_and_b32_e32 v0, 0x7fffff, v2
	v_lshrrev_b32_e32 v3, 24, v2
	v_cmpx_ne_u64_e32 0x7f800000, v[4:5]
	s_xor_b32 s29, exec_lo, s7
	s_cbranch_execz .LBB6_10311
; %bb.10298:                            ;   in Loop: Header=BB6_8449 Depth=2
	v_and_b32_e32 v4, 0x7fffffff, v2
	v_mov_b32_e32 v5, v1
	v_and_b32_e32 v10, 0x80, v3
                                        ; implicit-def: $vgpr27
	s_mov_b32 s7, exec_lo
	s_delay_alu instid0(VALU_DEP_2)
	v_cmpx_gt_u64_e32 0x47600001, v[4:5]
	s_xor_b32 s40, exec_lo, s7
	s_cbranch_execz .LBB6_10308
; %bb.10299:                            ;   in Loop: Header=BB6_8449 Depth=2
	v_mov_b32_e32 v27, 0
	s_mov_b32 s41, exec_lo
	v_cmpx_ne_u32_e32 0, v2
	s_cbranch_execz .LBB6_10307
; %bb.10300:                            ;   in Loop: Header=BB6_8449 Depth=2
	v_bfe_u32 v11, v2, 23, 8
	v_or_b32_e32 v3, 0x800000, v0
	s_delay_alu instid0(VALU_DEP_2) | instskip(SKIP_2) | instid1(VALU_DEP_2)
	v_cmp_gt_u32_e64 s7, 0x72, v11
	v_sub_nc_u32_e32 v2, 0x71, v11
	v_cmp_eq_u32_e32 vcc_lo, 0, v11
	v_cndmask_b32_e64 v2, 0, v2, s7
	s_delay_alu instid0(VALU_DEP_1) | instskip(SKIP_1) | instid1(VALU_DEP_2)
	v_cndmask_b32_e64 v14, v2, 0x70, vcc_lo
	v_dual_cndmask_b32 v2, v3, v0 :: v_dual_mov_b32 v3, v1
	v_add_nc_u32_e32 v0, 21, v14
	s_delay_alu instid0(VALU_DEP_1) | instskip(SKIP_1) | instid1(VALU_DEP_1)
	v_lshlrev_b64_e64 v[4:5], v0, -1
	v_add_nc_u32_e32 v0, 20, v14
	v_lshlrev_b64_e64 v[16:17], v0, 1
	s_delay_alu instid0(VALU_DEP_3) | instskip(SKIP_2) | instid1(VALU_DEP_1)
	v_bfi_b32 v4, v4, 0, v2
	v_lshrrev_b64 v[2:3], v14, v[2:3]
	v_bfi_b32 v5, v5, 0, 0
	v_cmp_eq_u64_e64 s7, v[4:5], v[16:17]
	s_delay_alu instid0(VALU_DEP_3)
	v_mov_b64_e32 v[4:5], v[2:3]
	s_and_saveexec_b32 s42, s7
; %bb.10301:                            ;   in Loop: Header=BB6_8449 Depth=2
	v_bfe_u32 v4, v2, 21, 1
	v_mov_b32_e32 v5, v1
	s_delay_alu instid0(VALU_DEP_1) | instskip(NEXT) | instid1(VALU_DEP_1)
	v_add_nc_u64_e32 v[4:5], v[2:3], v[4:5]
	v_add_nc_u64_e32 v[4:5], -1, v[4:5]
; %bb.10302:                            ;   in Loop: Header=BB6_8449 Depth=2
	s_or_b32 exec_lo, exec_lo, s42
	v_add_nc_u32_e32 v0, 0xffffff81, v11
	v_lshrrev_b32_e32 v3, 23, v2
	s_mov_b32 s7, exec_lo
	s_delay_alu instid0(VALU_DEP_2) | instskip(NEXT) | instid1(VALU_DEP_1)
	v_cndmask_b32_e64 v0, v0, 0xffffff82, vcc_lo
	v_add3_u32 v11, v14, v0, v3
	v_and_b32_e32 v0, 0x1fffff, v4
                                        ; implicit-def: $vgpr4
	s_delay_alu instid0(VALU_DEP_1) | instskip(NEXT) | instid1(VALU_DEP_1)
	v_dual_add_nc_u32 v5, 14, v11 :: v_dual_add_nc_u32 v0, v0, v2
                                        ; implicit-def: $vgpr2_vgpr3
	v_cmpx_ne_u32_e32 0, v5
	s_xor_b32 s7, exec_lo, s7
; %bb.10303:                            ;   in Loop: Header=BB6_8449 Depth=2
	s_delay_alu instid0(VALU_DEP_2) | instskip(SKIP_1) | instid1(VALU_DEP_1)
	v_cmp_lt_u64_e32 vcc_lo, 0xffffff, v[0:1]
	v_add_nc_u32_e32 v2, 15, v11
	v_cndmask_b32_e32 v4, v5, v2, vcc_lo
	v_cndmask_b32_e64 v2, 0, 1, vcc_lo
	s_delay_alu instid0(VALU_DEP_1)
	v_lshrrev_b64 v[2:3], v2, v[0:1]
; %bb.10304:                            ;   in Loop: Header=BB6_8449 Depth=2
	s_and_not1_saveexec_b32 s7, s7
; %bb.10305:                            ;   in Loop: Header=BB6_8449 Depth=2
	v_mov_b64_e32 v[2:3], v[0:1]
	v_bfe_u32 v4, v0, 23, 1
; %bb.10306:                            ;   in Loop: Header=BB6_8449 Depth=2
	s_or_b32 exec_lo, exec_lo, s7
	s_delay_alu instid0(VALU_DEP_2) | instskip(NEXT) | instid1(VALU_DEP_2)
	v_lshrrev_b64 v[2:3], 21, v[2:3]
	v_cmp_gt_i32_e32 vcc_lo, 32, v4
	v_min_i32_e32 v0, 31, v4
	v_cmp_eq_u32_e64 s7, 0, v4
	s_delay_alu instid0(VALU_DEP_2) | instskip(SKIP_1) | instid1(VALU_DEP_2)
	v_dual_cndmask_b32 v3, 0, v3 :: v_dual_lshlrev_b32 v0, 2, v0
	v_cndmask_b32_e32 v2, 3, v2, vcc_lo
	v_and_b32_e32 v0, 0xfc, v0
	s_delay_alu instid0(VALU_DEP_2) | instskip(NEXT) | instid1(VALU_DEP_2)
	v_cmp_eq_u64_e32 vcc_lo, 0, v[2:3]
	v_and_or_b32 v0, v2, 3, v0
	s_and_b32 s7, s7, vcc_lo
	s_delay_alu instid0(VALU_DEP_1) | instid1(SALU_CYCLE_1)
	v_cndmask_b32_e64 v0, v0, 0, s7
	s_delay_alu instid0(VALU_DEP_1)
	v_or_b32_e32 v27, v0, v10
.LBB6_10307:                            ;   in Loop: Header=BB6_8449 Depth=2
	s_or_b32 exec_lo, exec_lo, s41
                                        ; implicit-def: $vgpr10
.LBB6_10308:                            ;   in Loop: Header=BB6_8449 Depth=2
	s_and_not1_saveexec_b32 s7, s40
; %bb.10309:                            ;   in Loop: Header=BB6_8449 Depth=2
	v_or_b32_e32 v27, 0x7b, v10
; %bb.10310:                            ;   in Loop: Header=BB6_8449 Depth=2
	s_or_b32 exec_lo, exec_lo, s7
                                        ; implicit-def: $vgpr2
                                        ; implicit-def: $vgpr3
.LBB6_10311:                            ;   in Loop: Header=BB6_8449 Depth=2
	s_and_not1_saveexec_b32 s7, s29
	s_cbranch_execz .LBB6_10317
; %bb.10312:                            ;   in Loop: Header=BB6_8449 Depth=2
	s_mov_b32 s29, exec_lo
                                        ; implicit-def: $vgpr27
	v_cmpx_ne_u64_e32 0, v[0:1]
	s_xor_b32 s29, exec_lo, s29
; %bb.10313:                            ;   in Loop: Header=BB6_8449 Depth=2
	v_or_b32_e32 v27, 0x7f, v3
                                        ; implicit-def: $vgpr2
; %bb.10314:                            ;   in Loop: Header=BB6_8449 Depth=2
	s_and_not1_saveexec_b32 s29, s29
; %bb.10315:                            ;   in Loop: Header=BB6_8449 Depth=2
	v_cmp_lt_i32_e32 vcc_lo, -1, v2
	v_mov_b32_e32 v0, 0x7c
	s_delay_alu instid0(VALU_DEP_1)
	v_cndmask_b32_e32 v27, 0xfc, v0, vcc_lo
; %bb.10316:                            ;   in Loop: Header=BB6_8449 Depth=2
	s_or_b32 exec_lo, exec_lo, s29
.LBB6_10317:                            ;   in Loop: Header=BB6_8449 Depth=2
	s_delay_alu instid0(SALU_CYCLE_1) | instskip(SKIP_2) | instid1(VALU_DEP_1)
	s_or_b32 exec_lo, exec_lo, s7
	v_dual_lshrrev_b32 v0, 16, v13 :: v_dual_mov_b32 v2, 0
	s_mov_b32 s29, exec_lo
	v_and_b32_e32 v3, 0xff, v0
	s_delay_alu instid0(VALU_DEP_1)
	v_cmpx_ne_u16_e32 0, v3
	s_cbranch_execz .LBB6_10327
; %bb.10318:                            ;   in Loop: Header=BB6_8449 Depth=2
	v_bfrev_b32_e32 v2, 1
	s_mov_b32 s40, exec_lo
	v_cmpx_ne_u16_e32 0x80, v3
	s_cbranch_execz .LBB6_10326
; %bb.10319:                            ;   in Loop: Header=BB6_8449 Depth=2
	v_and_b32_e32 v2, 0x7c0000, v13
	v_bfe_u32 v3, v13, 16, 2
	s_delay_alu instid0(VALU_DEP_2) | instskip(SKIP_1) | instid1(SALU_CYCLE_1)
	v_cmp_ne_u32_e32 vcc_lo, 0x7c0000, v2
                                        ; implicit-def: $vgpr2
	s_and_saveexec_b32 s7, vcc_lo
	s_xor_b32 s7, exec_lo, s7
	s_cbranch_execz .LBB6_10323
; %bb.10320:                            ;   in Loop: Header=BB6_8449 Depth=2
	v_bfe_u32 v2, v13, 18, 5
	s_mov_b32 s41, exec_lo
	s_delay_alu instid0(VALU_DEP_1)
	v_cmpx_eq_u32_e32 0, v2
; %bb.10321:                            ;   in Loop: Header=BB6_8449 Depth=2
	v_clz_i32_u32_e32 v2, v3
	s_delay_alu instid0(VALU_DEP_1) | instskip(NEXT) | instid1(VALU_DEP_1)
	v_min_u32_e32 v2, 32, v2
	v_subrev_nc_u32_e32 v3, 29, v2
	s_delay_alu instid0(VALU_DEP_1) | instskip(NEXT) | instid1(VALU_DEP_1)
	v_lshlrev_b64_e32 v[4:5], v3, v[0:1]
	v_dual_sub_nc_u32 v2, 30, v2 :: v_dual_bitop2_b32 v3, 3, v4 bitop3:0x40
; %bb.10322:                            ;   in Loop: Header=BB6_8449 Depth=2
	s_or_b32 exec_lo, exec_lo, s41
	v_lshlrev_b32_e32 v0, 24, v0
	s_delay_alu instid0(VALU_DEP_1) | instskip(NEXT) | instid1(VALU_DEP_1)
	v_and_b32_e32 v0, 0x80000000, v0
	v_lshl_add_u32 v0, v2, 23, v0
	s_delay_alu instid0(VALU_DEP_1) | instskip(NEXT) | instid1(VALU_DEP_1)
	v_lshl_or_b32 v0, v3, 21, v0
                                        ; implicit-def: $vgpr3
	v_add_nc_u32_e32 v2, 0x38000000, v0
                                        ; implicit-def: $vgpr0
.LBB6_10323:                            ;   in Loop: Header=BB6_8449 Depth=2
	s_and_not1_saveexec_b32 s41, s7
; %bb.10324:                            ;   in Loop: Header=BB6_8449 Depth=2
	v_bfe_i32 v0, v0, 0, 8
	v_cmp_eq_u32_e32 vcc_lo, 0, v3
	s_delay_alu instid0(VALU_DEP_2) | instskip(SKIP_1) | instid1(VALU_DEP_1)
	v_cmp_lt_i16_e64 s7, -1, v0
	v_mov_b32_e32 v0, 0x7f800000
	v_cndmask_b32_e64 v0, 0xff800000, v0, s7
	s_delay_alu instid0(VALU_DEP_1)
	v_cndmask_b32_e32 v2, 0x7f800001, v0, vcc_lo
; %bb.10325:                            ;   in Loop: Header=BB6_8449 Depth=2
	s_or_b32 exec_lo, exec_lo, s41
.LBB6_10326:                            ;   in Loop: Header=BB6_8449 Depth=2
	s_delay_alu instid0(SALU_CYCLE_1)
	s_or_b32 exec_lo, exec_lo, s40
.LBB6_10327:                            ;   in Loop: Header=BB6_8449 Depth=2
	s_delay_alu instid0(SALU_CYCLE_1) | instskip(NEXT) | instid1(VALU_DEP_1)
	s_or_b32 exec_lo, exec_lo, s29
	v_dual_mul_f32 v2, s28, v2 :: v_dual_mov_b32 v5, v1
                                        ; implicit-def: $vgpr29
	s_mov_b32 s7, exec_lo
	s_delay_alu instid0(VALU_DEP_1) | instskip(SKIP_2) | instid1(VALU_DEP_3)
	v_and_b32_e32 v4, 0x7f800000, v2
	v_and_b32_e32 v0, 0x7fffff, v2
	v_lshrrev_b32_e32 v3, 24, v2
	v_cmpx_ne_u64_e32 0x7f800000, v[4:5]
	s_xor_b32 s29, exec_lo, s7
	s_cbranch_execz .LBB6_10341
; %bb.10328:                            ;   in Loop: Header=BB6_8449 Depth=2
	v_and_b32_e32 v4, 0x7fffffff, v2
	v_mov_b32_e32 v5, v1
	v_and_b32_e32 v10, 0x80, v3
                                        ; implicit-def: $vgpr29
	s_mov_b32 s7, exec_lo
	s_delay_alu instid0(VALU_DEP_2)
	v_cmpx_gt_u64_e32 0x47600001, v[4:5]
	s_xor_b32 s40, exec_lo, s7
	s_cbranch_execz .LBB6_10338
; %bb.10329:                            ;   in Loop: Header=BB6_8449 Depth=2
	v_mov_b32_e32 v29, 0
	s_mov_b32 s41, exec_lo
	v_cmpx_ne_u32_e32 0, v2
	s_cbranch_execz .LBB6_10337
; %bb.10330:                            ;   in Loop: Header=BB6_8449 Depth=2
	v_bfe_u32 v11, v2, 23, 8
	v_or_b32_e32 v3, 0x800000, v0
	s_delay_alu instid0(VALU_DEP_2) | instskip(SKIP_2) | instid1(VALU_DEP_2)
	v_cmp_gt_u32_e64 s7, 0x72, v11
	v_sub_nc_u32_e32 v2, 0x71, v11
	v_cmp_eq_u32_e32 vcc_lo, 0, v11
	v_cndmask_b32_e64 v2, 0, v2, s7
	s_delay_alu instid0(VALU_DEP_1) | instskip(SKIP_1) | instid1(VALU_DEP_2)
	v_cndmask_b32_e64 v14, v2, 0x70, vcc_lo
	v_dual_cndmask_b32 v2, v3, v0 :: v_dual_mov_b32 v3, v1
	v_add_nc_u32_e32 v0, 21, v14
	s_delay_alu instid0(VALU_DEP_1) | instskip(SKIP_1) | instid1(VALU_DEP_1)
	v_lshlrev_b64_e64 v[4:5], v0, -1
	v_add_nc_u32_e32 v0, 20, v14
	v_lshlrev_b64_e64 v[16:17], v0, 1
	s_delay_alu instid0(VALU_DEP_3) | instskip(SKIP_2) | instid1(VALU_DEP_1)
	v_bfi_b32 v4, v4, 0, v2
	v_lshrrev_b64 v[2:3], v14, v[2:3]
	v_bfi_b32 v5, v5, 0, 0
	v_cmp_eq_u64_e64 s7, v[4:5], v[16:17]
	s_delay_alu instid0(VALU_DEP_3)
	v_mov_b64_e32 v[4:5], v[2:3]
	s_and_saveexec_b32 s42, s7
; %bb.10331:                            ;   in Loop: Header=BB6_8449 Depth=2
	v_bfe_u32 v4, v2, 21, 1
	v_mov_b32_e32 v5, v1
	s_delay_alu instid0(VALU_DEP_1) | instskip(NEXT) | instid1(VALU_DEP_1)
	v_add_nc_u64_e32 v[4:5], v[2:3], v[4:5]
	v_add_nc_u64_e32 v[4:5], -1, v[4:5]
; %bb.10332:                            ;   in Loop: Header=BB6_8449 Depth=2
	s_or_b32 exec_lo, exec_lo, s42
	v_add_nc_u32_e32 v0, 0xffffff81, v11
	v_lshrrev_b32_e32 v3, 23, v2
	s_mov_b32 s7, exec_lo
	s_delay_alu instid0(VALU_DEP_2) | instskip(NEXT) | instid1(VALU_DEP_1)
	v_cndmask_b32_e64 v0, v0, 0xffffff82, vcc_lo
	v_add3_u32 v11, v14, v0, v3
	v_and_b32_e32 v0, 0x1fffff, v4
                                        ; implicit-def: $vgpr4
	s_delay_alu instid0(VALU_DEP_1) | instskip(NEXT) | instid1(VALU_DEP_1)
	v_dual_add_nc_u32 v5, 14, v11 :: v_dual_add_nc_u32 v0, v0, v2
                                        ; implicit-def: $vgpr2_vgpr3
	v_cmpx_ne_u32_e32 0, v5
	s_xor_b32 s7, exec_lo, s7
; %bb.10333:                            ;   in Loop: Header=BB6_8449 Depth=2
	s_delay_alu instid0(VALU_DEP_2) | instskip(SKIP_1) | instid1(VALU_DEP_1)
	v_cmp_lt_u64_e32 vcc_lo, 0xffffff, v[0:1]
	v_add_nc_u32_e32 v2, 15, v11
	v_cndmask_b32_e32 v4, v5, v2, vcc_lo
	v_cndmask_b32_e64 v2, 0, 1, vcc_lo
	s_delay_alu instid0(VALU_DEP_1)
	v_lshrrev_b64 v[2:3], v2, v[0:1]
; %bb.10334:                            ;   in Loop: Header=BB6_8449 Depth=2
	s_and_not1_saveexec_b32 s7, s7
; %bb.10335:                            ;   in Loop: Header=BB6_8449 Depth=2
	v_mov_b64_e32 v[2:3], v[0:1]
	v_bfe_u32 v4, v0, 23, 1
; %bb.10336:                            ;   in Loop: Header=BB6_8449 Depth=2
	s_or_b32 exec_lo, exec_lo, s7
	s_delay_alu instid0(VALU_DEP_2) | instskip(NEXT) | instid1(VALU_DEP_2)
	v_lshrrev_b64 v[2:3], 21, v[2:3]
	v_cmp_gt_i32_e32 vcc_lo, 32, v4
	v_min_i32_e32 v0, 31, v4
	v_cmp_eq_u32_e64 s7, 0, v4
	s_delay_alu instid0(VALU_DEP_2) | instskip(SKIP_1) | instid1(VALU_DEP_2)
	v_dual_cndmask_b32 v3, 0, v3 :: v_dual_lshlrev_b32 v0, 2, v0
	v_cndmask_b32_e32 v2, 3, v2, vcc_lo
	v_and_b32_e32 v0, 0xfc, v0
	s_delay_alu instid0(VALU_DEP_2) | instskip(NEXT) | instid1(VALU_DEP_2)
	v_cmp_eq_u64_e32 vcc_lo, 0, v[2:3]
	v_and_or_b32 v0, v2, 3, v0
	s_and_b32 s7, s7, vcc_lo
	s_delay_alu instid0(VALU_DEP_1) | instid1(SALU_CYCLE_1)
	v_cndmask_b32_e64 v0, v0, 0, s7
	s_delay_alu instid0(VALU_DEP_1)
	v_or_b32_e32 v29, v0, v10
.LBB6_10337:                            ;   in Loop: Header=BB6_8449 Depth=2
	s_or_b32 exec_lo, exec_lo, s41
                                        ; implicit-def: $vgpr10
.LBB6_10338:                            ;   in Loop: Header=BB6_8449 Depth=2
	s_and_not1_saveexec_b32 s7, s40
; %bb.10339:                            ;   in Loop: Header=BB6_8449 Depth=2
	v_or_b32_e32 v29, 0x7b, v10
; %bb.10340:                            ;   in Loop: Header=BB6_8449 Depth=2
	s_or_b32 exec_lo, exec_lo, s7
                                        ; implicit-def: $vgpr2
                                        ; implicit-def: $vgpr3
.LBB6_10341:                            ;   in Loop: Header=BB6_8449 Depth=2
	s_and_not1_saveexec_b32 s7, s29
	s_cbranch_execz .LBB6_10347
; %bb.10342:                            ;   in Loop: Header=BB6_8449 Depth=2
	s_mov_b32 s29, exec_lo
                                        ; implicit-def: $vgpr29
	v_cmpx_ne_u64_e32 0, v[0:1]
	s_xor_b32 s29, exec_lo, s29
; %bb.10343:                            ;   in Loop: Header=BB6_8449 Depth=2
	v_or_b32_e32 v29, 0x7f, v3
                                        ; implicit-def: $vgpr2
; %bb.10344:                            ;   in Loop: Header=BB6_8449 Depth=2
	s_and_not1_saveexec_b32 s29, s29
; %bb.10345:                            ;   in Loop: Header=BB6_8449 Depth=2
	v_cmp_lt_i32_e32 vcc_lo, -1, v2
	v_mov_b32_e32 v0, 0x7c
	s_delay_alu instid0(VALU_DEP_1)
	v_cndmask_b32_e32 v29, 0xfc, v0, vcc_lo
; %bb.10346:                            ;   in Loop: Header=BB6_8449 Depth=2
	s_or_b32 exec_lo, exec_lo, s29
.LBB6_10347:                            ;   in Loop: Header=BB6_8449 Depth=2
	s_delay_alu instid0(SALU_CYCLE_1)
	s_or_b32 exec_lo, exec_lo, s7
	v_mov_b32_e32 v2, 0
	s_mov_b32 s29, exec_lo
	v_cmpx_lt_u64_e64 s[12:13], v[12:13]
	s_cbranch_execz .LBB6_10357
; %bb.10348:                            ;   in Loop: Header=BB6_8449 Depth=2
	v_lshrrev_b32_e32 v0, 24, v13
	v_bfrev_b32_e32 v2, 1
	s_mov_b32 s40, exec_lo
	s_delay_alu instid0(VALU_DEP_2)
	v_cmpx_ne_u32_e32 0x80, v0
	s_cbranch_execz .LBB6_10356
; %bb.10349:                            ;   in Loop: Header=BB6_8449 Depth=2
	v_and_b32_e32 v2, 0x7c000000, v13
	v_bfe_u32 v3, v13, 24, 2
	s_delay_alu instid0(VALU_DEP_2) | instskip(SKIP_1) | instid1(SALU_CYCLE_1)
	v_cmp_ne_u32_e32 vcc_lo, 0x7c000000, v2
                                        ; implicit-def: $vgpr2
	s_and_saveexec_b32 s7, vcc_lo
	s_xor_b32 s7, exec_lo, s7
	s_cbranch_execz .LBB6_10353
; %bb.10350:                            ;   in Loop: Header=BB6_8449 Depth=2
	v_bfe_u32 v2, v13, 26, 5
	s_mov_b32 s41, exec_lo
	s_delay_alu instid0(VALU_DEP_1)
	v_cmpx_eq_u32_e32 0, v2
; %bb.10351:                            ;   in Loop: Header=BB6_8449 Depth=2
	v_clz_i32_u32_e32 v2, v3
	s_delay_alu instid0(VALU_DEP_1) | instskip(NEXT) | instid1(VALU_DEP_1)
	v_min_u32_e32 v2, 32, v2
	v_subrev_nc_u32_e32 v3, 29, v2
	s_delay_alu instid0(VALU_DEP_1) | instskip(NEXT) | instid1(VALU_DEP_1)
	v_lshlrev_b64_e32 v[4:5], v3, v[0:1]
	v_dual_sub_nc_u32 v2, 30, v2 :: v_dual_bitop2_b32 v3, 3, v4 bitop3:0x40
; %bb.10352:                            ;   in Loop: Header=BB6_8449 Depth=2
	s_or_b32 exec_lo, exec_lo, s41
	v_and_b32_e32 v0, 0x80000000, v13
                                        ; implicit-def: $vgpr12_vgpr13
	s_delay_alu instid0(VALU_DEP_1) | instskip(NEXT) | instid1(VALU_DEP_1)
	v_lshl_add_u32 v0, v2, 23, v0
	v_lshl_or_b32 v0, v3, 21, v0
                                        ; implicit-def: $vgpr3
	s_delay_alu instid0(VALU_DEP_1)
	v_add_nc_u32_e32 v2, 0x38000000, v0
.LBB6_10353:                            ;   in Loop: Header=BB6_8449 Depth=2
	s_and_not1_saveexec_b32 s41, s7
; %bb.10354:                            ;   in Loop: Header=BB6_8449 Depth=2
	v_cmp_lt_i64_e64 s7, -1, v[12:13]
	v_mov_b32_e32 v0, 0x7f800000
	v_cmp_eq_u32_e32 vcc_lo, 0, v3
	s_delay_alu instid0(VALU_DEP_2) | instskip(NEXT) | instid1(VALU_DEP_1)
	v_cndmask_b32_e64 v0, 0xff800000, v0, s7
	v_cndmask_b32_e32 v2, 0x7f800001, v0, vcc_lo
; %bb.10355:                            ;   in Loop: Header=BB6_8449 Depth=2
	s_or_b32 exec_lo, exec_lo, s41
.LBB6_10356:                            ;   in Loop: Header=BB6_8449 Depth=2
	s_delay_alu instid0(SALU_CYCLE_1)
	s_or_b32 exec_lo, exec_lo, s40
.LBB6_10357:                            ;   in Loop: Header=BB6_8449 Depth=2
	s_delay_alu instid0(SALU_CYCLE_1) | instskip(NEXT) | instid1(VALU_DEP_1)
	s_or_b32 exec_lo, exec_lo, s29
	v_dual_mul_f32 v2, s28, v2 :: v_dual_mov_b32 v5, v1
                                        ; implicit-def: $vgpr33
	s_mov_b32 s7, exec_lo
	s_delay_alu instid0(VALU_DEP_1) | instskip(SKIP_2) | instid1(VALU_DEP_3)
	v_and_b32_e32 v4, 0x7f800000, v2
	v_and_b32_e32 v0, 0x7fffff, v2
	v_lshrrev_b32_e32 v3, 24, v2
	v_cmpx_ne_u64_e32 0x7f800000, v[4:5]
	s_xor_b32 s28, exec_lo, s7
	s_cbranch_execz .LBB6_10371
; %bb.10358:                            ;   in Loop: Header=BB6_8449 Depth=2
	v_and_b32_e32 v4, 0x7fffffff, v2
	v_mov_b32_e32 v5, v1
	v_and_b32_e32 v10, 0x80, v3
                                        ; implicit-def: $vgpr33
	s_mov_b32 s7, exec_lo
	s_delay_alu instid0(VALU_DEP_2)
	v_cmpx_gt_u64_e32 0x47600001, v[4:5]
	s_xor_b32 s29, exec_lo, s7
	s_cbranch_execz .LBB6_10368
; %bb.10359:                            ;   in Loop: Header=BB6_8449 Depth=2
	v_mov_b32_e32 v33, 0
	s_mov_b32 s40, exec_lo
	v_cmpx_ne_u32_e32 0, v2
	s_cbranch_execz .LBB6_10367
; %bb.10360:                            ;   in Loop: Header=BB6_8449 Depth=2
	v_bfe_u32 v11, v2, 23, 8
	v_or_b32_e32 v3, 0x800000, v0
	s_delay_alu instid0(VALU_DEP_2) | instskip(SKIP_2) | instid1(VALU_DEP_2)
	v_cmp_gt_u32_e64 s7, 0x72, v11
	v_sub_nc_u32_e32 v2, 0x71, v11
	v_cmp_eq_u32_e32 vcc_lo, 0, v11
	v_cndmask_b32_e64 v2, 0, v2, s7
	s_delay_alu instid0(VALU_DEP_1) | instskip(SKIP_1) | instid1(VALU_DEP_2)
	v_cndmask_b32_e64 v12, v2, 0x70, vcc_lo
	v_dual_cndmask_b32 v2, v3, v0 :: v_dual_mov_b32 v3, v1
	v_add_nc_u32_e32 v0, 21, v12
	s_delay_alu instid0(VALU_DEP_1) | instskip(SKIP_1) | instid1(VALU_DEP_1)
	v_lshlrev_b64_e64 v[4:5], v0, -1
	v_add_nc_u32_e32 v0, 20, v12
	v_lshlrev_b64_e64 v[14:15], v0, 1
	s_delay_alu instid0(VALU_DEP_3) | instskip(SKIP_2) | instid1(VALU_DEP_1)
	v_bfi_b32 v4, v4, 0, v2
	v_lshrrev_b64 v[2:3], v12, v[2:3]
	v_bfi_b32 v5, v5, 0, 0
	v_cmp_eq_u64_e64 s7, v[4:5], v[14:15]
	s_delay_alu instid0(VALU_DEP_3)
	v_mov_b64_e32 v[4:5], v[2:3]
	s_and_saveexec_b32 s41, s7
; %bb.10361:                            ;   in Loop: Header=BB6_8449 Depth=2
	v_bfe_u32 v4, v2, 21, 1
	v_mov_b32_e32 v5, v1
	s_delay_alu instid0(VALU_DEP_1) | instskip(NEXT) | instid1(VALU_DEP_1)
	v_add_nc_u64_e32 v[4:5], v[2:3], v[4:5]
	v_add_nc_u64_e32 v[4:5], -1, v[4:5]
; %bb.10362:                            ;   in Loop: Header=BB6_8449 Depth=2
	s_or_b32 exec_lo, exec_lo, s41
	v_add_nc_u32_e32 v0, 0xffffff81, v11
	v_lshrrev_b32_e32 v3, 23, v2
	s_mov_b32 s7, exec_lo
	s_delay_alu instid0(VALU_DEP_2) | instskip(NEXT) | instid1(VALU_DEP_1)
	v_cndmask_b32_e64 v0, v0, 0xffffff82, vcc_lo
	v_add3_u32 v11, v12, v0, v3
	v_and_b32_e32 v0, 0x1fffff, v4
                                        ; implicit-def: $vgpr4
	s_delay_alu instid0(VALU_DEP_1) | instskip(NEXT) | instid1(VALU_DEP_1)
	v_dual_add_nc_u32 v5, 14, v11 :: v_dual_add_nc_u32 v0, v0, v2
                                        ; implicit-def: $vgpr2_vgpr3
	v_cmpx_ne_u32_e32 0, v5
	s_xor_b32 s7, exec_lo, s7
; %bb.10363:                            ;   in Loop: Header=BB6_8449 Depth=2
	s_delay_alu instid0(VALU_DEP_2) | instskip(SKIP_1) | instid1(VALU_DEP_1)
	v_cmp_lt_u64_e32 vcc_lo, 0xffffff, v[0:1]
	v_add_nc_u32_e32 v2, 15, v11
	v_cndmask_b32_e32 v4, v5, v2, vcc_lo
	v_cndmask_b32_e64 v2, 0, 1, vcc_lo
	s_delay_alu instid0(VALU_DEP_1)
	v_lshrrev_b64 v[2:3], v2, v[0:1]
; %bb.10364:                            ;   in Loop: Header=BB6_8449 Depth=2
	s_and_not1_saveexec_b32 s7, s7
; %bb.10365:                            ;   in Loop: Header=BB6_8449 Depth=2
	v_mov_b64_e32 v[2:3], v[0:1]
	v_bfe_u32 v4, v0, 23, 1
; %bb.10366:                            ;   in Loop: Header=BB6_8449 Depth=2
	s_or_b32 exec_lo, exec_lo, s7
	s_delay_alu instid0(VALU_DEP_2) | instskip(NEXT) | instid1(VALU_DEP_2)
	v_lshrrev_b64 v[2:3], 21, v[2:3]
	v_cmp_gt_i32_e32 vcc_lo, 32, v4
	v_min_i32_e32 v0, 31, v4
	v_cmp_eq_u32_e64 s7, 0, v4
	s_delay_alu instid0(VALU_DEP_2) | instskip(SKIP_1) | instid1(VALU_DEP_2)
	v_dual_cndmask_b32 v3, 0, v3 :: v_dual_lshlrev_b32 v0, 2, v0
	v_cndmask_b32_e32 v2, 3, v2, vcc_lo
	v_and_b32_e32 v0, 0xfc, v0
	s_delay_alu instid0(VALU_DEP_2) | instskip(NEXT) | instid1(VALU_DEP_2)
	v_cmp_eq_u64_e32 vcc_lo, 0, v[2:3]
	v_and_or_b32 v0, v2, 3, v0
	s_and_b32 s7, s7, vcc_lo
	s_delay_alu instid0(VALU_DEP_1) | instid1(SALU_CYCLE_1)
	v_cndmask_b32_e64 v0, v0, 0, s7
	s_delay_alu instid0(VALU_DEP_1)
	v_or_b32_e32 v33, v0, v10
.LBB6_10367:                            ;   in Loop: Header=BB6_8449 Depth=2
	s_or_b32 exec_lo, exec_lo, s40
                                        ; implicit-def: $vgpr10
.LBB6_10368:                            ;   in Loop: Header=BB6_8449 Depth=2
	s_and_not1_saveexec_b32 s7, s29
; %bb.10369:                            ;   in Loop: Header=BB6_8449 Depth=2
	v_or_b32_e32 v33, 0x7b, v10
; %bb.10370:                            ;   in Loop: Header=BB6_8449 Depth=2
	s_or_b32 exec_lo, exec_lo, s7
                                        ; implicit-def: $vgpr2
                                        ; implicit-def: $vgpr3
.LBB6_10371:                            ;   in Loop: Header=BB6_8449 Depth=2
	s_and_not1_saveexec_b32 s7, s28
	s_cbranch_execz .LBB6_10377
; %bb.10372:                            ;   in Loop: Header=BB6_8449 Depth=2
	s_mov_b32 s28, exec_lo
                                        ; implicit-def: $vgpr33
	v_cmpx_ne_u64_e32 0, v[0:1]
	s_xor_b32 s28, exec_lo, s28
; %bb.10373:                            ;   in Loop: Header=BB6_8449 Depth=2
	v_or_b32_e32 v33, 0x7f, v3
                                        ; implicit-def: $vgpr2
; %bb.10374:                            ;   in Loop: Header=BB6_8449 Depth=2
	s_and_not1_saveexec_b32 s28, s28
; %bb.10375:                            ;   in Loop: Header=BB6_8449 Depth=2
	v_cmp_lt_i32_e32 vcc_lo, -1, v2
	v_mov_b32_e32 v0, 0x7c
	s_delay_alu instid0(VALU_DEP_1)
	v_cndmask_b32_e32 v33, 0xfc, v0, vcc_lo
; %bb.10376:                            ;   in Loop: Header=BB6_8449 Depth=2
	s_or_b32 exec_lo, exec_lo, s28
.LBB6_10377:                            ;   in Loop: Header=BB6_8449 Depth=2
	s_delay_alu instid0(SALU_CYCLE_1)
	s_or_b32 exec_lo, exec_lo, s7
	s_clause 0x3
	global_load_b128 v[22:25], v[102:103], off th:TH_LOAD_NT
	global_load_b128 v[18:21], v[102:103], off offset:512 th:TH_LOAD_NT
	global_load_b128 v[14:17], v[102:103], off offset:1024 th:TH_LOAD_NT
	;; [unrolled: 1-line block ×3, first 2 shown]
	v_lshl_or_b32 v9, v9, 8, v7
	v_lshlrev_b32_e32 v0, 16, v28
	v_dual_mov_b32 v3, 0 :: v_dual_lshlrev_b32 v2, 24, v32
	s_mov_b32 s28, exec_lo
	s_delay_alu instid0(VALU_DEP_1)
	v_or3_b32 v0, v0, v2, v9
	v_mov_b32_e32 v2, 0
	s_wait_xcnt 0x0
	v_cmpx_ne_u32_e32 0, v7
	s_cbranch_execz .LBB6_10387
; %bb.10378:                            ;   in Loop: Header=BB6_8449 Depth=2
	v_bfrev_b32_e32 v3, 1
	s_mov_b32 s29, exec_lo
	v_cmpx_ne_u32_e32 0x80, v7
	s_cbranch_execz .LBB6_10386
; %bb.10379:                            ;   in Loop: Header=BB6_8449 Depth=2
	v_and_b32_e32 v3, 0x7c, v7
	v_and_b32_e32 v4, 3, v7
	s_delay_alu instid0(VALU_DEP_2) | instskip(SKIP_1) | instid1(SALU_CYCLE_1)
	v_cmp_ne_u32_e32 vcc_lo, 0x7c, v3
                                        ; implicit-def: $vgpr3
	s_and_saveexec_b32 s7, vcc_lo
	s_xor_b32 s7, exec_lo, s7
	s_cbranch_execz .LBB6_10383
; %bb.10380:                            ;   in Loop: Header=BB6_8449 Depth=2
	v_bfe_u32 v3, v7, 2, 5
	s_mov_b32 s40, exec_lo
	s_delay_alu instid0(VALU_DEP_1)
	v_cmpx_eq_u32_e32 0, v3
; %bb.10381:                            ;   in Loop: Header=BB6_8449 Depth=2
	v_clz_i32_u32_e32 v3, v4
	s_delay_alu instid0(VALU_DEP_1) | instskip(NEXT) | instid1(VALU_DEP_1)
	v_min_u32_e32 v3, 32, v3
	v_subrev_nc_u32_e32 v4, 29, v3
	s_delay_alu instid0(VALU_DEP_1) | instskip(NEXT) | instid1(VALU_DEP_1)
	v_lshlrev_b64_e32 v[4:5], v4, v[0:1]
	v_dual_sub_nc_u32 v3, 30, v3 :: v_dual_bitop2_b32 v4, 3, v4 bitop3:0x40
; %bb.10382:                            ;   in Loop: Header=BB6_8449 Depth=2
	s_or_b32 exec_lo, exec_lo, s40
	v_lshlrev_b32_e32 v5, 24, v7
                                        ; implicit-def: $vgpr7
	s_delay_alu instid0(VALU_DEP_1) | instskip(NEXT) | instid1(VALU_DEP_1)
	v_and_b32_e32 v5, 0x80000000, v5
	v_lshl_add_u32 v3, v3, 23, v5
	s_delay_alu instid0(VALU_DEP_1) | instskip(NEXT) | instid1(VALU_DEP_1)
	v_lshl_or_b32 v3, v4, 21, v3
                                        ; implicit-def: $vgpr4
	v_add_nc_u32_e32 v3, 0x38000000, v3
.LBB6_10383:                            ;   in Loop: Header=BB6_8449 Depth=2
	s_and_not1_saveexec_b32 s40, s7
; %bb.10384:                            ;   in Loop: Header=BB6_8449 Depth=2
	v_and_b32_e32 v3, 0x80, v7
	v_cmp_eq_u32_e32 vcc_lo, 0, v4
	s_delay_alu instid0(VALU_DEP_2) | instskip(SKIP_1) | instid1(VALU_DEP_1)
	v_cmp_eq_u32_e64 s7, 0, v3
	v_mov_b32_e32 v3, 0x7f800000
	v_cndmask_b32_e64 v3, 0xff800000, v3, s7
	s_delay_alu instid0(VALU_DEP_1)
	v_cndmask_b32_e32 v3, 0x7f800001, v3, vcc_lo
; %bb.10385:                            ;   in Loop: Header=BB6_8449 Depth=2
	s_or_b32 exec_lo, exec_lo, s40
.LBB6_10386:                            ;   in Loop: Header=BB6_8449 Depth=2
	s_delay_alu instid0(SALU_CYCLE_1)
	s_or_b32 exec_lo, exec_lo, s29
.LBB6_10387:                            ;   in Loop: Header=BB6_8449 Depth=2
	s_delay_alu instid0(SALU_CYCLE_1) | instskip(SKIP_3) | instid1(VALU_DEP_1)
	s_or_b32 exec_lo, exec_lo, s28
	s_wait_loadcnt 0x3
	v_and_b32_e32 v4, 0xff, v22
	s_mov_b32 s28, exec_lo
	v_cmpx_ne_u16_e32 0, v4
	s_cbranch_execz .LBB6_10397
; %bb.10388:                            ;   in Loop: Header=BB6_8449 Depth=2
	v_bfe_i32 v5, v22, 0, 8
	v_bfrev_b32_e32 v2, 1
	s_mov_b32 s29, exec_lo
	s_delay_alu instid0(VALU_DEP_2)
	v_cmpx_ne_u16_e32 0xff80, v5
	s_cbranch_execz .LBB6_10396
; %bb.10389:                            ;   in Loop: Header=BB6_8449 Depth=2
	v_and_b32_e32 v2, 0x7c, v22
	v_and_b32_e32 v4, 3, v22
	s_delay_alu instid0(VALU_DEP_2) | instskip(SKIP_1) | instid1(SALU_CYCLE_1)
	v_cmp_ne_u32_e32 vcc_lo, 0x7c, v2
                                        ; implicit-def: $vgpr2
	s_and_saveexec_b32 s7, vcc_lo
	s_xor_b32 s7, exec_lo, s7
	s_cbranch_execz .LBB6_10393
; %bb.10390:                            ;   in Loop: Header=BB6_8449 Depth=2
	v_bfe_u32 v2, v22, 2, 5
	s_mov_b32 s40, exec_lo
	s_delay_alu instid0(VALU_DEP_1)
	v_cmpx_eq_u32_e32 0, v2
; %bb.10391:                            ;   in Loop: Header=BB6_8449 Depth=2
	v_clz_i32_u32_e32 v2, v4
	s_delay_alu instid0(VALU_DEP_1) | instskip(NEXT) | instid1(VALU_DEP_1)
	v_min_u32_e32 v2, 32, v2
	v_subrev_nc_u32_e32 v4, 29, v2
	s_delay_alu instid0(VALU_DEP_1) | instskip(NEXT) | instid1(VALU_DEP_1)
	v_lshlrev_b64_e32 v[4:5], v4, v[22:23]
	v_dual_sub_nc_u32 v2, 30, v2 :: v_dual_bitop2_b32 v4, 3, v4 bitop3:0x40
; %bb.10392:                            ;   in Loop: Header=BB6_8449 Depth=2
	s_or_b32 exec_lo, exec_lo, s40
	v_lshlrev_b32_e32 v5, 24, v22
	s_delay_alu instid0(VALU_DEP_1) | instskip(NEXT) | instid1(VALU_DEP_1)
	v_and_b32_e32 v5, 0x80000000, v5
	v_lshl_add_u32 v2, v2, 23, v5
                                        ; implicit-def: $vgpr5
	s_delay_alu instid0(VALU_DEP_1) | instskip(NEXT) | instid1(VALU_DEP_1)
	v_lshl_or_b32 v2, v4, 21, v2
                                        ; implicit-def: $vgpr4
	v_add_nc_u32_e32 v2, 0x38000000, v2
.LBB6_10393:                            ;   in Loop: Header=BB6_8449 Depth=2
	s_and_not1_saveexec_b32 s40, s7
; %bb.10394:                            ;   in Loop: Header=BB6_8449 Depth=2
	v_cmp_lt_i16_e64 s7, -1, v5
	v_mov_b32_e32 v2, 0x7f800000
	v_cmp_eq_u32_e32 vcc_lo, 0, v4
	s_delay_alu instid0(VALU_DEP_2) | instskip(NEXT) | instid1(VALU_DEP_1)
	v_cndmask_b32_e64 v2, 0xff800000, v2, s7
	v_cndmask_b32_e32 v2, 0x7f800001, v2, vcc_lo
; %bb.10395:                            ;   in Loop: Header=BB6_8449 Depth=2
	s_or_b32 exec_lo, exec_lo, s40
.LBB6_10396:                            ;   in Loop: Header=BB6_8449 Depth=2
	s_delay_alu instid0(SALU_CYCLE_1)
	s_or_b32 exec_lo, exec_lo, s29
.LBB6_10397:                            ;   in Loop: Header=BB6_8449 Depth=2
	s_delay_alu instid0(SALU_CYCLE_1) | instskip(NEXT) | instid1(VALU_DEP_1)
	s_or_b32 exec_lo, exec_lo, s28
	v_dual_add_f32 v4, v3, v2 :: v_dual_mov_b32 v75, v1
	v_mov_b32_e32 v3, v1
                                        ; implicit-def: $vgpr7
	s_mov_b32 s7, exec_lo
	s_delay_alu instid0(VALU_DEP_2) | instskip(SKIP_2) | instid1(VALU_DEP_3)
	v_and_b32_e32 v74, 0x7f800000, v4
	v_and_b32_e32 v2, 0x7fffff, v4
	v_lshrrev_b32_e32 v5, 24, v4
	v_cmpx_ne_u64_e32 0x7f800000, v[74:75]
	s_xor_b32 s28, exec_lo, s7
	s_cbranch_execz .LBB6_10411
; %bb.10398:                            ;   in Loop: Header=BB6_8449 Depth=2
	v_and_b32_e32 v74, 0x7fffffff, v4
	v_mov_b32_e32 v75, v1
	v_and_b32_e32 v28, 0x80, v5
                                        ; implicit-def: $vgpr7
	s_mov_b32 s7, exec_lo
	s_delay_alu instid0(VALU_DEP_2)
	v_cmpx_gt_u64_e32 0x47600001, v[74:75]
	s_xor_b32 s29, exec_lo, s7
	s_cbranch_execz .LBB6_10408
; %bb.10399:                            ;   in Loop: Header=BB6_8449 Depth=2
	v_mov_b32_e32 v7, 0
	s_mov_b32 s40, exec_lo
	v_cmpx_ne_u32_e32 0, v4
	s_cbranch_execz .LBB6_10407
; %bb.10400:                            ;   in Loop: Header=BB6_8449 Depth=2
	v_bfe_u32 v7, v4, 23, 8
	v_or_b32_e32 v5, 0x800000, v2
	s_delay_alu instid0(VALU_DEP_2) | instskip(SKIP_2) | instid1(VALU_DEP_2)
	v_cmp_gt_u32_e64 s7, 0x72, v7
	v_sub_nc_u32_e32 v4, 0x71, v7
	v_cmp_eq_u32_e32 vcc_lo, 0, v7
	v_dual_cndmask_b32 v4, 0, v4, s7 :: v_dual_cndmask_b32 v2, v5, v2, vcc_lo
	s_delay_alu instid0(VALU_DEP_1) | instskip(NEXT) | instid1(VALU_DEP_1)
	v_cndmask_b32_e64 v32, v4, 0x70, vcc_lo
	v_dual_add_nc_u32 v4, 21, v32 :: v_dual_add_nc_u32 v73, 20, v32
	s_delay_alu instid0(VALU_DEP_1) | instskip(NEXT) | instid1(VALU_DEP_2)
	v_lshlrev_b64_e64 v[4:5], v4, -1
	v_lshlrev_b64_e64 v[74:75], v73, 1
	s_delay_alu instid0(VALU_DEP_2) | instskip(SKIP_1) | instid1(VALU_DEP_4)
	v_bfi_b32 v4, v4, 0, v2
	v_lshrrev_b64 v[2:3], v32, v[2:3]
	v_bfi_b32 v5, v5, 0, 0
	s_delay_alu instid0(VALU_DEP_1) | instskip(NEXT) | instid1(VALU_DEP_3)
	v_cmp_eq_u64_e64 s7, v[4:5], v[74:75]
	v_mov_b64_e32 v[4:5], v[2:3]
	s_and_saveexec_b32 s41, s7
; %bb.10401:                            ;   in Loop: Header=BB6_8449 Depth=2
	v_bfe_u32 v4, v2, 21, 1
	v_mov_b32_e32 v5, v1
	s_delay_alu instid0(VALU_DEP_1) | instskip(NEXT) | instid1(VALU_DEP_1)
	v_add_nc_u64_e32 v[4:5], v[2:3], v[4:5]
	v_add_nc_u64_e32 v[4:5], -1, v[4:5]
; %bb.10402:                            ;   in Loop: Header=BB6_8449 Depth=2
	s_or_b32 exec_lo, exec_lo, s41
	v_add_nc_u32_e32 v3, 0xffffff81, v7
	v_lshrrev_b32_e32 v5, 23, v2
	s_mov_b32 s7, exec_lo
	s_delay_alu instid0(VALU_DEP_2) | instskip(NEXT) | instid1(VALU_DEP_1)
	v_cndmask_b32_e64 v3, v3, 0xffffff82, vcc_lo
	v_add3_u32 v7, v32, v3, v5
	v_and_b32_e32 v3, 0x1fffff, v4
                                        ; implicit-def: $vgpr4
	s_delay_alu instid0(VALU_DEP_1) | instskip(SKIP_1) | instid1(VALU_DEP_2)
	v_dual_add_nc_u32 v5, 14, v7 :: v_dual_add_nc_u32 v2, v3, v2
	v_mov_b32_e32 v3, v1
	v_cmpx_ne_u32_e32 0, v5
	s_xor_b32 s7, exec_lo, s7
; %bb.10403:                            ;   in Loop: Header=BB6_8449 Depth=2
	s_delay_alu instid0(VALU_DEP_2) | instskip(SKIP_1) | instid1(VALU_DEP_1)
	v_cmp_lt_u64_e32 vcc_lo, 0xffffff, v[2:3]
	v_add_nc_u32_e32 v4, 15, v7
	v_cndmask_b32_e32 v4, v5, v4, vcc_lo
	v_cndmask_b32_e64 v5, 0, 1, vcc_lo
	s_delay_alu instid0(VALU_DEP_1)
	v_lshrrev_b64 v[2:3], v5, v[2:3]
; %bb.10404:                            ;   in Loop: Header=BB6_8449 Depth=2
	s_and_not1_saveexec_b32 s7, s7
; %bb.10405:                            ;   in Loop: Header=BB6_8449 Depth=2
	s_delay_alu instid0(VALU_DEP_1)
	v_bfe_u32 v4, v2, 23, 1
; %bb.10406:                            ;   in Loop: Header=BB6_8449 Depth=2
	s_or_b32 exec_lo, exec_lo, s7
	s_delay_alu instid0(VALU_DEP_2) | instskip(NEXT) | instid1(VALU_DEP_2)
	v_lshrrev_b64 v[2:3], 21, v[2:3]
	v_cmp_gt_i32_e32 vcc_lo, 32, v4
	v_min_i32_e32 v5, 31, v4
	v_cmp_eq_u32_e64 s7, 0, v4
	s_delay_alu instid0(VALU_DEP_2) | instskip(SKIP_1) | instid1(VALU_DEP_2)
	v_dual_cndmask_b32 v3, 0, v3, vcc_lo :: v_dual_lshlrev_b32 v5, 2, v5
	v_cndmask_b32_e32 v2, 3, v2, vcc_lo
	v_and_b32_e32 v5, 0xfc, v5
	s_delay_alu instid0(VALU_DEP_2) | instskip(NEXT) | instid1(VALU_DEP_2)
	v_cmp_eq_u64_e32 vcc_lo, 0, v[2:3]
	v_and_or_b32 v2, v2, 3, v5
	s_and_b32 s7, s7, vcc_lo
	s_delay_alu instid0(VALU_DEP_1) | instid1(SALU_CYCLE_1)
	v_cndmask_b32_e64 v2, v2, 0, s7
	s_delay_alu instid0(VALU_DEP_1)
	v_or_b32_e32 v7, v2, v28
.LBB6_10407:                            ;   in Loop: Header=BB6_8449 Depth=2
	s_or_b32 exec_lo, exec_lo, s40
                                        ; implicit-def: $vgpr28
.LBB6_10408:                            ;   in Loop: Header=BB6_8449 Depth=2
	s_and_not1_saveexec_b32 s7, s29
; %bb.10409:                            ;   in Loop: Header=BB6_8449 Depth=2
	v_or_b32_e32 v7, 0x7b, v28
; %bb.10410:                            ;   in Loop: Header=BB6_8449 Depth=2
	s_or_b32 exec_lo, exec_lo, s7
                                        ; implicit-def: $vgpr4
                                        ; implicit-def: $vgpr2_vgpr3
                                        ; implicit-def: $vgpr5
.LBB6_10411:                            ;   in Loop: Header=BB6_8449 Depth=2
	s_and_not1_saveexec_b32 s7, s28
	s_cbranch_execz .LBB6_10417
; %bb.10412:                            ;   in Loop: Header=BB6_8449 Depth=2
	s_mov_b32 s28, exec_lo
                                        ; implicit-def: $vgpr7
	v_cmpx_ne_u64_e32 0, v[2:3]
	s_xor_b32 s28, exec_lo, s28
; %bb.10413:                            ;   in Loop: Header=BB6_8449 Depth=2
	v_or_b32_e32 v7, 0x7f, v5
                                        ; implicit-def: $vgpr4
; %bb.10414:                            ;   in Loop: Header=BB6_8449 Depth=2
	s_and_not1_saveexec_b32 s28, s28
; %bb.10415:                            ;   in Loop: Header=BB6_8449 Depth=2
	v_cmp_lt_i32_e32 vcc_lo, -1, v4
	v_mov_b32_e32 v2, 0x7c
	s_delay_alu instid0(VALU_DEP_1)
	v_cndmask_b32_e32 v7, 0xfc, v2, vcc_lo
; %bb.10416:                            ;   in Loop: Header=BB6_8449 Depth=2
	s_or_b32 exec_lo, exec_lo, s28
.LBB6_10417:                            ;   in Loop: Header=BB6_8449 Depth=2
	s_delay_alu instid0(SALU_CYCLE_1) | instskip(SKIP_3) | instid1(VALU_DEP_2)
	s_or_b32 exec_lo, exec_lo, s7
	v_lshrrev_b16 v2, 8, v9
	v_dual_mov_b32 v4, 0 :: v_dual_mov_b32 v5, 0
	s_mov_b32 s28, exec_lo
	v_cmpx_ne_u16_e32 0, v2
	s_cbranch_execz .LBB6_10427
; %bb.10418:                            ;   in Loop: Header=BB6_8449 Depth=2
	v_bfrev_b32_e32 v5, 1
	s_mov_b32 s29, exec_lo
	v_cmpx_ne_u16_e32 0x80, v2
	s_cbranch_execz .LBB6_10426
; %bb.10419:                            ;   in Loop: Header=BB6_8449 Depth=2
	v_and_b32_e32 v28, 0xffff, v2
	s_delay_alu instid0(VALU_DEP_1) | instskip(SKIP_1) | instid1(VALU_DEP_2)
	v_and_b32_e32 v5, 0x7c, v28
	v_and_b32_e32 v3, 3, v28
	v_cmp_ne_u32_e32 vcc_lo, 0x7c, v5
                                        ; implicit-def: $vgpr5
	s_and_saveexec_b32 s7, vcc_lo
	s_delay_alu instid0(SALU_CYCLE_1)
	s_xor_b32 s7, exec_lo, s7
	s_cbranch_execz .LBB6_10423
; %bb.10420:                            ;   in Loop: Header=BB6_8449 Depth=2
	v_bfe_u32 v5, v28, 2, 5
	s_mov_b32 s40, exec_lo
	s_delay_alu instid0(VALU_DEP_1)
	v_cmpx_eq_u32_e32 0, v5
	s_cbranch_execz .LBB6_10422
; %bb.10421:                            ;   in Loop: Header=BB6_8449 Depth=2
	v_clz_i32_u32_e32 v3, v3
	s_delay_alu instid0(VALU_DEP_1) | instskip(SKIP_1) | instid1(VALU_DEP_2)
	v_min_u32_e32 v5, 32, v3
	v_mov_b32_e32 v3, v1
	v_subrev_nc_u32_e32 v28, 29, v5
	v_sub_nc_u32_e32 v5, 30, v5
	s_delay_alu instid0(VALU_DEP_2) | instskip(NEXT) | instid1(VALU_DEP_1)
	v_lshlrev_b64_e32 v[2:3], v28, v[2:3]
	v_and_b32_e32 v3, 3, v2
.LBB6_10422:                            ;   in Loop: Header=BB6_8449 Depth=2
	s_or_b32 exec_lo, exec_lo, s40
	v_lshlrev_b32_e32 v2, 16, v9
                                        ; implicit-def: $vgpr9
	s_delay_alu instid0(VALU_DEP_1) | instskip(NEXT) | instid1(VALU_DEP_1)
	v_and_b32_e32 v2, 0x80000000, v2
	v_lshl_add_u32 v2, v5, 23, v2
	s_delay_alu instid0(VALU_DEP_1) | instskip(NEXT) | instid1(VALU_DEP_1)
	v_lshl_or_b32 v2, v3, 21, v2
                                        ; implicit-def: $vgpr3
	v_add_nc_u32_e32 v5, 0x38000000, v2
.LBB6_10423:                            ;   in Loop: Header=BB6_8449 Depth=2
	s_and_not1_saveexec_b32 s40, s7
; %bb.10424:                            ;   in Loop: Header=BB6_8449 Depth=2
	v_cmp_lt_i16_e64 s7, -1, v9
	v_mov_b32_e32 v2, 0x7f800000
	v_cmp_eq_u32_e32 vcc_lo, 0, v3
	s_delay_alu instid0(VALU_DEP_2) | instskip(NEXT) | instid1(VALU_DEP_1)
	v_cndmask_b32_e64 v2, 0xff800000, v2, s7
	v_cndmask_b32_e32 v5, 0x7f800001, v2, vcc_lo
; %bb.10425:                            ;   in Loop: Header=BB6_8449 Depth=2
	s_or_b32 exec_lo, exec_lo, s40
.LBB6_10426:                            ;   in Loop: Header=BB6_8449 Depth=2
	s_delay_alu instid0(SALU_CYCLE_1)
	s_or_b32 exec_lo, exec_lo, s29
.LBB6_10427:                            ;   in Loop: Header=BB6_8449 Depth=2
	s_delay_alu instid0(SALU_CYCLE_1) | instskip(SKIP_2) | instid1(VALU_DEP_1)
	s_or_b32 exec_lo, exec_lo, s28
	v_lshrrev_b16 v2, 8, v22
	s_mov_b32 s28, exec_lo
	v_cmpx_ne_u16_e32 0, v2
	s_cbranch_execz .LBB6_10437
; %bb.10428:                            ;   in Loop: Header=BB6_8449 Depth=2
	v_bfrev_b32_e32 v4, 1
	s_mov_b32 s29, exec_lo
	v_cmpx_ne_u16_e32 0x80, v2
	s_cbranch_execz .LBB6_10436
; %bb.10429:                            ;   in Loop: Header=BB6_8449 Depth=2
	v_and_b32_e32 v9, 0xffff, v2
	s_delay_alu instid0(VALU_DEP_1) | instskip(SKIP_1) | instid1(VALU_DEP_2)
	v_and_b32_e32 v4, 0x7c, v9
	v_and_b32_e32 v3, 3, v9
	v_cmp_ne_u32_e32 vcc_lo, 0x7c, v4
                                        ; implicit-def: $vgpr4
	s_and_saveexec_b32 s7, vcc_lo
	s_delay_alu instid0(SALU_CYCLE_1)
	s_xor_b32 s7, exec_lo, s7
	s_cbranch_execz .LBB6_10433
; %bb.10430:                            ;   in Loop: Header=BB6_8449 Depth=2
	v_bfe_u32 v4, v9, 2, 5
	s_mov_b32 s40, exec_lo
	s_delay_alu instid0(VALU_DEP_1)
	v_cmpx_eq_u32_e32 0, v4
	s_cbranch_execz .LBB6_10432
; %bb.10431:                            ;   in Loop: Header=BB6_8449 Depth=2
	v_clz_i32_u32_e32 v3, v3
	s_delay_alu instid0(VALU_DEP_1) | instskip(SKIP_1) | instid1(VALU_DEP_2)
	v_min_u32_e32 v4, 32, v3
	v_mov_b32_e32 v3, v1
	v_subrev_nc_u32_e32 v9, 29, v4
	v_sub_nc_u32_e32 v4, 30, v4
	s_delay_alu instid0(VALU_DEP_2) | instskip(NEXT) | instid1(VALU_DEP_1)
	v_lshlrev_b64_e32 v[2:3], v9, v[2:3]
	v_and_b32_e32 v3, 3, v2
.LBB6_10432:                            ;   in Loop: Header=BB6_8449 Depth=2
	s_or_b32 exec_lo, exec_lo, s40
	v_lshlrev_b32_e32 v2, 16, v22
	s_delay_alu instid0(VALU_DEP_1) | instskip(NEXT) | instid1(VALU_DEP_1)
	v_and_b32_e32 v2, 0x80000000, v2
	v_lshl_add_u32 v2, v4, 23, v2
	s_delay_alu instid0(VALU_DEP_1) | instskip(NEXT) | instid1(VALU_DEP_1)
	v_lshl_or_b32 v2, v3, 21, v2
                                        ; implicit-def: $vgpr3
	v_add_nc_u32_e32 v4, 0x38000000, v2
.LBB6_10433:                            ;   in Loop: Header=BB6_8449 Depth=2
	s_and_not1_saveexec_b32 s40, s7
; %bb.10434:                            ;   in Loop: Header=BB6_8449 Depth=2
	v_cmp_lt_i16_e64 s7, -1, v22
	v_mov_b32_e32 v2, 0x7f800000
	v_cmp_eq_u32_e32 vcc_lo, 0, v3
	s_delay_alu instid0(VALU_DEP_2) | instskip(NEXT) | instid1(VALU_DEP_1)
	v_cndmask_b32_e64 v2, 0xff800000, v2, s7
	v_cndmask_b32_e32 v4, 0x7f800001, v2, vcc_lo
; %bb.10435:                            ;   in Loop: Header=BB6_8449 Depth=2
	s_or_b32 exec_lo, exec_lo, s40
.LBB6_10436:                            ;   in Loop: Header=BB6_8449 Depth=2
	s_delay_alu instid0(SALU_CYCLE_1)
	s_or_b32 exec_lo, exec_lo, s29
.LBB6_10437:                            ;   in Loop: Header=BB6_8449 Depth=2
	s_delay_alu instid0(SALU_CYCLE_1) | instskip(NEXT) | instid1(VALU_DEP_1)
	s_or_b32 exec_lo, exec_lo, s28
	v_add_f32_e32 v4, v5, v4
	v_dual_mov_b32 v75, v1 :: v_dual_mov_b32 v3, v1
                                        ; implicit-def: $vgpr9
	s_mov_b32 s7, exec_lo
	s_delay_alu instid0(VALU_DEP_2) | instskip(SKIP_2) | instid1(VALU_DEP_3)
	v_and_b32_e32 v74, 0x7f800000, v4
	v_and_b32_e32 v2, 0x7fffff, v4
	v_lshrrev_b32_e32 v5, 24, v4
	v_cmpx_ne_u64_e32 0x7f800000, v[74:75]
	s_xor_b32 s28, exec_lo, s7
	s_cbranch_execz .LBB6_10451
; %bb.10438:                            ;   in Loop: Header=BB6_8449 Depth=2
	v_and_b32_e32 v74, 0x7fffffff, v4
	v_mov_b32_e32 v75, v1
	v_and_b32_e32 v28, 0x80, v5
                                        ; implicit-def: $vgpr9
	s_mov_b32 s7, exec_lo
	s_delay_alu instid0(VALU_DEP_2)
	v_cmpx_gt_u64_e32 0x47600001, v[74:75]
	s_xor_b32 s29, exec_lo, s7
	s_cbranch_execz .LBB6_10448
; %bb.10439:                            ;   in Loop: Header=BB6_8449 Depth=2
	v_mov_b32_e32 v9, 0
	s_mov_b32 s40, exec_lo
	v_cmpx_ne_u32_e32 0, v4
	s_cbranch_execz .LBB6_10447
; %bb.10440:                            ;   in Loop: Header=BB6_8449 Depth=2
	v_bfe_u32 v9, v4, 23, 8
	v_or_b32_e32 v5, 0x800000, v2
	s_delay_alu instid0(VALU_DEP_2) | instskip(SKIP_2) | instid1(VALU_DEP_2)
	v_cmp_gt_u32_e64 s7, 0x72, v9
	v_sub_nc_u32_e32 v4, 0x71, v9
	v_cmp_eq_u32_e32 vcc_lo, 0, v9
	v_dual_cndmask_b32 v4, 0, v4, s7 :: v_dual_cndmask_b32 v2, v5, v2, vcc_lo
	s_delay_alu instid0(VALU_DEP_1) | instskip(NEXT) | instid1(VALU_DEP_1)
	v_cndmask_b32_e64 v32, v4, 0x70, vcc_lo
	v_dual_add_nc_u32 v4, 21, v32 :: v_dual_add_nc_u32 v73, 20, v32
	s_delay_alu instid0(VALU_DEP_1) | instskip(NEXT) | instid1(VALU_DEP_2)
	v_lshlrev_b64_e64 v[4:5], v4, -1
	v_lshlrev_b64_e64 v[74:75], v73, 1
	s_delay_alu instid0(VALU_DEP_2) | instskip(SKIP_1) | instid1(VALU_DEP_4)
	v_bfi_b32 v4, v4, 0, v2
	v_lshrrev_b64 v[2:3], v32, v[2:3]
	v_bfi_b32 v5, v5, 0, 0
	s_delay_alu instid0(VALU_DEP_1) | instskip(NEXT) | instid1(VALU_DEP_3)
	v_cmp_eq_u64_e64 s7, v[4:5], v[74:75]
	v_mov_b64_e32 v[4:5], v[2:3]
	s_and_saveexec_b32 s41, s7
; %bb.10441:                            ;   in Loop: Header=BB6_8449 Depth=2
	v_bfe_u32 v4, v2, 21, 1
	v_mov_b32_e32 v5, v1
	s_delay_alu instid0(VALU_DEP_1) | instskip(NEXT) | instid1(VALU_DEP_1)
	v_add_nc_u64_e32 v[4:5], v[2:3], v[4:5]
	v_add_nc_u64_e32 v[4:5], -1, v[4:5]
; %bb.10442:                            ;   in Loop: Header=BB6_8449 Depth=2
	s_or_b32 exec_lo, exec_lo, s41
	v_add_nc_u32_e32 v3, 0xffffff81, v9
	v_lshrrev_b32_e32 v5, 23, v2
	s_mov_b32 s7, exec_lo
	s_delay_alu instid0(VALU_DEP_2) | instskip(NEXT) | instid1(VALU_DEP_1)
	v_cndmask_b32_e64 v3, v3, 0xffffff82, vcc_lo
	v_add3_u32 v9, v32, v3, v5
	v_and_b32_e32 v3, 0x1fffff, v4
                                        ; implicit-def: $vgpr4
	s_delay_alu instid0(VALU_DEP_1) | instskip(SKIP_1) | instid1(VALU_DEP_2)
	v_dual_add_nc_u32 v5, 14, v9 :: v_dual_add_nc_u32 v2, v3, v2
	v_mov_b32_e32 v3, v1
	v_cmpx_ne_u32_e32 0, v5
	s_xor_b32 s7, exec_lo, s7
; %bb.10443:                            ;   in Loop: Header=BB6_8449 Depth=2
	s_delay_alu instid0(VALU_DEP_2) | instskip(SKIP_1) | instid1(VALU_DEP_1)
	v_cmp_lt_u64_e32 vcc_lo, 0xffffff, v[2:3]
	v_add_nc_u32_e32 v4, 15, v9
	v_cndmask_b32_e32 v4, v5, v4, vcc_lo
	v_cndmask_b32_e64 v5, 0, 1, vcc_lo
	s_delay_alu instid0(VALU_DEP_1)
	v_lshrrev_b64 v[2:3], v5, v[2:3]
; %bb.10444:                            ;   in Loop: Header=BB6_8449 Depth=2
	s_and_not1_saveexec_b32 s7, s7
; %bb.10445:                            ;   in Loop: Header=BB6_8449 Depth=2
	s_delay_alu instid0(VALU_DEP_1)
	v_bfe_u32 v4, v2, 23, 1
; %bb.10446:                            ;   in Loop: Header=BB6_8449 Depth=2
	s_or_b32 exec_lo, exec_lo, s7
	s_delay_alu instid0(VALU_DEP_2) | instskip(NEXT) | instid1(VALU_DEP_2)
	v_lshrrev_b64 v[2:3], 21, v[2:3]
	v_cmp_gt_i32_e32 vcc_lo, 32, v4
	v_min_i32_e32 v5, 31, v4
	v_cmp_eq_u32_e64 s7, 0, v4
	s_delay_alu instid0(VALU_DEP_2) | instskip(SKIP_1) | instid1(VALU_DEP_2)
	v_dual_cndmask_b32 v3, 0, v3, vcc_lo :: v_dual_lshlrev_b32 v5, 2, v5
	v_cndmask_b32_e32 v2, 3, v2, vcc_lo
	v_and_b32_e32 v5, 0xfc, v5
	s_delay_alu instid0(VALU_DEP_2) | instskip(NEXT) | instid1(VALU_DEP_2)
	v_cmp_eq_u64_e32 vcc_lo, 0, v[2:3]
	v_and_or_b32 v2, v2, 3, v5
	s_and_b32 s7, s7, vcc_lo
	s_delay_alu instid0(VALU_DEP_1) | instid1(SALU_CYCLE_1)
	v_cndmask_b32_e64 v2, v2, 0, s7
	s_delay_alu instid0(VALU_DEP_1)
	v_or_b32_e32 v9, v2, v28
.LBB6_10447:                            ;   in Loop: Header=BB6_8449 Depth=2
	s_or_b32 exec_lo, exec_lo, s40
                                        ; implicit-def: $vgpr28
.LBB6_10448:                            ;   in Loop: Header=BB6_8449 Depth=2
	s_and_not1_saveexec_b32 s7, s29
; %bb.10449:                            ;   in Loop: Header=BB6_8449 Depth=2
	v_or_b32_e32 v9, 0x7b, v28
; %bb.10450:                            ;   in Loop: Header=BB6_8449 Depth=2
	s_or_b32 exec_lo, exec_lo, s7
                                        ; implicit-def: $vgpr4
                                        ; implicit-def: $vgpr2_vgpr3
                                        ; implicit-def: $vgpr5
.LBB6_10451:                            ;   in Loop: Header=BB6_8449 Depth=2
	s_and_not1_saveexec_b32 s7, s28
	s_cbranch_execz .LBB6_10457
; %bb.10452:                            ;   in Loop: Header=BB6_8449 Depth=2
	s_mov_b32 s28, exec_lo
                                        ; implicit-def: $vgpr9
	v_cmpx_ne_u64_e32 0, v[2:3]
	s_xor_b32 s28, exec_lo, s28
; %bb.10453:                            ;   in Loop: Header=BB6_8449 Depth=2
	v_or_b32_e32 v9, 0x7f, v5
                                        ; implicit-def: $vgpr4
; %bb.10454:                            ;   in Loop: Header=BB6_8449 Depth=2
	s_and_not1_saveexec_b32 s28, s28
; %bb.10455:                            ;   in Loop: Header=BB6_8449 Depth=2
	v_cmp_lt_i32_e32 vcc_lo, -1, v4
	v_mov_b32_e32 v2, 0x7c
	s_delay_alu instid0(VALU_DEP_1)
	v_cndmask_b32_e32 v9, 0xfc, v2, vcc_lo
; %bb.10456:                            ;   in Loop: Header=BB6_8449 Depth=2
	s_or_b32 exec_lo, exec_lo, s28
.LBB6_10457:                            ;   in Loop: Header=BB6_8449 Depth=2
	s_delay_alu instid0(SALU_CYCLE_1) | instskip(SKIP_3) | instid1(VALU_DEP_2)
	s_or_b32 exec_lo, exec_lo, s7
	v_dual_mov_b32 v3, 0 :: v_dual_lshrrev_b32 v2, 16, v0
	v_mov_b32_e32 v4, 0
	s_mov_b32 s28, exec_lo
	v_and_b32_e32 v5, 0xff, v2
	s_delay_alu instid0(VALU_DEP_1)
	v_cmpx_ne_u16_e32 0, v5
	s_cbranch_execz .LBB6_10467
; %bb.10458:                            ;   in Loop: Header=BB6_8449 Depth=2
	v_bfrev_b32_e32 v4, 1
	s_mov_b32 s29, exec_lo
	v_cmpx_ne_u16_e32 0x80, v5
	s_cbranch_execz .LBB6_10466
; %bb.10459:                            ;   in Loop: Header=BB6_8449 Depth=2
	v_and_b32_e32 v4, 0x7c0000, v0
	v_bfe_u32 v5, v0, 16, 2
	s_delay_alu instid0(VALU_DEP_2) | instskip(SKIP_1) | instid1(SALU_CYCLE_1)
	v_cmp_ne_u32_e32 vcc_lo, 0x7c0000, v4
                                        ; implicit-def: $vgpr4
	s_and_saveexec_b32 s7, vcc_lo
	s_xor_b32 s7, exec_lo, s7
	s_cbranch_execz .LBB6_10463
; %bb.10460:                            ;   in Loop: Header=BB6_8449 Depth=2
	v_bfe_u32 v4, v0, 18, 5
	s_mov_b32 s40, exec_lo
	s_delay_alu instid0(VALU_DEP_1)
	v_cmpx_eq_u32_e32 0, v4
; %bb.10461:                            ;   in Loop: Header=BB6_8449 Depth=2
	v_clz_i32_u32_e32 v4, v5
	s_delay_alu instid0(VALU_DEP_1) | instskip(NEXT) | instid1(VALU_DEP_1)
	v_min_u32_e32 v4, 32, v4
	v_subrev_nc_u32_e32 v5, 29, v4
	s_delay_alu instid0(VALU_DEP_1) | instskip(NEXT) | instid1(VALU_DEP_1)
	v_lshlrev_b64_e32 v[74:75], v5, v[2:3]
	v_dual_sub_nc_u32 v4, 30, v4 :: v_dual_bitop2_b32 v5, 3, v74 bitop3:0x40
; %bb.10462:                            ;   in Loop: Header=BB6_8449 Depth=2
	s_or_b32 exec_lo, exec_lo, s40
	v_lshlrev_b32_e32 v2, 24, v2
	s_delay_alu instid0(VALU_DEP_1) | instskip(NEXT) | instid1(VALU_DEP_1)
	v_and_b32_e32 v2, 0x80000000, v2
	v_lshl_add_u32 v2, v4, 23, v2
	s_delay_alu instid0(VALU_DEP_1) | instskip(NEXT) | instid1(VALU_DEP_1)
	v_lshl_or_b32 v2, v5, 21, v2
                                        ; implicit-def: $vgpr5
	v_add_nc_u32_e32 v4, 0x38000000, v2
                                        ; implicit-def: $vgpr2
.LBB6_10463:                            ;   in Loop: Header=BB6_8449 Depth=2
	s_and_not1_saveexec_b32 s40, s7
; %bb.10464:                            ;   in Loop: Header=BB6_8449 Depth=2
	v_bfe_i32 v2, v2, 0, 8
	v_cmp_eq_u32_e32 vcc_lo, 0, v5
	s_delay_alu instid0(VALU_DEP_2) | instskip(SKIP_1) | instid1(VALU_DEP_1)
	v_cmp_lt_i16_e64 s7, -1, v2
	v_mov_b32_e32 v2, 0x7f800000
	v_cndmask_b32_e64 v2, 0xff800000, v2, s7
	s_delay_alu instid0(VALU_DEP_1)
	v_cndmask_b32_e32 v4, 0x7f800001, v2, vcc_lo
; %bb.10465:                            ;   in Loop: Header=BB6_8449 Depth=2
	s_or_b32 exec_lo, exec_lo, s40
.LBB6_10466:                            ;   in Loop: Header=BB6_8449 Depth=2
	s_delay_alu instid0(SALU_CYCLE_1)
	s_or_b32 exec_lo, exec_lo, s29
.LBB6_10467:                            ;   in Loop: Header=BB6_8449 Depth=2
	s_delay_alu instid0(SALU_CYCLE_1) | instskip(SKIP_2) | instid1(VALU_DEP_1)
	s_or_b32 exec_lo, exec_lo, s28
	v_lshrrev_b32_e32 v2, 16, v22
	s_mov_b32 s28, exec_lo
	v_and_b32_e32 v5, 0xff, v2
	s_delay_alu instid0(VALU_DEP_1)
	v_cmpx_ne_u16_e32 0, v5
	s_cbranch_execz .LBB6_10477
; %bb.10468:                            ;   in Loop: Header=BB6_8449 Depth=2
	v_bfrev_b32_e32 v3, 1
	s_mov_b32 s29, exec_lo
	v_cmpx_ne_u16_e32 0x80, v5
	s_cbranch_execz .LBB6_10476
; %bb.10469:                            ;   in Loop: Header=BB6_8449 Depth=2
	v_and_b32_e32 v3, 0x7c0000, v22
	v_bfe_u32 v5, v22, 16, 2
	s_delay_alu instid0(VALU_DEP_2) | instskip(SKIP_1) | instid1(SALU_CYCLE_1)
	v_cmp_ne_u32_e32 vcc_lo, 0x7c0000, v3
                                        ; implicit-def: $vgpr3
	s_and_saveexec_b32 s7, vcc_lo
	s_xor_b32 s7, exec_lo, s7
	s_cbranch_execz .LBB6_10473
; %bb.10470:                            ;   in Loop: Header=BB6_8449 Depth=2
	v_bfe_u32 v3, v22, 18, 5
	s_mov_b32 s40, exec_lo
	s_delay_alu instid0(VALU_DEP_1)
	v_cmpx_eq_u32_e32 0, v3
; %bb.10471:                            ;   in Loop: Header=BB6_8449 Depth=2
	v_clz_i32_u32_e32 v3, v5
	s_delay_alu instid0(VALU_DEP_1) | instskip(NEXT) | instid1(VALU_DEP_1)
	v_min_u32_e32 v3, 32, v3
	v_subrev_nc_u32_e32 v5, 29, v3
	s_delay_alu instid0(VALU_DEP_1) | instskip(NEXT) | instid1(VALU_DEP_1)
	v_lshlrev_b64_e32 v[74:75], v5, v[2:3]
	v_dual_sub_nc_u32 v3, 30, v3 :: v_dual_bitop2_b32 v5, 3, v74 bitop3:0x40
; %bb.10472:                            ;   in Loop: Header=BB6_8449 Depth=2
	s_or_b32 exec_lo, exec_lo, s40
	v_lshlrev_b32_e32 v2, 24, v2
	s_delay_alu instid0(VALU_DEP_1) | instskip(NEXT) | instid1(VALU_DEP_1)
	v_and_b32_e32 v2, 0x80000000, v2
	v_lshl_add_u32 v2, v3, 23, v2
	s_delay_alu instid0(VALU_DEP_1) | instskip(NEXT) | instid1(VALU_DEP_1)
	v_lshl_or_b32 v2, v5, 21, v2
                                        ; implicit-def: $vgpr5
	v_add_nc_u32_e32 v3, 0x38000000, v2
                                        ; implicit-def: $vgpr2
.LBB6_10473:                            ;   in Loop: Header=BB6_8449 Depth=2
	s_and_not1_saveexec_b32 s40, s7
; %bb.10474:                            ;   in Loop: Header=BB6_8449 Depth=2
	v_bfe_i32 v2, v2, 0, 8
	v_cmp_eq_u32_e32 vcc_lo, 0, v5
	s_delay_alu instid0(VALU_DEP_2) | instskip(SKIP_1) | instid1(VALU_DEP_1)
	v_cmp_lt_i16_e64 s7, -1, v2
	v_mov_b32_e32 v2, 0x7f800000
	v_cndmask_b32_e64 v2, 0xff800000, v2, s7
	s_delay_alu instid0(VALU_DEP_1)
	v_cndmask_b32_e32 v3, 0x7f800001, v2, vcc_lo
; %bb.10475:                            ;   in Loop: Header=BB6_8449 Depth=2
	s_or_b32 exec_lo, exec_lo, s40
.LBB6_10476:                            ;   in Loop: Header=BB6_8449 Depth=2
	s_delay_alu instid0(SALU_CYCLE_1)
	s_or_b32 exec_lo, exec_lo, s29
.LBB6_10477:                            ;   in Loop: Header=BB6_8449 Depth=2
	s_delay_alu instid0(SALU_CYCLE_1) | instskip(NEXT) | instid1(VALU_DEP_1)
	s_or_b32 exec_lo, exec_lo, s28
	v_dual_add_f32 v4, v4, v3 :: v_dual_mov_b32 v75, v1
	v_mov_b32_e32 v3, v1
                                        ; implicit-def: $vgpr28
	s_mov_b32 s7, exec_lo
	s_delay_alu instid0(VALU_DEP_2) | instskip(SKIP_2) | instid1(VALU_DEP_3)
	v_and_b32_e32 v74, 0x7f800000, v4
	v_and_b32_e32 v2, 0x7fffff, v4
	v_lshrrev_b32_e32 v5, 24, v4
	v_cmpx_ne_u64_e32 0x7f800000, v[74:75]
	s_xor_b32 s28, exec_lo, s7
	s_cbranch_execz .LBB6_10491
; %bb.10478:                            ;   in Loop: Header=BB6_8449 Depth=2
	v_and_b32_e32 v74, 0x7fffffff, v4
	v_mov_b32_e32 v75, v1
	v_and_b32_e32 v32, 0x80, v5
                                        ; implicit-def: $vgpr28
	s_mov_b32 s7, exec_lo
	s_delay_alu instid0(VALU_DEP_2)
	v_cmpx_gt_u64_e32 0x47600001, v[74:75]
	s_xor_b32 s29, exec_lo, s7
	s_cbranch_execz .LBB6_10488
; %bb.10479:                            ;   in Loop: Header=BB6_8449 Depth=2
	v_mov_b32_e32 v28, 0
	s_mov_b32 s40, exec_lo
	v_cmpx_ne_u32_e32 0, v4
	s_cbranch_execz .LBB6_10487
; %bb.10480:                            ;   in Loop: Header=BB6_8449 Depth=2
	v_bfe_u32 v28, v4, 23, 8
	v_or_b32_e32 v5, 0x800000, v2
	s_delay_alu instid0(VALU_DEP_2) | instskip(SKIP_2) | instid1(VALU_DEP_2)
	v_cmp_gt_u32_e64 s7, 0x72, v28
	v_sub_nc_u32_e32 v4, 0x71, v28
	v_cmp_eq_u32_e32 vcc_lo, 0, v28
	v_dual_cndmask_b32 v4, 0, v4, s7 :: v_dual_cndmask_b32 v2, v5, v2, vcc_lo
	s_delay_alu instid0(VALU_DEP_1) | instskip(NEXT) | instid1(VALU_DEP_1)
	v_cndmask_b32_e64 v73, v4, 0x70, vcc_lo
	v_dual_add_nc_u32 v4, 21, v73 :: v_dual_add_nc_u32 v74, 20, v73
	s_delay_alu instid0(VALU_DEP_1) | instskip(NEXT) | instid1(VALU_DEP_2)
	v_lshlrev_b64_e64 v[4:5], v4, -1
	v_lshlrev_b64_e64 v[74:75], v74, 1
	s_delay_alu instid0(VALU_DEP_2) | instskip(SKIP_1) | instid1(VALU_DEP_4)
	v_bfi_b32 v4, v4, 0, v2
	v_lshrrev_b64 v[2:3], v73, v[2:3]
	v_bfi_b32 v5, v5, 0, 0
	s_delay_alu instid0(VALU_DEP_1) | instskip(NEXT) | instid1(VALU_DEP_3)
	v_cmp_eq_u64_e64 s7, v[4:5], v[74:75]
	v_mov_b64_e32 v[4:5], v[2:3]
	s_and_saveexec_b32 s41, s7
; %bb.10481:                            ;   in Loop: Header=BB6_8449 Depth=2
	v_bfe_u32 v4, v2, 21, 1
	v_mov_b32_e32 v5, v1
	s_delay_alu instid0(VALU_DEP_1) | instskip(NEXT) | instid1(VALU_DEP_1)
	v_add_nc_u64_e32 v[4:5], v[2:3], v[4:5]
	v_add_nc_u64_e32 v[4:5], -1, v[4:5]
; %bb.10482:                            ;   in Loop: Header=BB6_8449 Depth=2
	s_or_b32 exec_lo, exec_lo, s41
	v_add_nc_u32_e32 v3, 0xffffff81, v28
	v_lshrrev_b32_e32 v5, 23, v2
	s_mov_b32 s7, exec_lo
	s_delay_alu instid0(VALU_DEP_2) | instskip(NEXT) | instid1(VALU_DEP_1)
	v_cndmask_b32_e64 v3, v3, 0xffffff82, vcc_lo
	v_add3_u32 v28, v73, v3, v5
	v_and_b32_e32 v3, 0x1fffff, v4
                                        ; implicit-def: $vgpr4
	s_delay_alu instid0(VALU_DEP_1) | instskip(SKIP_1) | instid1(VALU_DEP_2)
	v_dual_add_nc_u32 v5, 14, v28 :: v_dual_add_nc_u32 v2, v3, v2
	v_mov_b32_e32 v3, v1
	v_cmpx_ne_u32_e32 0, v5
	s_xor_b32 s7, exec_lo, s7
; %bb.10483:                            ;   in Loop: Header=BB6_8449 Depth=2
	s_delay_alu instid0(VALU_DEP_2) | instskip(SKIP_1) | instid1(VALU_DEP_1)
	v_cmp_lt_u64_e32 vcc_lo, 0xffffff, v[2:3]
	v_add_nc_u32_e32 v4, 15, v28
	v_cndmask_b32_e32 v4, v5, v4, vcc_lo
	v_cndmask_b32_e64 v5, 0, 1, vcc_lo
	s_delay_alu instid0(VALU_DEP_1)
	v_lshrrev_b64 v[2:3], v5, v[2:3]
; %bb.10484:                            ;   in Loop: Header=BB6_8449 Depth=2
	s_and_not1_saveexec_b32 s7, s7
; %bb.10485:                            ;   in Loop: Header=BB6_8449 Depth=2
	s_delay_alu instid0(VALU_DEP_1)
	v_bfe_u32 v4, v2, 23, 1
; %bb.10486:                            ;   in Loop: Header=BB6_8449 Depth=2
	s_or_b32 exec_lo, exec_lo, s7
	s_delay_alu instid0(VALU_DEP_2) | instskip(NEXT) | instid1(VALU_DEP_2)
	v_lshrrev_b64 v[2:3], 21, v[2:3]
	v_cmp_gt_i32_e32 vcc_lo, 32, v4
	v_min_i32_e32 v5, 31, v4
	v_cmp_eq_u32_e64 s7, 0, v4
	s_delay_alu instid0(VALU_DEP_2) | instskip(SKIP_1) | instid1(VALU_DEP_2)
	v_dual_cndmask_b32 v3, 0, v3, vcc_lo :: v_dual_lshlrev_b32 v5, 2, v5
	v_cndmask_b32_e32 v2, 3, v2, vcc_lo
	v_and_b32_e32 v5, 0xfc, v5
	s_delay_alu instid0(VALU_DEP_2) | instskip(NEXT) | instid1(VALU_DEP_2)
	v_cmp_eq_u64_e32 vcc_lo, 0, v[2:3]
	v_and_or_b32 v2, v2, 3, v5
	s_and_b32 s7, s7, vcc_lo
	s_delay_alu instid0(VALU_DEP_1) | instid1(SALU_CYCLE_1)
	v_cndmask_b32_e64 v2, v2, 0, s7
	s_delay_alu instid0(VALU_DEP_1)
	v_or_b32_e32 v28, v2, v32
.LBB6_10487:                            ;   in Loop: Header=BB6_8449 Depth=2
	s_or_b32 exec_lo, exec_lo, s40
                                        ; implicit-def: $vgpr32
.LBB6_10488:                            ;   in Loop: Header=BB6_8449 Depth=2
	s_and_not1_saveexec_b32 s7, s29
; %bb.10489:                            ;   in Loop: Header=BB6_8449 Depth=2
	v_or_b32_e32 v28, 0x7b, v32
; %bb.10490:                            ;   in Loop: Header=BB6_8449 Depth=2
	s_or_b32 exec_lo, exec_lo, s7
                                        ; implicit-def: $vgpr4
                                        ; implicit-def: $vgpr2_vgpr3
                                        ; implicit-def: $vgpr5
.LBB6_10491:                            ;   in Loop: Header=BB6_8449 Depth=2
	s_and_not1_saveexec_b32 s7, s28
	s_cbranch_execz .LBB6_10497
; %bb.10492:                            ;   in Loop: Header=BB6_8449 Depth=2
	s_mov_b32 s28, exec_lo
                                        ; implicit-def: $vgpr28
	v_cmpx_ne_u64_e32 0, v[2:3]
	s_xor_b32 s28, exec_lo, s28
; %bb.10493:                            ;   in Loop: Header=BB6_8449 Depth=2
	v_or_b32_e32 v28, 0x7f, v5
                                        ; implicit-def: $vgpr4
; %bb.10494:                            ;   in Loop: Header=BB6_8449 Depth=2
	s_and_not1_saveexec_b32 s28, s28
; %bb.10495:                            ;   in Loop: Header=BB6_8449 Depth=2
	v_cmp_lt_i32_e32 vcc_lo, -1, v4
	v_mov_b32_e32 v2, 0x7c
	s_delay_alu instid0(VALU_DEP_1)
	v_cndmask_b32_e32 v28, 0xfc, v2, vcc_lo
; %bb.10496:                            ;   in Loop: Header=BB6_8449 Depth=2
	s_or_b32 exec_lo, exec_lo, s28
.LBB6_10497:                            ;   in Loop: Header=BB6_8449 Depth=2
	s_delay_alu instid0(SALU_CYCLE_1)
	s_or_b32 exec_lo, exec_lo, s7
	v_dual_mov_b32 v3, 0 :: v_dual_mov_b32 v4, 0
	s_mov_b32 s28, exec_lo
	v_cmpx_lt_u32_e32 0xffffff, v0
	s_cbranch_execz .LBB6_10507
; %bb.10498:                            ;   in Loop: Header=BB6_8449 Depth=2
	v_lshrrev_b32_e32 v2, 24, v0
	v_bfrev_b32_e32 v4, 1
	s_mov_b32 s29, exec_lo
	s_delay_alu instid0(VALU_DEP_2)
	v_cmpx_ne_u32_e32 0x80, v2
	s_cbranch_execz .LBB6_10506
; %bb.10499:                            ;   in Loop: Header=BB6_8449 Depth=2
	v_and_b32_e32 v4, 0x7c000000, v0
	v_bfe_u32 v5, v0, 24, 2
	s_delay_alu instid0(VALU_DEP_2) | instskip(SKIP_1) | instid1(SALU_CYCLE_1)
	v_cmp_ne_u32_e32 vcc_lo, 0x7c000000, v4
                                        ; implicit-def: $vgpr4
	s_and_saveexec_b32 s7, vcc_lo
	s_xor_b32 s7, exec_lo, s7
	s_cbranch_execz .LBB6_10503
; %bb.10500:                            ;   in Loop: Header=BB6_8449 Depth=2
	v_bfe_u32 v4, v0, 26, 5
	s_mov_b32 s40, exec_lo
	s_delay_alu instid0(VALU_DEP_1)
	v_cmpx_eq_u32_e32 0, v4
; %bb.10501:                            ;   in Loop: Header=BB6_8449 Depth=2
	v_clz_i32_u32_e32 v4, v5
	s_delay_alu instid0(VALU_DEP_1) | instskip(NEXT) | instid1(VALU_DEP_1)
	v_min_u32_e32 v4, 32, v4
	v_subrev_nc_u32_e32 v5, 29, v4
	s_delay_alu instid0(VALU_DEP_1) | instskip(NEXT) | instid1(VALU_DEP_1)
	v_lshlrev_b64_e32 v[74:75], v5, v[2:3]
	v_dual_sub_nc_u32 v4, 30, v4 :: v_dual_bitop2_b32 v5, 3, v74 bitop3:0x40
; %bb.10502:                            ;   in Loop: Header=BB6_8449 Depth=2
	s_or_b32 exec_lo, exec_lo, s40
	v_and_b32_e32 v0, 0x80000000, v0
	s_delay_alu instid0(VALU_DEP_1) | instskip(NEXT) | instid1(VALU_DEP_1)
	v_lshl_add_u32 v0, v4, 23, v0
	v_lshl_or_b32 v0, v5, 21, v0
                                        ; implicit-def: $vgpr5
	s_delay_alu instid0(VALU_DEP_1)
	v_add_nc_u32_e32 v4, 0x38000000, v0
.LBB6_10503:                            ;   in Loop: Header=BB6_8449 Depth=2
	s_and_not1_saveexec_b32 s40, s7
; %bb.10504:                            ;   in Loop: Header=BB6_8449 Depth=2
	v_cmp_lt_i32_e64 s7, -1, v0
	v_mov_b32_e32 v0, 0x7f800000
	v_cmp_eq_u32_e32 vcc_lo, 0, v5
	s_delay_alu instid0(VALU_DEP_2) | instskip(NEXT) | instid1(VALU_DEP_1)
	v_cndmask_b32_e64 v0, 0xff800000, v0, s7
	v_cndmask_b32_e32 v4, 0x7f800001, v0, vcc_lo
; %bb.10505:                            ;   in Loop: Header=BB6_8449 Depth=2
	s_or_b32 exec_lo, exec_lo, s40
.LBB6_10506:                            ;   in Loop: Header=BB6_8449 Depth=2
	s_delay_alu instid0(SALU_CYCLE_1)
	s_or_b32 exec_lo, exec_lo, s29
.LBB6_10507:                            ;   in Loop: Header=BB6_8449 Depth=2
	s_delay_alu instid0(SALU_CYCLE_1) | instskip(NEXT) | instid1(SALU_CYCLE_1)
	s_or_b32 exec_lo, exec_lo, s28
	s_mov_b32 s28, exec_lo
	v_cmpx_lt_u32_e32 0xffffff, v22
	s_cbranch_execz .LBB6_10517
; %bb.10508:                            ;   in Loop: Header=BB6_8449 Depth=2
	v_lshrrev_b32_e32 v0, 24, v22
	v_bfrev_b32_e32 v3, 1
	s_mov_b32 s29, exec_lo
	s_delay_alu instid0(VALU_DEP_2)
	v_cmpx_ne_u32_e32 0x80, v0
	s_cbranch_execz .LBB6_10516
; %bb.10509:                            ;   in Loop: Header=BB6_8449 Depth=2
	v_and_b32_e32 v3, 0x7c000000, v22
	v_bfe_u32 v2, v22, 24, 2
	s_delay_alu instid0(VALU_DEP_2) | instskip(SKIP_1) | instid1(SALU_CYCLE_1)
	v_cmp_ne_u32_e32 vcc_lo, 0x7c000000, v3
                                        ; implicit-def: $vgpr3
	s_and_saveexec_b32 s7, vcc_lo
	s_xor_b32 s7, exec_lo, s7
	s_cbranch_execz .LBB6_10513
; %bb.10510:                            ;   in Loop: Header=BB6_8449 Depth=2
	v_bfe_u32 v3, v22, 26, 5
	s_mov_b32 s40, exec_lo
	s_delay_alu instid0(VALU_DEP_1)
	v_cmpx_eq_u32_e32 0, v3
; %bb.10511:                            ;   in Loop: Header=BB6_8449 Depth=2
	v_clz_i32_u32_e32 v2, v2
	s_delay_alu instid0(VALU_DEP_1) | instskip(NEXT) | instid1(VALU_DEP_1)
	v_min_u32_e32 v5, 32, v2
	v_subrev_nc_u32_e32 v2, 29, v5
	s_delay_alu instid0(VALU_DEP_1) | instskip(NEXT) | instid1(VALU_DEP_1)
	v_lshlrev_b64_e32 v[2:3], v2, v[0:1]
	v_dual_sub_nc_u32 v3, 30, v5 :: v_dual_bitop2_b32 v2, 3, v2 bitop3:0x40
; %bb.10512:                            ;   in Loop: Header=BB6_8449 Depth=2
	s_or_b32 exec_lo, exec_lo, s40
	v_and_b32_e32 v0, 0x80000000, v22
	s_delay_alu instid0(VALU_DEP_1) | instskip(NEXT) | instid1(VALU_DEP_1)
	v_lshl_add_u32 v0, v3, 23, v0
	v_lshl_or_b32 v0, v2, 21, v0
                                        ; implicit-def: $vgpr2
	s_delay_alu instid0(VALU_DEP_1)
	v_add_nc_u32_e32 v3, 0x38000000, v0
.LBB6_10513:                            ;   in Loop: Header=BB6_8449 Depth=2
	s_and_not1_saveexec_b32 s40, s7
; %bb.10514:                            ;   in Loop: Header=BB6_8449 Depth=2
	v_cmp_lt_i32_e64 s7, -1, v22
	v_mov_b32_e32 v0, 0x7f800000
	v_cmp_eq_u32_e32 vcc_lo, 0, v2
	s_delay_alu instid0(VALU_DEP_2) | instskip(NEXT) | instid1(VALU_DEP_1)
	v_cndmask_b32_e64 v0, 0xff800000, v0, s7
	v_cndmask_b32_e32 v3, 0x7f800001, v0, vcc_lo
; %bb.10515:                            ;   in Loop: Header=BB6_8449 Depth=2
	s_or_b32 exec_lo, exec_lo, s40
.LBB6_10516:                            ;   in Loop: Header=BB6_8449 Depth=2
	s_delay_alu instid0(SALU_CYCLE_1)
	s_or_b32 exec_lo, exec_lo, s29
.LBB6_10517:                            ;   in Loop: Header=BB6_8449 Depth=2
	s_delay_alu instid0(SALU_CYCLE_1) | instskip(NEXT) | instid1(VALU_DEP_1)
	s_or_b32 exec_lo, exec_lo, s28
	v_dual_add_f32 v2, v4, v3 :: v_dual_mov_b32 v5, v1
                                        ; implicit-def: $vgpr32
	s_mov_b32 s7, exec_lo
	s_delay_alu instid0(VALU_DEP_1) | instskip(SKIP_2) | instid1(VALU_DEP_3)
	v_and_b32_e32 v4, 0x7f800000, v2
	v_and_b32_e32 v0, 0x7fffff, v2
	v_lshrrev_b32_e32 v3, 24, v2
	v_cmpx_ne_u64_e32 0x7f800000, v[4:5]
	s_xor_b32 s28, exec_lo, s7
	s_cbranch_execz .LBB6_10531
; %bb.10518:                            ;   in Loop: Header=BB6_8449 Depth=2
	v_and_b32_e32 v4, 0x7fffffff, v2
	v_mov_b32_e32 v5, v1
	v_and_b32_e32 v73, 0x80, v3
                                        ; implicit-def: $vgpr32
	s_mov_b32 s7, exec_lo
	s_delay_alu instid0(VALU_DEP_2)
	v_cmpx_gt_u64_e32 0x47600001, v[4:5]
	s_xor_b32 s29, exec_lo, s7
	s_cbranch_execz .LBB6_10528
; %bb.10519:                            ;   in Loop: Header=BB6_8449 Depth=2
	v_mov_b32_e32 v32, 0
	s_mov_b32 s40, exec_lo
	v_cmpx_ne_u32_e32 0, v2
	s_cbranch_execz .LBB6_10527
; %bb.10520:                            ;   in Loop: Header=BB6_8449 Depth=2
	v_bfe_u32 v32, v2, 23, 8
	v_or_b32_e32 v3, 0x800000, v0
	s_delay_alu instid0(VALU_DEP_2) | instskip(SKIP_2) | instid1(VALU_DEP_2)
	v_cmp_gt_u32_e64 s7, 0x72, v32
	v_sub_nc_u32_e32 v2, 0x71, v32
	v_cmp_eq_u32_e32 vcc_lo, 0, v32
	v_cndmask_b32_e64 v2, 0, v2, s7
	s_delay_alu instid0(VALU_DEP_1) | instskip(SKIP_1) | instid1(VALU_DEP_2)
	v_cndmask_b32_e64 v74, v2, 0x70, vcc_lo
	v_dual_cndmask_b32 v2, v3, v0 :: v_dual_mov_b32 v3, v1
	v_add_nc_u32_e32 v0, 21, v74
	s_delay_alu instid0(VALU_DEP_1) | instskip(SKIP_1) | instid1(VALU_DEP_1)
	v_lshlrev_b64_e64 v[4:5], v0, -1
	v_add_nc_u32_e32 v0, 20, v74
	v_lshlrev_b64_e64 v[76:77], v0, 1
	s_delay_alu instid0(VALU_DEP_3) | instskip(SKIP_2) | instid1(VALU_DEP_1)
	v_bfi_b32 v4, v4, 0, v2
	v_lshrrev_b64 v[2:3], v74, v[2:3]
	v_bfi_b32 v5, v5, 0, 0
	v_cmp_eq_u64_e64 s7, v[4:5], v[76:77]
	s_delay_alu instid0(VALU_DEP_3)
	v_mov_b64_e32 v[4:5], v[2:3]
	s_and_saveexec_b32 s41, s7
; %bb.10521:                            ;   in Loop: Header=BB6_8449 Depth=2
	v_bfe_u32 v4, v2, 21, 1
	v_mov_b32_e32 v5, v1
	s_delay_alu instid0(VALU_DEP_1) | instskip(NEXT) | instid1(VALU_DEP_1)
	v_add_nc_u64_e32 v[4:5], v[2:3], v[4:5]
	v_add_nc_u64_e32 v[4:5], -1, v[4:5]
; %bb.10522:                            ;   in Loop: Header=BB6_8449 Depth=2
	s_or_b32 exec_lo, exec_lo, s41
	v_add_nc_u32_e32 v0, 0xffffff81, v32
	v_lshrrev_b32_e32 v3, 23, v2
	s_mov_b32 s7, exec_lo
	s_delay_alu instid0(VALU_DEP_2) | instskip(NEXT) | instid1(VALU_DEP_1)
	v_cndmask_b32_e64 v0, v0, 0xffffff82, vcc_lo
	v_add3_u32 v32, v74, v0, v3
	v_and_b32_e32 v0, 0x1fffff, v4
                                        ; implicit-def: $vgpr4
	s_delay_alu instid0(VALU_DEP_1) | instskip(NEXT) | instid1(VALU_DEP_1)
	v_dual_add_nc_u32 v5, 14, v32 :: v_dual_add_nc_u32 v0, v0, v2
                                        ; implicit-def: $vgpr2_vgpr3
	v_cmpx_ne_u32_e32 0, v5
	s_xor_b32 s7, exec_lo, s7
; %bb.10523:                            ;   in Loop: Header=BB6_8449 Depth=2
	s_delay_alu instid0(VALU_DEP_2) | instskip(SKIP_1) | instid1(VALU_DEP_1)
	v_cmp_lt_u64_e32 vcc_lo, 0xffffff, v[0:1]
	v_add_nc_u32_e32 v2, 15, v32
	v_cndmask_b32_e32 v4, v5, v2, vcc_lo
	v_cndmask_b32_e64 v2, 0, 1, vcc_lo
	s_delay_alu instid0(VALU_DEP_1)
	v_lshrrev_b64 v[2:3], v2, v[0:1]
; %bb.10524:                            ;   in Loop: Header=BB6_8449 Depth=2
	s_and_not1_saveexec_b32 s7, s7
; %bb.10525:                            ;   in Loop: Header=BB6_8449 Depth=2
	v_mov_b64_e32 v[2:3], v[0:1]
	v_bfe_u32 v4, v0, 23, 1
; %bb.10526:                            ;   in Loop: Header=BB6_8449 Depth=2
	s_or_b32 exec_lo, exec_lo, s7
	s_delay_alu instid0(VALU_DEP_2) | instskip(NEXT) | instid1(VALU_DEP_2)
	v_lshrrev_b64 v[2:3], 21, v[2:3]
	v_cmp_gt_i32_e32 vcc_lo, 32, v4
	v_min_i32_e32 v0, 31, v4
	v_cmp_eq_u32_e64 s7, 0, v4
	s_delay_alu instid0(VALU_DEP_2) | instskip(SKIP_1) | instid1(VALU_DEP_2)
	v_dual_cndmask_b32 v3, 0, v3 :: v_dual_lshlrev_b32 v0, 2, v0
	v_cndmask_b32_e32 v2, 3, v2, vcc_lo
	v_and_b32_e32 v0, 0xfc, v0
	s_delay_alu instid0(VALU_DEP_2) | instskip(NEXT) | instid1(VALU_DEP_2)
	v_cmp_eq_u64_e32 vcc_lo, 0, v[2:3]
	v_and_or_b32 v0, v2, 3, v0
	s_and_b32 s7, s7, vcc_lo
	s_delay_alu instid0(VALU_DEP_1) | instid1(SALU_CYCLE_1)
	v_cndmask_b32_e64 v0, v0, 0, s7
	s_delay_alu instid0(VALU_DEP_1)
	v_or_b32_e32 v32, v0, v73
.LBB6_10527:                            ;   in Loop: Header=BB6_8449 Depth=2
	s_or_b32 exec_lo, exec_lo, s40
                                        ; implicit-def: $vgpr73
.LBB6_10528:                            ;   in Loop: Header=BB6_8449 Depth=2
	s_and_not1_saveexec_b32 s7, s29
; %bb.10529:                            ;   in Loop: Header=BB6_8449 Depth=2
	v_or_b32_e32 v32, 0x7b, v73
; %bb.10530:                            ;   in Loop: Header=BB6_8449 Depth=2
	s_or_b32 exec_lo, exec_lo, s7
                                        ; implicit-def: $vgpr2
                                        ; implicit-def: $vgpr3
.LBB6_10531:                            ;   in Loop: Header=BB6_8449 Depth=2
	s_and_not1_saveexec_b32 s7, s28
	s_cbranch_execz .LBB6_10537
; %bb.10532:                            ;   in Loop: Header=BB6_8449 Depth=2
	s_mov_b32 s28, exec_lo
                                        ; implicit-def: $vgpr32
	v_cmpx_ne_u64_e32 0, v[0:1]
	s_xor_b32 s28, exec_lo, s28
; %bb.10533:                            ;   in Loop: Header=BB6_8449 Depth=2
	v_or_b32_e32 v32, 0x7f, v3
                                        ; implicit-def: $vgpr2
; %bb.10534:                            ;   in Loop: Header=BB6_8449 Depth=2
	s_and_not1_saveexec_b32 s28, s28
; %bb.10535:                            ;   in Loop: Header=BB6_8449 Depth=2
	v_cmp_lt_i32_e32 vcc_lo, -1, v2
	v_mov_b32_e32 v0, 0x7c
	s_delay_alu instid0(VALU_DEP_1)
	v_cndmask_b32_e32 v32, 0xfc, v0, vcc_lo
; %bb.10536:                            ;   in Loop: Header=BB6_8449 Depth=2
	s_or_b32 exec_lo, exec_lo, s28
.LBB6_10537:                            ;   in Loop: Header=BB6_8449 Depth=2
	s_delay_alu instid0(SALU_CYCLE_1) | instskip(SKIP_4) | instid1(VALU_DEP_1)
	s_or_b32 exec_lo, exec_lo, s7
	v_lshl_or_b32 v52, v52, 8, v39
	v_dual_mov_b32 v3, 0 :: v_dual_lshlrev_b32 v0, 16, v64
	v_lshlrev_b32_e32 v2, 24, v72
	s_mov_b32 s28, exec_lo
	v_or3_b32 v0, v0, v2, v52
	v_mov_b32_e32 v2, 0
	v_cmpx_ne_u32_e32 0, v39
	s_cbranch_execz .LBB6_10547
; %bb.10538:                            ;   in Loop: Header=BB6_8449 Depth=2
	v_bfrev_b32_e32 v2, 1
	s_mov_b32 s29, exec_lo
	v_cmpx_ne_u32_e32 0x80, v39
	s_cbranch_execz .LBB6_10546
; %bb.10539:                            ;   in Loop: Header=BB6_8449 Depth=2
	v_and_b32_e32 v2, 0x7c, v39
	v_and_b32_e32 v4, 3, v39
	s_delay_alu instid0(VALU_DEP_2) | instskip(SKIP_1) | instid1(SALU_CYCLE_1)
	v_cmp_ne_u32_e32 vcc_lo, 0x7c, v2
                                        ; implicit-def: $vgpr2
	s_and_saveexec_b32 s7, vcc_lo
	s_xor_b32 s7, exec_lo, s7
	s_cbranch_execz .LBB6_10543
; %bb.10540:                            ;   in Loop: Header=BB6_8449 Depth=2
	v_bfe_u32 v2, v39, 2, 5
	s_mov_b32 s40, exec_lo
	s_delay_alu instid0(VALU_DEP_1)
	v_cmpx_eq_u32_e32 0, v2
; %bb.10541:                            ;   in Loop: Header=BB6_8449 Depth=2
	v_clz_i32_u32_e32 v2, v4
	s_delay_alu instid0(VALU_DEP_1) | instskip(NEXT) | instid1(VALU_DEP_1)
	v_min_u32_e32 v2, 32, v2
	v_subrev_nc_u32_e32 v4, 29, v2
	s_delay_alu instid0(VALU_DEP_1) | instskip(NEXT) | instid1(VALU_DEP_1)
	v_lshlrev_b64_e32 v[4:5], v4, v[0:1]
	v_dual_sub_nc_u32 v2, 30, v2 :: v_dual_bitop2_b32 v4, 3, v4 bitop3:0x40
; %bb.10542:                            ;   in Loop: Header=BB6_8449 Depth=2
	s_or_b32 exec_lo, exec_lo, s40
	v_lshlrev_b32_e32 v5, 24, v39
                                        ; implicit-def: $vgpr39
	s_delay_alu instid0(VALU_DEP_1) | instskip(NEXT) | instid1(VALU_DEP_1)
	v_and_b32_e32 v5, 0x80000000, v5
	v_lshl_add_u32 v2, v2, 23, v5
	s_delay_alu instid0(VALU_DEP_1) | instskip(NEXT) | instid1(VALU_DEP_1)
	v_lshl_or_b32 v2, v4, 21, v2
                                        ; implicit-def: $vgpr4
	v_add_nc_u32_e32 v2, 0x38000000, v2
.LBB6_10543:                            ;   in Loop: Header=BB6_8449 Depth=2
	s_and_not1_saveexec_b32 s40, s7
; %bb.10544:                            ;   in Loop: Header=BB6_8449 Depth=2
	v_and_b32_e32 v2, 0x80, v39
	v_cmp_eq_u32_e32 vcc_lo, 0, v4
	s_delay_alu instid0(VALU_DEP_2) | instskip(SKIP_1) | instid1(VALU_DEP_1)
	v_cmp_eq_u32_e64 s7, 0, v2
	v_mov_b32_e32 v2, 0x7f800000
	v_cndmask_b32_e64 v2, 0xff800000, v2, s7
	s_delay_alu instid0(VALU_DEP_1)
	v_cndmask_b32_e32 v2, 0x7f800001, v2, vcc_lo
; %bb.10545:                            ;   in Loop: Header=BB6_8449 Depth=2
	s_or_b32 exec_lo, exec_lo, s40
.LBB6_10546:                            ;   in Loop: Header=BB6_8449 Depth=2
	s_delay_alu instid0(SALU_CYCLE_1)
	s_or_b32 exec_lo, exec_lo, s29
.LBB6_10547:                            ;   in Loop: Header=BB6_8449 Depth=2
	s_delay_alu instid0(SALU_CYCLE_1) | instskip(SKIP_2) | instid1(VALU_DEP_1)
	s_or_b32 exec_lo, exec_lo, s28
	v_and_b32_e32 v4, 0xff, v23
	s_mov_b32 s28, exec_lo
	v_cmpx_ne_u16_e32 0, v4
	s_cbranch_execz .LBB6_10557
; %bb.10548:                            ;   in Loop: Header=BB6_8449 Depth=2
	v_bfrev_b32_e32 v3, 1
	s_mov_b32 s29, exec_lo
	v_cmpx_ne_u16_e32 0x80, v4
	s_cbranch_execz .LBB6_10556
; %bb.10549:                            ;   in Loop: Header=BB6_8449 Depth=2
	v_and_b32_e32 v3, 0x7c, v23
	v_and_b32_e32 v4, 3, v23
	s_delay_alu instid0(VALU_DEP_2) | instskip(SKIP_1) | instid1(SALU_CYCLE_1)
	v_cmp_ne_u32_e32 vcc_lo, 0x7c, v3
                                        ; implicit-def: $vgpr3
	s_and_saveexec_b32 s7, vcc_lo
	s_xor_b32 s7, exec_lo, s7
	s_cbranch_execz .LBB6_10553
; %bb.10550:                            ;   in Loop: Header=BB6_8449 Depth=2
	v_bfe_u32 v3, v23, 2, 5
	s_mov_b32 s40, exec_lo
	s_delay_alu instid0(VALU_DEP_1)
	v_cmpx_eq_u32_e32 0, v3
; %bb.10551:                            ;   in Loop: Header=BB6_8449 Depth=2
	v_clz_i32_u32_e32 v3, v4
	v_dual_mov_b32 v4, v23 :: v_dual_mov_b32 v5, v1
	s_delay_alu instid0(VALU_DEP_2) | instskip(NEXT) | instid1(VALU_DEP_1)
	v_min_u32_e32 v3, 32, v3
	v_subrev_nc_u32_e32 v39, 29, v3
	s_delay_alu instid0(VALU_DEP_1) | instskip(NEXT) | instid1(VALU_DEP_1)
	v_lshlrev_b64_e32 v[4:5], v39, v[4:5]
	v_dual_sub_nc_u32 v3, 30, v3 :: v_dual_bitop2_b32 v4, 3, v4 bitop3:0x40
; %bb.10552:                            ;   in Loop: Header=BB6_8449 Depth=2
	s_or_b32 exec_lo, exec_lo, s40
	v_lshlrev_b32_e32 v5, 24, v23
	s_delay_alu instid0(VALU_DEP_1) | instskip(NEXT) | instid1(VALU_DEP_1)
	v_and_b32_e32 v5, 0x80000000, v5
	v_lshl_add_u32 v3, v3, 23, v5
	s_delay_alu instid0(VALU_DEP_1) | instskip(NEXT) | instid1(VALU_DEP_1)
	v_lshl_or_b32 v3, v4, 21, v3
                                        ; implicit-def: $vgpr4
	v_add_nc_u32_e32 v3, 0x38000000, v3
.LBB6_10553:                            ;   in Loop: Header=BB6_8449 Depth=2
	s_and_not1_saveexec_b32 s40, s7
; %bb.10554:                            ;   in Loop: Header=BB6_8449 Depth=2
	v_bfe_i32 v3, v23, 0, 8
	v_cmp_eq_u32_e32 vcc_lo, 0, v4
	s_delay_alu instid0(VALU_DEP_2) | instskip(SKIP_1) | instid1(VALU_DEP_1)
	v_cmp_lt_i16_e64 s7, -1, v3
	v_mov_b32_e32 v3, 0x7f800000
	v_cndmask_b32_e64 v3, 0xff800000, v3, s7
	s_delay_alu instid0(VALU_DEP_1)
	v_cndmask_b32_e32 v3, 0x7f800001, v3, vcc_lo
; %bb.10555:                            ;   in Loop: Header=BB6_8449 Depth=2
	s_or_b32 exec_lo, exec_lo, s40
.LBB6_10556:                            ;   in Loop: Header=BB6_8449 Depth=2
	s_delay_alu instid0(SALU_CYCLE_1)
	s_or_b32 exec_lo, exec_lo, s29
.LBB6_10557:                            ;   in Loop: Header=BB6_8449 Depth=2
	s_delay_alu instid0(SALU_CYCLE_1) | instskip(NEXT) | instid1(VALU_DEP_1)
	s_or_b32 exec_lo, exec_lo, s28
	v_dual_add_f32 v4, v2, v3 :: v_dual_mov_b32 v73, v1
	v_mov_b32_e32 v3, v1
                                        ; implicit-def: $vgpr39
	s_mov_b32 s7, exec_lo
	s_delay_alu instid0(VALU_DEP_2) | instskip(SKIP_2) | instid1(VALU_DEP_3)
	v_and_b32_e32 v72, 0x7f800000, v4
	v_and_b32_e32 v2, 0x7fffff, v4
	v_lshrrev_b32_e32 v5, 24, v4
	v_cmpx_ne_u64_e32 0x7f800000, v[72:73]
	s_xor_b32 s28, exec_lo, s7
	s_cbranch_execz .LBB6_10571
; %bb.10558:                            ;   in Loop: Header=BB6_8449 Depth=2
	v_and_b32_e32 v72, 0x7fffffff, v4
	v_mov_b32_e32 v73, v1
	v_and_b32_e32 v64, 0x80, v5
                                        ; implicit-def: $vgpr39
	s_mov_b32 s7, exec_lo
	s_delay_alu instid0(VALU_DEP_2)
	v_cmpx_gt_u64_e32 0x47600001, v[72:73]
	s_xor_b32 s29, exec_lo, s7
	s_cbranch_execz .LBB6_10568
; %bb.10559:                            ;   in Loop: Header=BB6_8449 Depth=2
	v_mov_b32_e32 v39, 0
	s_mov_b32 s40, exec_lo
	v_cmpx_ne_u32_e32 0, v4
	s_cbranch_execz .LBB6_10567
; %bb.10560:                            ;   in Loop: Header=BB6_8449 Depth=2
	v_bfe_u32 v39, v4, 23, 8
	v_or_b32_e32 v5, 0x800000, v2
	s_delay_alu instid0(VALU_DEP_2) | instskip(SKIP_2) | instid1(VALU_DEP_2)
	v_cmp_gt_u32_e64 s7, 0x72, v39
	v_sub_nc_u32_e32 v4, 0x71, v39
	v_cmp_eq_u32_e32 vcc_lo, 0, v39
	v_dual_cndmask_b32 v4, 0, v4, s7 :: v_dual_cndmask_b32 v2, v5, v2, vcc_lo
	s_delay_alu instid0(VALU_DEP_1) | instskip(NEXT) | instid1(VALU_DEP_1)
	v_cndmask_b32_e64 v72, v4, 0x70, vcc_lo
	v_dual_add_nc_u32 v4, 21, v72 :: v_dual_add_nc_u32 v73, 20, v72
	s_delay_alu instid0(VALU_DEP_1) | instskip(NEXT) | instid1(VALU_DEP_2)
	v_lshlrev_b64_e64 v[4:5], v4, -1
	v_lshlrev_b64_e64 v[74:75], v73, 1
	s_delay_alu instid0(VALU_DEP_2) | instskip(SKIP_1) | instid1(VALU_DEP_4)
	v_bfi_b32 v4, v4, 0, v2
	v_lshrrev_b64 v[2:3], v72, v[2:3]
	v_bfi_b32 v5, v5, 0, 0
	s_delay_alu instid0(VALU_DEP_1) | instskip(NEXT) | instid1(VALU_DEP_3)
	v_cmp_eq_u64_e64 s7, v[4:5], v[74:75]
	v_mov_b64_e32 v[4:5], v[2:3]
	s_and_saveexec_b32 s41, s7
; %bb.10561:                            ;   in Loop: Header=BB6_8449 Depth=2
	v_bfe_u32 v4, v2, 21, 1
	v_mov_b32_e32 v5, v1
	s_delay_alu instid0(VALU_DEP_1) | instskip(NEXT) | instid1(VALU_DEP_1)
	v_add_nc_u64_e32 v[4:5], v[2:3], v[4:5]
	v_add_nc_u64_e32 v[4:5], -1, v[4:5]
; %bb.10562:                            ;   in Loop: Header=BB6_8449 Depth=2
	s_or_b32 exec_lo, exec_lo, s41
	v_add_nc_u32_e32 v3, 0xffffff81, v39
	v_lshrrev_b32_e32 v5, 23, v2
	s_mov_b32 s7, exec_lo
	s_delay_alu instid0(VALU_DEP_2) | instskip(NEXT) | instid1(VALU_DEP_1)
	v_cndmask_b32_e64 v3, v3, 0xffffff82, vcc_lo
	v_add3_u32 v39, v72, v3, v5
	v_and_b32_e32 v3, 0x1fffff, v4
                                        ; implicit-def: $vgpr4
	s_delay_alu instid0(VALU_DEP_1) | instskip(SKIP_1) | instid1(VALU_DEP_2)
	v_dual_add_nc_u32 v5, 14, v39 :: v_dual_add_nc_u32 v2, v3, v2
	v_mov_b32_e32 v3, v1
	v_cmpx_ne_u32_e32 0, v5
	s_xor_b32 s7, exec_lo, s7
; %bb.10563:                            ;   in Loop: Header=BB6_8449 Depth=2
	s_delay_alu instid0(VALU_DEP_2) | instskip(SKIP_1) | instid1(VALU_DEP_1)
	v_cmp_lt_u64_e32 vcc_lo, 0xffffff, v[2:3]
	v_add_nc_u32_e32 v4, 15, v39
	v_cndmask_b32_e32 v4, v5, v4, vcc_lo
	v_cndmask_b32_e64 v5, 0, 1, vcc_lo
	s_delay_alu instid0(VALU_DEP_1)
	v_lshrrev_b64 v[2:3], v5, v[2:3]
; %bb.10564:                            ;   in Loop: Header=BB6_8449 Depth=2
	s_and_not1_saveexec_b32 s7, s7
; %bb.10565:                            ;   in Loop: Header=BB6_8449 Depth=2
	s_delay_alu instid0(VALU_DEP_1)
	v_bfe_u32 v4, v2, 23, 1
; %bb.10566:                            ;   in Loop: Header=BB6_8449 Depth=2
	s_or_b32 exec_lo, exec_lo, s7
	s_delay_alu instid0(VALU_DEP_2) | instskip(NEXT) | instid1(VALU_DEP_2)
	v_lshrrev_b64 v[2:3], 21, v[2:3]
	v_cmp_gt_i32_e32 vcc_lo, 32, v4
	v_min_i32_e32 v5, 31, v4
	v_cmp_eq_u32_e64 s7, 0, v4
	s_delay_alu instid0(VALU_DEP_2) | instskip(SKIP_1) | instid1(VALU_DEP_2)
	v_dual_cndmask_b32 v3, 0, v3, vcc_lo :: v_dual_lshlrev_b32 v5, 2, v5
	v_cndmask_b32_e32 v2, 3, v2, vcc_lo
	v_and_b32_e32 v5, 0xfc, v5
	s_delay_alu instid0(VALU_DEP_2) | instskip(NEXT) | instid1(VALU_DEP_2)
	v_cmp_eq_u64_e32 vcc_lo, 0, v[2:3]
	v_and_or_b32 v2, v2, 3, v5
	s_and_b32 s7, s7, vcc_lo
	s_delay_alu instid0(VALU_DEP_1) | instid1(SALU_CYCLE_1)
	v_cndmask_b32_e64 v2, v2, 0, s7
	s_delay_alu instid0(VALU_DEP_1)
	v_or_b32_e32 v39, v2, v64
.LBB6_10567:                            ;   in Loop: Header=BB6_8449 Depth=2
	s_or_b32 exec_lo, exec_lo, s40
                                        ; implicit-def: $vgpr64
.LBB6_10568:                            ;   in Loop: Header=BB6_8449 Depth=2
	s_and_not1_saveexec_b32 s7, s29
; %bb.10569:                            ;   in Loop: Header=BB6_8449 Depth=2
	v_or_b32_e32 v39, 0x7b, v64
; %bb.10570:                            ;   in Loop: Header=BB6_8449 Depth=2
	s_or_b32 exec_lo, exec_lo, s7
                                        ; implicit-def: $vgpr4
                                        ; implicit-def: $vgpr2_vgpr3
                                        ; implicit-def: $vgpr5
.LBB6_10571:                            ;   in Loop: Header=BB6_8449 Depth=2
	s_and_not1_saveexec_b32 s7, s28
	s_cbranch_execz .LBB6_10577
; %bb.10572:                            ;   in Loop: Header=BB6_8449 Depth=2
	s_mov_b32 s28, exec_lo
                                        ; implicit-def: $vgpr39
	v_cmpx_ne_u64_e32 0, v[2:3]
	s_xor_b32 s28, exec_lo, s28
; %bb.10573:                            ;   in Loop: Header=BB6_8449 Depth=2
	v_or_b32_e32 v39, 0x7f, v5
                                        ; implicit-def: $vgpr4
; %bb.10574:                            ;   in Loop: Header=BB6_8449 Depth=2
	s_and_not1_saveexec_b32 s28, s28
; %bb.10575:                            ;   in Loop: Header=BB6_8449 Depth=2
	v_cmp_lt_i32_e32 vcc_lo, -1, v4
	v_mov_b32_e32 v2, 0x7c
	s_delay_alu instid0(VALU_DEP_1)
	v_cndmask_b32_e32 v39, 0xfc, v2, vcc_lo
; %bb.10576:                            ;   in Loop: Header=BB6_8449 Depth=2
	s_or_b32 exec_lo, exec_lo, s28
.LBB6_10577:                            ;   in Loop: Header=BB6_8449 Depth=2
	s_delay_alu instid0(SALU_CYCLE_1) | instskip(SKIP_3) | instid1(VALU_DEP_2)
	s_or_b32 exec_lo, exec_lo, s7
	v_lshrrev_b16 v2, 8, v52
	v_dual_mov_b32 v4, 0 :: v_dual_mov_b32 v5, 0
	s_mov_b32 s28, exec_lo
	v_cmpx_ne_u16_e32 0, v2
	s_cbranch_execz .LBB6_10587
; %bb.10578:                            ;   in Loop: Header=BB6_8449 Depth=2
	v_bfrev_b32_e32 v5, 1
	s_mov_b32 s29, exec_lo
	v_cmpx_ne_u16_e32 0x80, v2
	s_cbranch_execz .LBB6_10586
; %bb.10579:                            ;   in Loop: Header=BB6_8449 Depth=2
	v_and_b32_e32 v64, 0xffff, v2
	s_delay_alu instid0(VALU_DEP_1) | instskip(SKIP_1) | instid1(VALU_DEP_2)
	v_and_b32_e32 v5, 0x7c, v64
	v_and_b32_e32 v3, 3, v64
	v_cmp_ne_u32_e32 vcc_lo, 0x7c, v5
                                        ; implicit-def: $vgpr5
	s_and_saveexec_b32 s7, vcc_lo
	s_delay_alu instid0(SALU_CYCLE_1)
	s_xor_b32 s7, exec_lo, s7
	s_cbranch_execz .LBB6_10583
; %bb.10580:                            ;   in Loop: Header=BB6_8449 Depth=2
	v_bfe_u32 v5, v64, 2, 5
	s_mov_b32 s40, exec_lo
	s_delay_alu instid0(VALU_DEP_1)
	v_cmpx_eq_u32_e32 0, v5
	s_cbranch_execz .LBB6_10582
; %bb.10581:                            ;   in Loop: Header=BB6_8449 Depth=2
	v_clz_i32_u32_e32 v3, v3
	s_delay_alu instid0(VALU_DEP_1) | instskip(SKIP_1) | instid1(VALU_DEP_2)
	v_min_u32_e32 v5, 32, v3
	v_mov_b32_e32 v3, v1
	v_subrev_nc_u32_e32 v64, 29, v5
	v_sub_nc_u32_e32 v5, 30, v5
	s_delay_alu instid0(VALU_DEP_2) | instskip(NEXT) | instid1(VALU_DEP_1)
	v_lshlrev_b64_e32 v[2:3], v64, v[2:3]
	v_and_b32_e32 v3, 3, v2
.LBB6_10582:                            ;   in Loop: Header=BB6_8449 Depth=2
	s_or_b32 exec_lo, exec_lo, s40
	v_lshlrev_b32_e32 v2, 16, v52
                                        ; implicit-def: $vgpr52
	s_delay_alu instid0(VALU_DEP_1) | instskip(NEXT) | instid1(VALU_DEP_1)
	v_and_b32_e32 v2, 0x80000000, v2
	v_lshl_add_u32 v2, v5, 23, v2
	s_delay_alu instid0(VALU_DEP_1) | instskip(NEXT) | instid1(VALU_DEP_1)
	v_lshl_or_b32 v2, v3, 21, v2
                                        ; implicit-def: $vgpr3
	v_add_nc_u32_e32 v5, 0x38000000, v2
.LBB6_10583:                            ;   in Loop: Header=BB6_8449 Depth=2
	s_and_not1_saveexec_b32 s40, s7
; %bb.10584:                            ;   in Loop: Header=BB6_8449 Depth=2
	v_cmp_lt_i16_e64 s7, -1, v52
	v_mov_b32_e32 v2, 0x7f800000
	v_cmp_eq_u32_e32 vcc_lo, 0, v3
	s_delay_alu instid0(VALU_DEP_2) | instskip(NEXT) | instid1(VALU_DEP_1)
	v_cndmask_b32_e64 v2, 0xff800000, v2, s7
	v_cndmask_b32_e32 v5, 0x7f800001, v2, vcc_lo
; %bb.10585:                            ;   in Loop: Header=BB6_8449 Depth=2
	s_or_b32 exec_lo, exec_lo, s40
.LBB6_10586:                            ;   in Loop: Header=BB6_8449 Depth=2
	s_delay_alu instid0(SALU_CYCLE_1)
	s_or_b32 exec_lo, exec_lo, s29
.LBB6_10587:                            ;   in Loop: Header=BB6_8449 Depth=2
	s_delay_alu instid0(SALU_CYCLE_1) | instskip(SKIP_2) | instid1(VALU_DEP_1)
	s_or_b32 exec_lo, exec_lo, s28
	v_lshrrev_b16 v2, 8, v23
	s_mov_b32 s28, exec_lo
	v_cmpx_ne_u16_e32 0, v2
	s_cbranch_execz .LBB6_10597
; %bb.10588:                            ;   in Loop: Header=BB6_8449 Depth=2
	v_bfrev_b32_e32 v4, 1
	s_mov_b32 s29, exec_lo
	v_cmpx_ne_u16_e32 0x80, v2
	s_cbranch_execz .LBB6_10596
; %bb.10589:                            ;   in Loop: Header=BB6_8449 Depth=2
	v_and_b32_e32 v52, 0xffff, v2
	s_delay_alu instid0(VALU_DEP_1) | instskip(SKIP_1) | instid1(VALU_DEP_2)
	v_and_b32_e32 v4, 0x7c, v52
	v_and_b32_e32 v3, 3, v52
	v_cmp_ne_u32_e32 vcc_lo, 0x7c, v4
                                        ; implicit-def: $vgpr4
	s_and_saveexec_b32 s7, vcc_lo
	s_delay_alu instid0(SALU_CYCLE_1)
	s_xor_b32 s7, exec_lo, s7
	s_cbranch_execz .LBB6_10593
; %bb.10590:                            ;   in Loop: Header=BB6_8449 Depth=2
	v_bfe_u32 v4, v52, 2, 5
	s_mov_b32 s40, exec_lo
	s_delay_alu instid0(VALU_DEP_1)
	v_cmpx_eq_u32_e32 0, v4
	s_cbranch_execz .LBB6_10592
; %bb.10591:                            ;   in Loop: Header=BB6_8449 Depth=2
	v_clz_i32_u32_e32 v3, v3
	s_delay_alu instid0(VALU_DEP_1) | instskip(SKIP_1) | instid1(VALU_DEP_2)
	v_min_u32_e32 v4, 32, v3
	v_mov_b32_e32 v3, v1
	v_subrev_nc_u32_e32 v52, 29, v4
	v_sub_nc_u32_e32 v4, 30, v4
	s_delay_alu instid0(VALU_DEP_2) | instskip(NEXT) | instid1(VALU_DEP_1)
	v_lshlrev_b64_e32 v[2:3], v52, v[2:3]
	v_and_b32_e32 v3, 3, v2
.LBB6_10592:                            ;   in Loop: Header=BB6_8449 Depth=2
	s_or_b32 exec_lo, exec_lo, s40
	v_lshlrev_b32_e32 v2, 16, v23
	s_delay_alu instid0(VALU_DEP_1) | instskip(NEXT) | instid1(VALU_DEP_1)
	v_and_b32_e32 v2, 0x80000000, v2
	v_lshl_add_u32 v2, v4, 23, v2
	s_delay_alu instid0(VALU_DEP_1) | instskip(NEXT) | instid1(VALU_DEP_1)
	v_lshl_or_b32 v2, v3, 21, v2
                                        ; implicit-def: $vgpr3
	v_add_nc_u32_e32 v4, 0x38000000, v2
.LBB6_10593:                            ;   in Loop: Header=BB6_8449 Depth=2
	s_and_not1_saveexec_b32 s40, s7
; %bb.10594:                            ;   in Loop: Header=BB6_8449 Depth=2
	v_cmp_lt_i16_e64 s7, -1, v23
	v_mov_b32_e32 v2, 0x7f800000
	v_cmp_eq_u32_e32 vcc_lo, 0, v3
	s_delay_alu instid0(VALU_DEP_2) | instskip(NEXT) | instid1(VALU_DEP_1)
	v_cndmask_b32_e64 v2, 0xff800000, v2, s7
	v_cndmask_b32_e32 v4, 0x7f800001, v2, vcc_lo
; %bb.10595:                            ;   in Loop: Header=BB6_8449 Depth=2
	s_or_b32 exec_lo, exec_lo, s40
.LBB6_10596:                            ;   in Loop: Header=BB6_8449 Depth=2
	s_delay_alu instid0(SALU_CYCLE_1)
	s_or_b32 exec_lo, exec_lo, s29
.LBB6_10597:                            ;   in Loop: Header=BB6_8449 Depth=2
	s_delay_alu instid0(SALU_CYCLE_1) | instskip(NEXT) | instid1(VALU_DEP_1)
	s_or_b32 exec_lo, exec_lo, s28
	v_add_f32_e32 v4, v5, v4
	v_dual_mov_b32 v73, v1 :: v_dual_mov_b32 v3, v1
                                        ; implicit-def: $vgpr52
	s_mov_b32 s7, exec_lo
	s_delay_alu instid0(VALU_DEP_2) | instskip(SKIP_2) | instid1(VALU_DEP_3)
	v_and_b32_e32 v72, 0x7f800000, v4
	v_and_b32_e32 v2, 0x7fffff, v4
	v_lshrrev_b32_e32 v5, 24, v4
	v_cmpx_ne_u64_e32 0x7f800000, v[72:73]
	s_xor_b32 s28, exec_lo, s7
	s_cbranch_execz .LBB6_10611
; %bb.10598:                            ;   in Loop: Header=BB6_8449 Depth=2
	v_and_b32_e32 v72, 0x7fffffff, v4
	v_mov_b32_e32 v73, v1
	v_and_b32_e32 v64, 0x80, v5
                                        ; implicit-def: $vgpr52
	s_mov_b32 s7, exec_lo
	s_delay_alu instid0(VALU_DEP_2)
	v_cmpx_gt_u64_e32 0x47600001, v[72:73]
	s_xor_b32 s29, exec_lo, s7
	s_cbranch_execz .LBB6_10608
; %bb.10599:                            ;   in Loop: Header=BB6_8449 Depth=2
	v_mov_b32_e32 v52, 0
	s_mov_b32 s40, exec_lo
	v_cmpx_ne_u32_e32 0, v4
	s_cbranch_execz .LBB6_10607
; %bb.10600:                            ;   in Loop: Header=BB6_8449 Depth=2
	v_bfe_u32 v52, v4, 23, 8
	v_or_b32_e32 v5, 0x800000, v2
	s_delay_alu instid0(VALU_DEP_2) | instskip(SKIP_2) | instid1(VALU_DEP_2)
	v_cmp_gt_u32_e64 s7, 0x72, v52
	v_sub_nc_u32_e32 v4, 0x71, v52
	v_cmp_eq_u32_e32 vcc_lo, 0, v52
	v_dual_cndmask_b32 v4, 0, v4, s7 :: v_dual_cndmask_b32 v2, v5, v2, vcc_lo
	s_delay_alu instid0(VALU_DEP_1) | instskip(NEXT) | instid1(VALU_DEP_1)
	v_cndmask_b32_e64 v72, v4, 0x70, vcc_lo
	v_dual_add_nc_u32 v4, 21, v72 :: v_dual_add_nc_u32 v73, 20, v72
	s_delay_alu instid0(VALU_DEP_1) | instskip(NEXT) | instid1(VALU_DEP_2)
	v_lshlrev_b64_e64 v[4:5], v4, -1
	v_lshlrev_b64_e64 v[74:75], v73, 1
	s_delay_alu instid0(VALU_DEP_2) | instskip(SKIP_1) | instid1(VALU_DEP_4)
	v_bfi_b32 v4, v4, 0, v2
	v_lshrrev_b64 v[2:3], v72, v[2:3]
	v_bfi_b32 v5, v5, 0, 0
	s_delay_alu instid0(VALU_DEP_1) | instskip(NEXT) | instid1(VALU_DEP_3)
	v_cmp_eq_u64_e64 s7, v[4:5], v[74:75]
	v_mov_b64_e32 v[4:5], v[2:3]
	s_and_saveexec_b32 s41, s7
; %bb.10601:                            ;   in Loop: Header=BB6_8449 Depth=2
	v_bfe_u32 v4, v2, 21, 1
	v_mov_b32_e32 v5, v1
	s_delay_alu instid0(VALU_DEP_1) | instskip(NEXT) | instid1(VALU_DEP_1)
	v_add_nc_u64_e32 v[4:5], v[2:3], v[4:5]
	v_add_nc_u64_e32 v[4:5], -1, v[4:5]
; %bb.10602:                            ;   in Loop: Header=BB6_8449 Depth=2
	s_or_b32 exec_lo, exec_lo, s41
	v_add_nc_u32_e32 v3, 0xffffff81, v52
	v_lshrrev_b32_e32 v5, 23, v2
	s_mov_b32 s7, exec_lo
	s_delay_alu instid0(VALU_DEP_2) | instskip(NEXT) | instid1(VALU_DEP_1)
	v_cndmask_b32_e64 v3, v3, 0xffffff82, vcc_lo
	v_add3_u32 v52, v72, v3, v5
	v_and_b32_e32 v3, 0x1fffff, v4
                                        ; implicit-def: $vgpr4
	s_delay_alu instid0(VALU_DEP_1) | instskip(SKIP_1) | instid1(VALU_DEP_2)
	v_dual_add_nc_u32 v5, 14, v52 :: v_dual_add_nc_u32 v2, v3, v2
	v_mov_b32_e32 v3, v1
	v_cmpx_ne_u32_e32 0, v5
	s_xor_b32 s7, exec_lo, s7
; %bb.10603:                            ;   in Loop: Header=BB6_8449 Depth=2
	s_delay_alu instid0(VALU_DEP_2) | instskip(SKIP_1) | instid1(VALU_DEP_1)
	v_cmp_lt_u64_e32 vcc_lo, 0xffffff, v[2:3]
	v_add_nc_u32_e32 v4, 15, v52
	v_cndmask_b32_e32 v4, v5, v4, vcc_lo
	v_cndmask_b32_e64 v5, 0, 1, vcc_lo
	s_delay_alu instid0(VALU_DEP_1)
	v_lshrrev_b64 v[2:3], v5, v[2:3]
; %bb.10604:                            ;   in Loop: Header=BB6_8449 Depth=2
	s_and_not1_saveexec_b32 s7, s7
; %bb.10605:                            ;   in Loop: Header=BB6_8449 Depth=2
	s_delay_alu instid0(VALU_DEP_1)
	v_bfe_u32 v4, v2, 23, 1
; %bb.10606:                            ;   in Loop: Header=BB6_8449 Depth=2
	s_or_b32 exec_lo, exec_lo, s7
	s_delay_alu instid0(VALU_DEP_2) | instskip(NEXT) | instid1(VALU_DEP_2)
	v_lshrrev_b64 v[2:3], 21, v[2:3]
	v_cmp_gt_i32_e32 vcc_lo, 32, v4
	v_min_i32_e32 v5, 31, v4
	v_cmp_eq_u32_e64 s7, 0, v4
	s_delay_alu instid0(VALU_DEP_2) | instskip(SKIP_1) | instid1(VALU_DEP_2)
	v_dual_cndmask_b32 v3, 0, v3, vcc_lo :: v_dual_lshlrev_b32 v5, 2, v5
	v_cndmask_b32_e32 v2, 3, v2, vcc_lo
	v_and_b32_e32 v5, 0xfc, v5
	s_delay_alu instid0(VALU_DEP_2) | instskip(NEXT) | instid1(VALU_DEP_2)
	v_cmp_eq_u64_e32 vcc_lo, 0, v[2:3]
	v_and_or_b32 v2, v2, 3, v5
	s_and_b32 s7, s7, vcc_lo
	s_delay_alu instid0(VALU_DEP_1) | instid1(SALU_CYCLE_1)
	v_cndmask_b32_e64 v2, v2, 0, s7
	s_delay_alu instid0(VALU_DEP_1)
	v_or_b32_e32 v52, v2, v64
.LBB6_10607:                            ;   in Loop: Header=BB6_8449 Depth=2
	s_or_b32 exec_lo, exec_lo, s40
                                        ; implicit-def: $vgpr64
.LBB6_10608:                            ;   in Loop: Header=BB6_8449 Depth=2
	s_and_not1_saveexec_b32 s7, s29
; %bb.10609:                            ;   in Loop: Header=BB6_8449 Depth=2
	v_or_b32_e32 v52, 0x7b, v64
; %bb.10610:                            ;   in Loop: Header=BB6_8449 Depth=2
	s_or_b32 exec_lo, exec_lo, s7
                                        ; implicit-def: $vgpr4
                                        ; implicit-def: $vgpr2_vgpr3
                                        ; implicit-def: $vgpr5
.LBB6_10611:                            ;   in Loop: Header=BB6_8449 Depth=2
	s_and_not1_saveexec_b32 s7, s28
	s_cbranch_execz .LBB6_10617
; %bb.10612:                            ;   in Loop: Header=BB6_8449 Depth=2
	s_mov_b32 s28, exec_lo
                                        ; implicit-def: $vgpr52
	v_cmpx_ne_u64_e32 0, v[2:3]
	s_xor_b32 s28, exec_lo, s28
; %bb.10613:                            ;   in Loop: Header=BB6_8449 Depth=2
	v_or_b32_e32 v52, 0x7f, v5
                                        ; implicit-def: $vgpr4
; %bb.10614:                            ;   in Loop: Header=BB6_8449 Depth=2
	s_and_not1_saveexec_b32 s28, s28
; %bb.10615:                            ;   in Loop: Header=BB6_8449 Depth=2
	v_cmp_lt_i32_e32 vcc_lo, -1, v4
	v_mov_b32_e32 v2, 0x7c
	s_delay_alu instid0(VALU_DEP_1)
	v_cndmask_b32_e32 v52, 0xfc, v2, vcc_lo
; %bb.10616:                            ;   in Loop: Header=BB6_8449 Depth=2
	s_or_b32 exec_lo, exec_lo, s28
.LBB6_10617:                            ;   in Loop: Header=BB6_8449 Depth=2
	s_delay_alu instid0(SALU_CYCLE_1) | instskip(SKIP_3) | instid1(VALU_DEP_2)
	s_or_b32 exec_lo, exec_lo, s7
	v_dual_mov_b32 v3, 0 :: v_dual_lshrrev_b32 v2, 16, v0
	v_mov_b32_e32 v4, 0
	s_mov_b32 s28, exec_lo
	v_and_b32_e32 v5, 0xff, v2
	s_delay_alu instid0(VALU_DEP_1)
	v_cmpx_ne_u16_e32 0, v5
	s_cbranch_execz .LBB6_10627
; %bb.10618:                            ;   in Loop: Header=BB6_8449 Depth=2
	v_bfrev_b32_e32 v4, 1
	s_mov_b32 s29, exec_lo
	v_cmpx_ne_u16_e32 0x80, v5
	s_cbranch_execz .LBB6_10626
; %bb.10619:                            ;   in Loop: Header=BB6_8449 Depth=2
	v_and_b32_e32 v4, 0x7c0000, v0
	v_bfe_u32 v5, v0, 16, 2
	s_delay_alu instid0(VALU_DEP_2) | instskip(SKIP_1) | instid1(SALU_CYCLE_1)
	v_cmp_ne_u32_e32 vcc_lo, 0x7c0000, v4
                                        ; implicit-def: $vgpr4
	s_and_saveexec_b32 s7, vcc_lo
	s_xor_b32 s7, exec_lo, s7
	s_cbranch_execz .LBB6_10623
; %bb.10620:                            ;   in Loop: Header=BB6_8449 Depth=2
	v_bfe_u32 v4, v0, 18, 5
	s_mov_b32 s40, exec_lo
	s_delay_alu instid0(VALU_DEP_1)
	v_cmpx_eq_u32_e32 0, v4
; %bb.10621:                            ;   in Loop: Header=BB6_8449 Depth=2
	v_clz_i32_u32_e32 v4, v5
	s_delay_alu instid0(VALU_DEP_1) | instskip(NEXT) | instid1(VALU_DEP_1)
	v_min_u32_e32 v4, 32, v4
	v_subrev_nc_u32_e32 v5, 29, v4
	v_sub_nc_u32_e32 v4, 30, v4
	s_delay_alu instid0(VALU_DEP_2) | instskip(NEXT) | instid1(VALU_DEP_1)
	v_lshlrev_b64_e32 v[72:73], v5, v[2:3]
	v_and_b32_e32 v5, 3, v72
; %bb.10622:                            ;   in Loop: Header=BB6_8449 Depth=2
	s_or_b32 exec_lo, exec_lo, s40
	v_lshlrev_b32_e32 v2, 24, v2
	s_delay_alu instid0(VALU_DEP_1) | instskip(NEXT) | instid1(VALU_DEP_1)
	v_and_b32_e32 v2, 0x80000000, v2
	v_lshl_add_u32 v2, v4, 23, v2
	s_delay_alu instid0(VALU_DEP_1) | instskip(NEXT) | instid1(VALU_DEP_1)
	v_lshl_or_b32 v2, v5, 21, v2
                                        ; implicit-def: $vgpr5
	v_add_nc_u32_e32 v4, 0x38000000, v2
                                        ; implicit-def: $vgpr2
.LBB6_10623:                            ;   in Loop: Header=BB6_8449 Depth=2
	s_and_not1_saveexec_b32 s40, s7
; %bb.10624:                            ;   in Loop: Header=BB6_8449 Depth=2
	v_bfe_i32 v2, v2, 0, 8
	v_cmp_eq_u32_e32 vcc_lo, 0, v5
	s_delay_alu instid0(VALU_DEP_2) | instskip(SKIP_1) | instid1(VALU_DEP_1)
	v_cmp_lt_i16_e64 s7, -1, v2
	v_mov_b32_e32 v2, 0x7f800000
	v_cndmask_b32_e64 v2, 0xff800000, v2, s7
	s_delay_alu instid0(VALU_DEP_1)
	v_cndmask_b32_e32 v4, 0x7f800001, v2, vcc_lo
; %bb.10625:                            ;   in Loop: Header=BB6_8449 Depth=2
	s_or_b32 exec_lo, exec_lo, s40
.LBB6_10626:                            ;   in Loop: Header=BB6_8449 Depth=2
	s_delay_alu instid0(SALU_CYCLE_1)
	s_or_b32 exec_lo, exec_lo, s29
.LBB6_10627:                            ;   in Loop: Header=BB6_8449 Depth=2
	s_delay_alu instid0(SALU_CYCLE_1) | instskip(SKIP_2) | instid1(VALU_DEP_1)
	s_or_b32 exec_lo, exec_lo, s28
	v_lshrrev_b32_e32 v2, 16, v23
	s_mov_b32 s28, exec_lo
	v_and_b32_e32 v5, 0xff, v2
	s_delay_alu instid0(VALU_DEP_1)
	v_cmpx_ne_u16_e32 0, v5
	s_cbranch_execz .LBB6_10637
; %bb.10628:                            ;   in Loop: Header=BB6_8449 Depth=2
	v_bfrev_b32_e32 v3, 1
	s_mov_b32 s29, exec_lo
	v_cmpx_ne_u16_e32 0x80, v5
	s_cbranch_execz .LBB6_10636
; %bb.10629:                            ;   in Loop: Header=BB6_8449 Depth=2
	v_and_b32_e32 v3, 0x7c0000, v23
	v_bfe_u32 v5, v23, 16, 2
	s_delay_alu instid0(VALU_DEP_2) | instskip(SKIP_1) | instid1(SALU_CYCLE_1)
	v_cmp_ne_u32_e32 vcc_lo, 0x7c0000, v3
                                        ; implicit-def: $vgpr3
	s_and_saveexec_b32 s7, vcc_lo
	s_xor_b32 s7, exec_lo, s7
	s_cbranch_execz .LBB6_10633
; %bb.10630:                            ;   in Loop: Header=BB6_8449 Depth=2
	v_bfe_u32 v3, v23, 18, 5
	s_mov_b32 s40, exec_lo
	s_delay_alu instid0(VALU_DEP_1)
	v_cmpx_eq_u32_e32 0, v3
; %bb.10631:                            ;   in Loop: Header=BB6_8449 Depth=2
	v_clz_i32_u32_e32 v3, v5
	s_delay_alu instid0(VALU_DEP_1) | instskip(NEXT) | instid1(VALU_DEP_1)
	v_min_u32_e32 v3, 32, v3
	v_subrev_nc_u32_e32 v5, 29, v3
	s_delay_alu instid0(VALU_DEP_1) | instskip(NEXT) | instid1(VALU_DEP_1)
	v_lshlrev_b64_e32 v[72:73], v5, v[2:3]
	v_dual_sub_nc_u32 v3, 30, v3 :: v_dual_bitop2_b32 v5, 3, v72 bitop3:0x40
; %bb.10632:                            ;   in Loop: Header=BB6_8449 Depth=2
	s_or_b32 exec_lo, exec_lo, s40
	v_lshlrev_b32_e32 v2, 24, v2
	s_delay_alu instid0(VALU_DEP_1) | instskip(NEXT) | instid1(VALU_DEP_1)
	v_and_b32_e32 v2, 0x80000000, v2
	v_lshl_add_u32 v2, v3, 23, v2
	s_delay_alu instid0(VALU_DEP_1) | instskip(NEXT) | instid1(VALU_DEP_1)
	v_lshl_or_b32 v2, v5, 21, v2
                                        ; implicit-def: $vgpr5
	v_add_nc_u32_e32 v3, 0x38000000, v2
                                        ; implicit-def: $vgpr2
.LBB6_10633:                            ;   in Loop: Header=BB6_8449 Depth=2
	s_and_not1_saveexec_b32 s40, s7
; %bb.10634:                            ;   in Loop: Header=BB6_8449 Depth=2
	v_bfe_i32 v2, v2, 0, 8
	v_cmp_eq_u32_e32 vcc_lo, 0, v5
	s_delay_alu instid0(VALU_DEP_2) | instskip(SKIP_1) | instid1(VALU_DEP_1)
	v_cmp_lt_i16_e64 s7, -1, v2
	v_mov_b32_e32 v2, 0x7f800000
	v_cndmask_b32_e64 v2, 0xff800000, v2, s7
	s_delay_alu instid0(VALU_DEP_1)
	v_cndmask_b32_e32 v3, 0x7f800001, v2, vcc_lo
; %bb.10635:                            ;   in Loop: Header=BB6_8449 Depth=2
	s_or_b32 exec_lo, exec_lo, s40
.LBB6_10636:                            ;   in Loop: Header=BB6_8449 Depth=2
	s_delay_alu instid0(SALU_CYCLE_1)
	s_or_b32 exec_lo, exec_lo, s29
.LBB6_10637:                            ;   in Loop: Header=BB6_8449 Depth=2
	s_delay_alu instid0(SALU_CYCLE_1) | instskip(NEXT) | instid1(VALU_DEP_1)
	s_or_b32 exec_lo, exec_lo, s28
	v_dual_add_f32 v4, v4, v3 :: v_dual_mov_b32 v73, v1
	v_mov_b32_e32 v3, v1
                                        ; implicit-def: $vgpr64
	s_mov_b32 s7, exec_lo
	s_delay_alu instid0(VALU_DEP_2) | instskip(SKIP_2) | instid1(VALU_DEP_3)
	v_and_b32_e32 v72, 0x7f800000, v4
	v_and_b32_e32 v2, 0x7fffff, v4
	v_lshrrev_b32_e32 v5, 24, v4
	v_cmpx_ne_u64_e32 0x7f800000, v[72:73]
	s_xor_b32 s28, exec_lo, s7
	s_cbranch_execz .LBB6_10651
; %bb.10638:                            ;   in Loop: Header=BB6_8449 Depth=2
	v_and_b32_e32 v72, 0x7fffffff, v4
	v_mov_b32_e32 v73, v1
                                        ; implicit-def: $vgpr64
	s_delay_alu instid0(VALU_DEP_1) | instskip(SKIP_2) | instid1(SALU_CYCLE_1)
	v_cmp_gt_u64_e32 vcc_lo, 0x47600001, v[72:73]
	v_and_b32_e32 v72, 0x80, v5
	s_and_saveexec_b32 s7, vcc_lo
	s_xor_b32 s29, exec_lo, s7
	s_cbranch_execz .LBB6_10648
; %bb.10639:                            ;   in Loop: Header=BB6_8449 Depth=2
	v_mov_b32_e32 v64, 0
	s_mov_b32 s40, exec_lo
	v_cmpx_ne_u32_e32 0, v4
	s_cbranch_execz .LBB6_10647
; %bb.10640:                            ;   in Loop: Header=BB6_8449 Depth=2
	v_bfe_u32 v64, v4, 23, 8
	v_or_b32_e32 v5, 0x800000, v2
	s_delay_alu instid0(VALU_DEP_2) | instskip(SKIP_2) | instid1(VALU_DEP_2)
	v_cmp_gt_u32_e64 s7, 0x72, v64
	v_sub_nc_u32_e32 v4, 0x71, v64
	v_cmp_eq_u32_e32 vcc_lo, 0, v64
	v_dual_cndmask_b32 v4, 0, v4, s7 :: v_dual_cndmask_b32 v2, v5, v2, vcc_lo
	s_delay_alu instid0(VALU_DEP_1) | instskip(NEXT) | instid1(VALU_DEP_1)
	v_cndmask_b32_e64 v73, v4, 0x70, vcc_lo
	v_dual_add_nc_u32 v4, 21, v73 :: v_dual_add_nc_u32 v74, 20, v73
	s_delay_alu instid0(VALU_DEP_1) | instskip(NEXT) | instid1(VALU_DEP_2)
	v_lshlrev_b64_e64 v[4:5], v4, -1
	v_lshlrev_b64_e64 v[74:75], v74, 1
	s_delay_alu instid0(VALU_DEP_2) | instskip(SKIP_1) | instid1(VALU_DEP_4)
	v_bfi_b32 v4, v4, 0, v2
	v_lshrrev_b64 v[2:3], v73, v[2:3]
	v_bfi_b32 v5, v5, 0, 0
	s_delay_alu instid0(VALU_DEP_1) | instskip(NEXT) | instid1(VALU_DEP_3)
	v_cmp_eq_u64_e64 s7, v[4:5], v[74:75]
	v_mov_b64_e32 v[4:5], v[2:3]
	s_and_saveexec_b32 s41, s7
; %bb.10641:                            ;   in Loop: Header=BB6_8449 Depth=2
	v_bfe_u32 v4, v2, 21, 1
	v_mov_b32_e32 v5, v1
	s_delay_alu instid0(VALU_DEP_1) | instskip(NEXT) | instid1(VALU_DEP_1)
	v_add_nc_u64_e32 v[4:5], v[2:3], v[4:5]
	v_add_nc_u64_e32 v[4:5], -1, v[4:5]
; %bb.10642:                            ;   in Loop: Header=BB6_8449 Depth=2
	s_or_b32 exec_lo, exec_lo, s41
	v_add_nc_u32_e32 v3, 0xffffff81, v64
	v_lshrrev_b32_e32 v5, 23, v2
	s_mov_b32 s7, exec_lo
	s_delay_alu instid0(VALU_DEP_2) | instskip(NEXT) | instid1(VALU_DEP_1)
	v_cndmask_b32_e64 v3, v3, 0xffffff82, vcc_lo
	v_add3_u32 v64, v73, v3, v5
	v_and_b32_e32 v3, 0x1fffff, v4
                                        ; implicit-def: $vgpr4
	s_delay_alu instid0(VALU_DEP_1) | instskip(SKIP_1) | instid1(VALU_DEP_2)
	v_dual_add_nc_u32 v5, 14, v64 :: v_dual_add_nc_u32 v2, v3, v2
	v_mov_b32_e32 v3, v1
	v_cmpx_ne_u32_e32 0, v5
	s_xor_b32 s7, exec_lo, s7
; %bb.10643:                            ;   in Loop: Header=BB6_8449 Depth=2
	s_delay_alu instid0(VALU_DEP_2) | instskip(SKIP_1) | instid1(VALU_DEP_1)
	v_cmp_lt_u64_e32 vcc_lo, 0xffffff, v[2:3]
	v_add_nc_u32_e32 v4, 15, v64
	v_cndmask_b32_e32 v4, v5, v4, vcc_lo
	v_cndmask_b32_e64 v5, 0, 1, vcc_lo
	s_delay_alu instid0(VALU_DEP_1)
	v_lshrrev_b64 v[2:3], v5, v[2:3]
; %bb.10644:                            ;   in Loop: Header=BB6_8449 Depth=2
	s_and_not1_saveexec_b32 s7, s7
; %bb.10645:                            ;   in Loop: Header=BB6_8449 Depth=2
	s_delay_alu instid0(VALU_DEP_1)
	v_bfe_u32 v4, v2, 23, 1
; %bb.10646:                            ;   in Loop: Header=BB6_8449 Depth=2
	s_or_b32 exec_lo, exec_lo, s7
	s_delay_alu instid0(VALU_DEP_2) | instskip(NEXT) | instid1(VALU_DEP_2)
	v_lshrrev_b64 v[2:3], 21, v[2:3]
	v_cmp_gt_i32_e32 vcc_lo, 32, v4
	v_min_i32_e32 v5, 31, v4
	v_cmp_eq_u32_e64 s7, 0, v4
	s_delay_alu instid0(VALU_DEP_2) | instskip(SKIP_1) | instid1(VALU_DEP_2)
	v_dual_cndmask_b32 v3, 0, v3, vcc_lo :: v_dual_lshlrev_b32 v5, 2, v5
	v_cndmask_b32_e32 v2, 3, v2, vcc_lo
	v_and_b32_e32 v5, 0xfc, v5
	s_delay_alu instid0(VALU_DEP_2) | instskip(NEXT) | instid1(VALU_DEP_2)
	v_cmp_eq_u64_e32 vcc_lo, 0, v[2:3]
	v_and_or_b32 v2, v2, 3, v5
	s_and_b32 s7, s7, vcc_lo
	s_delay_alu instid0(VALU_DEP_1) | instid1(SALU_CYCLE_1)
	v_cndmask_b32_e64 v2, v2, 0, s7
	s_delay_alu instid0(VALU_DEP_1)
	v_or_b32_e32 v64, v2, v72
.LBB6_10647:                            ;   in Loop: Header=BB6_8449 Depth=2
	s_or_b32 exec_lo, exec_lo, s40
                                        ; implicit-def: $vgpr72
.LBB6_10648:                            ;   in Loop: Header=BB6_8449 Depth=2
	s_and_not1_saveexec_b32 s7, s29
; %bb.10649:                            ;   in Loop: Header=BB6_8449 Depth=2
	v_or_b32_e32 v64, 0x7b, v72
; %bb.10650:                            ;   in Loop: Header=BB6_8449 Depth=2
	s_or_b32 exec_lo, exec_lo, s7
                                        ; implicit-def: $vgpr4
                                        ; implicit-def: $vgpr2_vgpr3
                                        ; implicit-def: $vgpr5
.LBB6_10651:                            ;   in Loop: Header=BB6_8449 Depth=2
	s_and_not1_saveexec_b32 s7, s28
	s_cbranch_execz .LBB6_10657
; %bb.10652:                            ;   in Loop: Header=BB6_8449 Depth=2
	s_mov_b32 s28, exec_lo
                                        ; implicit-def: $vgpr64
	v_cmpx_ne_u64_e32 0, v[2:3]
	s_xor_b32 s28, exec_lo, s28
; %bb.10653:                            ;   in Loop: Header=BB6_8449 Depth=2
	v_or_b32_e32 v64, 0x7f, v5
                                        ; implicit-def: $vgpr4
; %bb.10654:                            ;   in Loop: Header=BB6_8449 Depth=2
	s_and_not1_saveexec_b32 s28, s28
; %bb.10655:                            ;   in Loop: Header=BB6_8449 Depth=2
	v_cmp_lt_i32_e32 vcc_lo, -1, v4
	v_mov_b32_e32 v2, 0x7c
	s_delay_alu instid0(VALU_DEP_1)
	v_cndmask_b32_e32 v64, 0xfc, v2, vcc_lo
; %bb.10656:                            ;   in Loop: Header=BB6_8449 Depth=2
	s_or_b32 exec_lo, exec_lo, s28
.LBB6_10657:                            ;   in Loop: Header=BB6_8449 Depth=2
	s_delay_alu instid0(SALU_CYCLE_1)
	s_or_b32 exec_lo, exec_lo, s7
	v_dual_mov_b32 v3, 0 :: v_dual_mov_b32 v4, 0
	s_mov_b32 s28, exec_lo
	v_cmpx_lt_u32_e32 0xffffff, v0
	s_cbranch_execz .LBB6_10667
; %bb.10658:                            ;   in Loop: Header=BB6_8449 Depth=2
	v_lshrrev_b32_e32 v2, 24, v0
	v_bfrev_b32_e32 v4, 1
	s_mov_b32 s29, exec_lo
	s_delay_alu instid0(VALU_DEP_2)
	v_cmpx_ne_u32_e32 0x80, v2
	s_cbranch_execz .LBB6_10666
; %bb.10659:                            ;   in Loop: Header=BB6_8449 Depth=2
	v_and_b32_e32 v4, 0x7c000000, v0
	v_bfe_u32 v5, v0, 24, 2
	s_delay_alu instid0(VALU_DEP_2) | instskip(SKIP_1) | instid1(SALU_CYCLE_1)
	v_cmp_ne_u32_e32 vcc_lo, 0x7c000000, v4
                                        ; implicit-def: $vgpr4
	s_and_saveexec_b32 s7, vcc_lo
	s_xor_b32 s7, exec_lo, s7
	s_cbranch_execz .LBB6_10663
; %bb.10660:                            ;   in Loop: Header=BB6_8449 Depth=2
	v_bfe_u32 v4, v0, 26, 5
	s_mov_b32 s40, exec_lo
	s_delay_alu instid0(VALU_DEP_1)
	v_cmpx_eq_u32_e32 0, v4
; %bb.10661:                            ;   in Loop: Header=BB6_8449 Depth=2
	v_clz_i32_u32_e32 v4, v5
	s_delay_alu instid0(VALU_DEP_1) | instskip(NEXT) | instid1(VALU_DEP_1)
	v_min_u32_e32 v4, 32, v4
	v_subrev_nc_u32_e32 v5, 29, v4
	v_sub_nc_u32_e32 v4, 30, v4
	s_delay_alu instid0(VALU_DEP_2) | instskip(NEXT) | instid1(VALU_DEP_1)
	v_lshlrev_b64_e32 v[72:73], v5, v[2:3]
	v_and_b32_e32 v5, 3, v72
; %bb.10662:                            ;   in Loop: Header=BB6_8449 Depth=2
	s_or_b32 exec_lo, exec_lo, s40
	v_and_b32_e32 v0, 0x80000000, v0
	s_delay_alu instid0(VALU_DEP_1) | instskip(NEXT) | instid1(VALU_DEP_1)
	v_lshl_add_u32 v0, v4, 23, v0
	v_lshl_or_b32 v0, v5, 21, v0
                                        ; implicit-def: $vgpr5
	s_delay_alu instid0(VALU_DEP_1)
	v_add_nc_u32_e32 v4, 0x38000000, v0
.LBB6_10663:                            ;   in Loop: Header=BB6_8449 Depth=2
	s_and_not1_saveexec_b32 s40, s7
; %bb.10664:                            ;   in Loop: Header=BB6_8449 Depth=2
	v_cmp_lt_i32_e64 s7, -1, v0
	v_mov_b32_e32 v0, 0x7f800000
	v_cmp_eq_u32_e32 vcc_lo, 0, v5
	s_delay_alu instid0(VALU_DEP_2) | instskip(NEXT) | instid1(VALU_DEP_1)
	v_cndmask_b32_e64 v0, 0xff800000, v0, s7
	v_cndmask_b32_e32 v4, 0x7f800001, v0, vcc_lo
; %bb.10665:                            ;   in Loop: Header=BB6_8449 Depth=2
	s_or_b32 exec_lo, exec_lo, s40
.LBB6_10666:                            ;   in Loop: Header=BB6_8449 Depth=2
	s_delay_alu instid0(SALU_CYCLE_1)
	s_or_b32 exec_lo, exec_lo, s29
.LBB6_10667:                            ;   in Loop: Header=BB6_8449 Depth=2
	s_delay_alu instid0(SALU_CYCLE_1) | instskip(NEXT) | instid1(SALU_CYCLE_1)
	s_or_b32 exec_lo, exec_lo, s28
	s_mov_b32 s28, exec_lo
	v_cmpx_lt_u64_e64 s[12:13], v[22:23]
	s_cbranch_execz .LBB6_10677
; %bb.10668:                            ;   in Loop: Header=BB6_8449 Depth=2
	v_lshrrev_b32_e32 v0, 24, v23
	v_bfrev_b32_e32 v3, 1
	s_mov_b32 s29, exec_lo
	s_delay_alu instid0(VALU_DEP_2)
	v_cmpx_ne_u32_e32 0x80, v0
	s_cbranch_execz .LBB6_10676
; %bb.10669:                            ;   in Loop: Header=BB6_8449 Depth=2
	v_and_b32_e32 v3, 0x7c000000, v23
	v_bfe_u32 v2, v23, 24, 2
	s_delay_alu instid0(VALU_DEP_2) | instskip(SKIP_1) | instid1(SALU_CYCLE_1)
	v_cmp_ne_u32_e32 vcc_lo, 0x7c000000, v3
                                        ; implicit-def: $vgpr3
	s_and_saveexec_b32 s7, vcc_lo
	s_xor_b32 s7, exec_lo, s7
	s_cbranch_execz .LBB6_10673
; %bb.10670:                            ;   in Loop: Header=BB6_8449 Depth=2
	v_bfe_u32 v3, v23, 26, 5
	s_mov_b32 s40, exec_lo
	s_delay_alu instid0(VALU_DEP_1)
	v_cmpx_eq_u32_e32 0, v3
; %bb.10671:                            ;   in Loop: Header=BB6_8449 Depth=2
	v_clz_i32_u32_e32 v2, v2
	s_delay_alu instid0(VALU_DEP_1) | instskip(NEXT) | instid1(VALU_DEP_1)
	v_min_u32_e32 v5, 32, v2
	v_subrev_nc_u32_e32 v2, 29, v5
	s_delay_alu instid0(VALU_DEP_1) | instskip(NEXT) | instid1(VALU_DEP_1)
	v_lshlrev_b64_e32 v[2:3], v2, v[0:1]
	v_dual_sub_nc_u32 v3, 30, v5 :: v_dual_bitop2_b32 v2, 3, v2 bitop3:0x40
; %bb.10672:                            ;   in Loop: Header=BB6_8449 Depth=2
	s_or_b32 exec_lo, exec_lo, s40
	v_and_b32_e32 v0, 0x80000000, v23
	s_delay_alu instid0(VALU_DEP_1) | instskip(NEXT) | instid1(VALU_DEP_1)
	v_lshl_add_u32 v0, v3, 23, v0
	v_lshl_or_b32 v0, v2, 21, v0
                                        ; implicit-def: $vgpr2
	s_delay_alu instid0(VALU_DEP_1)
	v_add_nc_u32_e32 v3, 0x38000000, v0
.LBB6_10673:                            ;   in Loop: Header=BB6_8449 Depth=2
	s_and_not1_saveexec_b32 s40, s7
; %bb.10674:                            ;   in Loop: Header=BB6_8449 Depth=2
	v_cmp_lt_i64_e64 s7, -1, v[22:23]
	v_mov_b32_e32 v0, 0x7f800000
	v_cmp_eq_u32_e32 vcc_lo, 0, v2
	s_delay_alu instid0(VALU_DEP_2) | instskip(NEXT) | instid1(VALU_DEP_1)
	v_cndmask_b32_e64 v0, 0xff800000, v0, s7
	v_cndmask_b32_e32 v3, 0x7f800001, v0, vcc_lo
; %bb.10675:                            ;   in Loop: Header=BB6_8449 Depth=2
	s_or_b32 exec_lo, exec_lo, s40
.LBB6_10676:                            ;   in Loop: Header=BB6_8449 Depth=2
	s_delay_alu instid0(SALU_CYCLE_1)
	s_or_b32 exec_lo, exec_lo, s29
.LBB6_10677:                            ;   in Loop: Header=BB6_8449 Depth=2
	s_delay_alu instid0(SALU_CYCLE_1) | instskip(NEXT) | instid1(VALU_DEP_1)
	s_or_b32 exec_lo, exec_lo, s28
	v_dual_add_f32 v2, v4, v3 :: v_dual_mov_b32 v5, v1
                                        ; implicit-def: $vgpr22
	s_mov_b32 s7, exec_lo
	s_delay_alu instid0(VALU_DEP_1) | instskip(SKIP_2) | instid1(VALU_DEP_3)
	v_and_b32_e32 v4, 0x7f800000, v2
	v_and_b32_e32 v0, 0x7fffff, v2
	v_lshrrev_b32_e32 v3, 24, v2
	v_cmpx_ne_u64_e32 0x7f800000, v[4:5]
	s_xor_b32 s28, exec_lo, s7
	s_cbranch_execz .LBB6_10691
; %bb.10678:                            ;   in Loop: Header=BB6_8449 Depth=2
	v_and_b32_e32 v4, 0x7fffffff, v2
	v_mov_b32_e32 v5, v1
	v_and_b32_e32 v23, 0x80, v3
                                        ; implicit-def: $vgpr22
	s_mov_b32 s7, exec_lo
	s_delay_alu instid0(VALU_DEP_2)
	v_cmpx_gt_u64_e32 0x47600001, v[4:5]
	s_xor_b32 s29, exec_lo, s7
	s_cbranch_execz .LBB6_10688
; %bb.10679:                            ;   in Loop: Header=BB6_8449 Depth=2
	v_mov_b32_e32 v22, 0
	s_mov_b32 s40, exec_lo
	v_cmpx_ne_u32_e32 0, v2
	s_cbranch_execz .LBB6_10687
; %bb.10680:                            ;   in Loop: Header=BB6_8449 Depth=2
	v_bfe_u32 v22, v2, 23, 8
	v_or_b32_e32 v3, 0x800000, v0
	s_delay_alu instid0(VALU_DEP_2) | instskip(SKIP_2) | instid1(VALU_DEP_2)
	v_cmp_gt_u32_e64 s7, 0x72, v22
	v_sub_nc_u32_e32 v2, 0x71, v22
	v_cmp_eq_u32_e32 vcc_lo, 0, v22
	v_cndmask_b32_e64 v2, 0, v2, s7
	s_delay_alu instid0(VALU_DEP_1) | instskip(SKIP_1) | instid1(VALU_DEP_2)
	v_cndmask_b32_e64 v72, v2, 0x70, vcc_lo
	v_dual_cndmask_b32 v2, v3, v0 :: v_dual_mov_b32 v3, v1
	v_add_nc_u32_e32 v0, 21, v72
	s_delay_alu instid0(VALU_DEP_1) | instskip(SKIP_1) | instid1(VALU_DEP_1)
	v_lshlrev_b64_e64 v[4:5], v0, -1
	v_add_nc_u32_e32 v0, 20, v72
	v_lshlrev_b64_e64 v[74:75], v0, 1
	s_delay_alu instid0(VALU_DEP_3) | instskip(SKIP_2) | instid1(VALU_DEP_1)
	v_bfi_b32 v4, v4, 0, v2
	v_lshrrev_b64 v[2:3], v72, v[2:3]
	v_bfi_b32 v5, v5, 0, 0
	v_cmp_eq_u64_e64 s7, v[4:5], v[74:75]
	s_delay_alu instid0(VALU_DEP_3)
	v_mov_b64_e32 v[4:5], v[2:3]
	s_and_saveexec_b32 s41, s7
; %bb.10681:                            ;   in Loop: Header=BB6_8449 Depth=2
	v_bfe_u32 v4, v2, 21, 1
	v_mov_b32_e32 v5, v1
	s_delay_alu instid0(VALU_DEP_1) | instskip(NEXT) | instid1(VALU_DEP_1)
	v_add_nc_u64_e32 v[4:5], v[2:3], v[4:5]
	v_add_nc_u64_e32 v[4:5], -1, v[4:5]
; %bb.10682:                            ;   in Loop: Header=BB6_8449 Depth=2
	s_or_b32 exec_lo, exec_lo, s41
	v_add_nc_u32_e32 v0, 0xffffff81, v22
	v_lshrrev_b32_e32 v3, 23, v2
	s_mov_b32 s7, exec_lo
	s_delay_alu instid0(VALU_DEP_2) | instskip(NEXT) | instid1(VALU_DEP_1)
	v_cndmask_b32_e64 v0, v0, 0xffffff82, vcc_lo
	v_add3_u32 v22, v72, v0, v3
	v_and_b32_e32 v0, 0x1fffff, v4
                                        ; implicit-def: $vgpr4
	s_delay_alu instid0(VALU_DEP_2) | instskip(NEXT) | instid1(VALU_DEP_2)
	v_add_nc_u32_e32 v5, 14, v22
	v_add_nc_u32_e32 v0, v0, v2
                                        ; implicit-def: $vgpr2_vgpr3
	s_delay_alu instid0(VALU_DEP_2)
	v_cmpx_ne_u32_e32 0, v5
	s_xor_b32 s7, exec_lo, s7
; %bb.10683:                            ;   in Loop: Header=BB6_8449 Depth=2
	s_delay_alu instid0(VALU_DEP_2) | instskip(SKIP_1) | instid1(VALU_DEP_1)
	v_cmp_lt_u64_e32 vcc_lo, 0xffffff, v[0:1]
	v_add_nc_u32_e32 v2, 15, v22
	v_cndmask_b32_e32 v4, v5, v2, vcc_lo
	v_cndmask_b32_e64 v2, 0, 1, vcc_lo
	s_delay_alu instid0(VALU_DEP_1)
	v_lshrrev_b64 v[2:3], v2, v[0:1]
; %bb.10684:                            ;   in Loop: Header=BB6_8449 Depth=2
	s_and_not1_saveexec_b32 s7, s7
; %bb.10685:                            ;   in Loop: Header=BB6_8449 Depth=2
	v_mov_b64_e32 v[2:3], v[0:1]
	v_bfe_u32 v4, v0, 23, 1
; %bb.10686:                            ;   in Loop: Header=BB6_8449 Depth=2
	s_or_b32 exec_lo, exec_lo, s7
	s_delay_alu instid0(VALU_DEP_2) | instskip(NEXT) | instid1(VALU_DEP_2)
	v_lshrrev_b64 v[2:3], 21, v[2:3]
	v_cmp_gt_i32_e32 vcc_lo, 32, v4
	v_min_i32_e32 v0, 31, v4
	v_cmp_eq_u32_e64 s7, 0, v4
	s_delay_alu instid0(VALU_DEP_2) | instskip(SKIP_1) | instid1(VALU_DEP_2)
	v_dual_cndmask_b32 v3, 0, v3 :: v_dual_lshlrev_b32 v0, 2, v0
	v_cndmask_b32_e32 v2, 3, v2, vcc_lo
	v_and_b32_e32 v0, 0xfc, v0
	s_delay_alu instid0(VALU_DEP_2) | instskip(NEXT) | instid1(VALU_DEP_2)
	v_cmp_eq_u64_e32 vcc_lo, 0, v[2:3]
	v_and_or_b32 v0, v2, 3, v0
	s_and_b32 s7, s7, vcc_lo
	s_delay_alu instid0(VALU_DEP_1) | instid1(SALU_CYCLE_1)
	v_cndmask_b32_e64 v0, v0, 0, s7
	s_delay_alu instid0(VALU_DEP_1)
	v_or_b32_e32 v22, v0, v23
.LBB6_10687:                            ;   in Loop: Header=BB6_8449 Depth=2
	s_or_b32 exec_lo, exec_lo, s40
                                        ; implicit-def: $vgpr23
.LBB6_10688:                            ;   in Loop: Header=BB6_8449 Depth=2
	s_and_not1_saveexec_b32 s7, s29
; %bb.10689:                            ;   in Loop: Header=BB6_8449 Depth=2
	v_or_b32_e32 v22, 0x7b, v23
; %bb.10690:                            ;   in Loop: Header=BB6_8449 Depth=2
	s_or_b32 exec_lo, exec_lo, s7
                                        ; implicit-def: $vgpr2
                                        ; implicit-def: $vgpr3
.LBB6_10691:                            ;   in Loop: Header=BB6_8449 Depth=2
	s_and_not1_saveexec_b32 s7, s28
	s_cbranch_execz .LBB6_10697
; %bb.10692:                            ;   in Loop: Header=BB6_8449 Depth=2
	s_mov_b32 s28, exec_lo
                                        ; implicit-def: $vgpr22
	v_cmpx_ne_u64_e32 0, v[0:1]
	s_xor_b32 s28, exec_lo, s28
; %bb.10693:                            ;   in Loop: Header=BB6_8449 Depth=2
	v_or_b32_e32 v22, 0x7f, v3
                                        ; implicit-def: $vgpr2
; %bb.10694:                            ;   in Loop: Header=BB6_8449 Depth=2
	s_and_not1_saveexec_b32 s28, s28
; %bb.10695:                            ;   in Loop: Header=BB6_8449 Depth=2
	v_cmp_lt_i32_e32 vcc_lo, -1, v2
	v_mov_b32_e32 v0, 0x7c
	s_delay_alu instid0(VALU_DEP_1)
	v_cndmask_b32_e32 v22, 0xfc, v0, vcc_lo
; %bb.10696:                            ;   in Loop: Header=BB6_8449 Depth=2
	s_or_b32 exec_lo, exec_lo, s28
.LBB6_10697:                            ;   in Loop: Header=BB6_8449 Depth=2
	s_delay_alu instid0(SALU_CYCLE_1) | instskip(SKIP_4) | instid1(VALU_DEP_2)
	s_or_b32 exec_lo, exec_lo, s7
	v_lshl_or_b32 v113, v113, 8, v83
	v_dual_lshlrev_b32 v0, 16, v118 :: v_dual_lshlrev_b32 v2, 24, v63
	s_mov_b32 s28, exec_lo
	v_mov_b32_e32 v3, 0
	v_or3_b32 v0, v0, v2, v113
	v_mov_b32_e32 v2, 0
	v_cmpx_ne_u32_e32 0, v83
	s_cbranch_execz .LBB6_10707
; %bb.10698:                            ;   in Loop: Header=BB6_8449 Depth=2
	v_bfrev_b32_e32 v3, 1
	s_mov_b32 s29, exec_lo
	v_cmpx_ne_u32_e32 0x80, v83
	s_cbranch_execz .LBB6_10706
; %bb.10699:                            ;   in Loop: Header=BB6_8449 Depth=2
	v_and_b32_e32 v3, 0x7c, v83
	v_and_b32_e32 v4, 3, v83
	s_delay_alu instid0(VALU_DEP_2) | instskip(SKIP_1) | instid1(SALU_CYCLE_1)
	v_cmp_ne_u32_e32 vcc_lo, 0x7c, v3
                                        ; implicit-def: $vgpr3
	s_and_saveexec_b32 s7, vcc_lo
	s_xor_b32 s7, exec_lo, s7
	s_cbranch_execz .LBB6_10703
; %bb.10700:                            ;   in Loop: Header=BB6_8449 Depth=2
	v_bfe_u32 v3, v83, 2, 5
	s_mov_b32 s40, exec_lo
	s_delay_alu instid0(VALU_DEP_1)
	v_cmpx_eq_u32_e32 0, v3
; %bb.10701:                            ;   in Loop: Header=BB6_8449 Depth=2
	v_clz_i32_u32_e32 v3, v4
	s_delay_alu instid0(VALU_DEP_1) | instskip(NEXT) | instid1(VALU_DEP_1)
	v_min_u32_e32 v3, 32, v3
	v_subrev_nc_u32_e32 v4, 29, v3
	s_delay_alu instid0(VALU_DEP_1) | instskip(NEXT) | instid1(VALU_DEP_1)
	v_lshlrev_b64_e32 v[4:5], v4, v[0:1]
	v_dual_sub_nc_u32 v3, 30, v3 :: v_dual_bitop2_b32 v4, 3, v4 bitop3:0x40
; %bb.10702:                            ;   in Loop: Header=BB6_8449 Depth=2
	s_or_b32 exec_lo, exec_lo, s40
	v_lshlrev_b32_e32 v5, 24, v83
                                        ; implicit-def: $vgpr83
	s_delay_alu instid0(VALU_DEP_1) | instskip(NEXT) | instid1(VALU_DEP_1)
	v_and_b32_e32 v5, 0x80000000, v5
	v_lshl_add_u32 v3, v3, 23, v5
	s_delay_alu instid0(VALU_DEP_1) | instskip(NEXT) | instid1(VALU_DEP_1)
	v_lshl_or_b32 v3, v4, 21, v3
                                        ; implicit-def: $vgpr4
	v_add_nc_u32_e32 v3, 0x38000000, v3
.LBB6_10703:                            ;   in Loop: Header=BB6_8449 Depth=2
	s_and_not1_saveexec_b32 s40, s7
; %bb.10704:                            ;   in Loop: Header=BB6_8449 Depth=2
	v_and_b32_e32 v3, 0x80, v83
	v_cmp_eq_u32_e32 vcc_lo, 0, v4
	s_delay_alu instid0(VALU_DEP_2) | instskip(SKIP_1) | instid1(VALU_DEP_1)
	v_cmp_eq_u32_e64 s7, 0, v3
	v_mov_b32_e32 v3, 0x7f800000
	v_cndmask_b32_e64 v3, 0xff800000, v3, s7
	s_delay_alu instid0(VALU_DEP_1)
	v_cndmask_b32_e32 v3, 0x7f800001, v3, vcc_lo
; %bb.10705:                            ;   in Loop: Header=BB6_8449 Depth=2
	s_or_b32 exec_lo, exec_lo, s40
.LBB6_10706:                            ;   in Loop: Header=BB6_8449 Depth=2
	s_delay_alu instid0(SALU_CYCLE_1)
	s_or_b32 exec_lo, exec_lo, s29
.LBB6_10707:                            ;   in Loop: Header=BB6_8449 Depth=2
	s_delay_alu instid0(SALU_CYCLE_1) | instskip(SKIP_2) | instid1(VALU_DEP_1)
	s_or_b32 exec_lo, exec_lo, s28
	v_and_b32_e32 v4, 0xff, v24
	s_mov_b32 s28, exec_lo
	v_cmpx_ne_u16_e32 0, v4
	s_cbranch_execz .LBB6_10717
; %bb.10708:                            ;   in Loop: Header=BB6_8449 Depth=2
	v_bfe_i32 v5, v24, 0, 8
	v_bfrev_b32_e32 v2, 1
	s_mov_b32 s29, exec_lo
	s_delay_alu instid0(VALU_DEP_2)
	v_cmpx_ne_u16_e32 0xff80, v5
	s_cbranch_execz .LBB6_10716
; %bb.10709:                            ;   in Loop: Header=BB6_8449 Depth=2
	v_and_b32_e32 v2, 0x7c, v24
	v_and_b32_e32 v4, 3, v24
	s_delay_alu instid0(VALU_DEP_2) | instskip(SKIP_1) | instid1(SALU_CYCLE_1)
	v_cmp_ne_u32_e32 vcc_lo, 0x7c, v2
                                        ; implicit-def: $vgpr2
	s_and_saveexec_b32 s7, vcc_lo
	s_xor_b32 s7, exec_lo, s7
	s_cbranch_execz .LBB6_10713
; %bb.10710:                            ;   in Loop: Header=BB6_8449 Depth=2
	v_bfe_u32 v2, v24, 2, 5
	s_mov_b32 s40, exec_lo
	s_delay_alu instid0(VALU_DEP_1)
	v_cmpx_eq_u32_e32 0, v2
; %bb.10711:                            ;   in Loop: Header=BB6_8449 Depth=2
	v_clz_i32_u32_e32 v2, v4
	s_delay_alu instid0(VALU_DEP_1) | instskip(NEXT) | instid1(VALU_DEP_1)
	v_min_u32_e32 v2, 32, v2
	v_subrev_nc_u32_e32 v4, 29, v2
	s_delay_alu instid0(VALU_DEP_1) | instskip(NEXT) | instid1(VALU_DEP_1)
	v_lshlrev_b64_e32 v[4:5], v4, v[24:25]
	v_dual_sub_nc_u32 v2, 30, v2 :: v_dual_bitop2_b32 v4, 3, v4 bitop3:0x40
; %bb.10712:                            ;   in Loop: Header=BB6_8449 Depth=2
	s_or_b32 exec_lo, exec_lo, s40
	v_lshlrev_b32_e32 v5, 24, v24
	s_delay_alu instid0(VALU_DEP_1) | instskip(NEXT) | instid1(VALU_DEP_1)
	v_and_b32_e32 v5, 0x80000000, v5
	v_lshl_add_u32 v2, v2, 23, v5
                                        ; implicit-def: $vgpr5
	s_delay_alu instid0(VALU_DEP_1) | instskip(NEXT) | instid1(VALU_DEP_1)
	v_lshl_or_b32 v2, v4, 21, v2
                                        ; implicit-def: $vgpr4
	v_add_nc_u32_e32 v2, 0x38000000, v2
.LBB6_10713:                            ;   in Loop: Header=BB6_8449 Depth=2
	s_and_not1_saveexec_b32 s40, s7
; %bb.10714:                            ;   in Loop: Header=BB6_8449 Depth=2
	v_cmp_lt_i16_e64 s7, -1, v5
	v_mov_b32_e32 v2, 0x7f800000
	v_cmp_eq_u32_e32 vcc_lo, 0, v4
	s_delay_alu instid0(VALU_DEP_2) | instskip(NEXT) | instid1(VALU_DEP_1)
	v_cndmask_b32_e64 v2, 0xff800000, v2, s7
	v_cndmask_b32_e32 v2, 0x7f800001, v2, vcc_lo
; %bb.10715:                            ;   in Loop: Header=BB6_8449 Depth=2
	s_or_b32 exec_lo, exec_lo, s40
.LBB6_10716:                            ;   in Loop: Header=BB6_8449 Depth=2
	s_delay_alu instid0(SALU_CYCLE_1)
	s_or_b32 exec_lo, exec_lo, s29
.LBB6_10717:                            ;   in Loop: Header=BB6_8449 Depth=2
	s_delay_alu instid0(SALU_CYCLE_1) | instskip(NEXT) | instid1(VALU_DEP_1)
	s_or_b32 exec_lo, exec_lo, s28
	v_dual_add_f32 v4, v3, v2 :: v_dual_mov_b32 v73, v1
	v_mov_b32_e32 v3, v1
                                        ; implicit-def: $vgpr23
	s_mov_b32 s7, exec_lo
	s_delay_alu instid0(VALU_DEP_2) | instskip(SKIP_2) | instid1(VALU_DEP_3)
	v_and_b32_e32 v72, 0x7f800000, v4
	v_and_b32_e32 v2, 0x7fffff, v4
	v_lshrrev_b32_e32 v5, 24, v4
	v_cmpx_ne_u64_e32 0x7f800000, v[72:73]
	s_xor_b32 s28, exec_lo, s7
	s_cbranch_execz .LBB6_10731
; %bb.10718:                            ;   in Loop: Header=BB6_8449 Depth=2
	v_and_b32_e32 v72, 0x7fffffff, v4
	v_mov_b32_e32 v73, v1
	v_and_b32_e32 v83, 0x80, v5
                                        ; implicit-def: $vgpr23
	s_mov_b32 s7, exec_lo
	s_delay_alu instid0(VALU_DEP_2)
	v_cmpx_gt_u64_e32 0x47600001, v[72:73]
	s_xor_b32 s29, exec_lo, s7
	s_cbranch_execz .LBB6_10728
; %bb.10719:                            ;   in Loop: Header=BB6_8449 Depth=2
	v_mov_b32_e32 v23, 0
	s_mov_b32 s40, exec_lo
	v_cmpx_ne_u32_e32 0, v4
	s_cbranch_execz .LBB6_10727
; %bb.10720:                            ;   in Loop: Header=BB6_8449 Depth=2
	v_bfe_u32 v23, v4, 23, 8
	v_or_b32_e32 v5, 0x800000, v2
	s_delay_alu instid0(VALU_DEP_2) | instskip(SKIP_2) | instid1(VALU_DEP_2)
	v_cmp_gt_u32_e64 s7, 0x72, v23
	v_sub_nc_u32_e32 v4, 0x71, v23
	v_cmp_eq_u32_e32 vcc_lo, 0, v23
	v_dual_cndmask_b32 v4, 0, v4, s7 :: v_dual_cndmask_b32 v2, v5, v2, vcc_lo
	s_delay_alu instid0(VALU_DEP_1) | instskip(NEXT) | instid1(VALU_DEP_1)
	v_cndmask_b32_e64 v118, v4, 0x70, vcc_lo
	v_dual_add_nc_u32 v4, 21, v118 :: v_dual_add_nc_u32 v63, 20, v118
	s_delay_alu instid0(VALU_DEP_1) | instskip(NEXT) | instid1(VALU_DEP_2)
	v_lshlrev_b64_e64 v[4:5], v4, -1
	v_lshlrev_b64_e64 v[72:73], v63, 1
	s_delay_alu instid0(VALU_DEP_2) | instskip(SKIP_1) | instid1(VALU_DEP_4)
	v_bfi_b32 v4, v4, 0, v2
	v_lshrrev_b64 v[2:3], v118, v[2:3]
	v_bfi_b32 v5, v5, 0, 0
	s_delay_alu instid0(VALU_DEP_1) | instskip(NEXT) | instid1(VALU_DEP_3)
	v_cmp_eq_u64_e64 s7, v[4:5], v[72:73]
	v_mov_b64_e32 v[4:5], v[2:3]
	s_and_saveexec_b32 s41, s7
; %bb.10721:                            ;   in Loop: Header=BB6_8449 Depth=2
	v_bfe_u32 v4, v2, 21, 1
	v_mov_b32_e32 v5, v1
	s_delay_alu instid0(VALU_DEP_1) | instskip(NEXT) | instid1(VALU_DEP_1)
	v_add_nc_u64_e32 v[4:5], v[2:3], v[4:5]
	v_add_nc_u64_e32 v[4:5], -1, v[4:5]
; %bb.10722:                            ;   in Loop: Header=BB6_8449 Depth=2
	s_or_b32 exec_lo, exec_lo, s41
	v_add_nc_u32_e32 v3, 0xffffff81, v23
	v_lshrrev_b32_e32 v5, 23, v2
	s_mov_b32 s7, exec_lo
	s_delay_alu instid0(VALU_DEP_2) | instskip(NEXT) | instid1(VALU_DEP_1)
	v_cndmask_b32_e64 v3, v3, 0xffffff82, vcc_lo
	v_add3_u32 v23, v118, v3, v5
	v_and_b32_e32 v3, 0x1fffff, v4
                                        ; implicit-def: $vgpr4
	s_delay_alu instid0(VALU_DEP_1) | instskip(SKIP_1) | instid1(VALU_DEP_2)
	v_dual_add_nc_u32 v5, 14, v23 :: v_dual_add_nc_u32 v2, v3, v2
	v_mov_b32_e32 v3, v1
	v_cmpx_ne_u32_e32 0, v5
	s_xor_b32 s7, exec_lo, s7
; %bb.10723:                            ;   in Loop: Header=BB6_8449 Depth=2
	s_delay_alu instid0(VALU_DEP_2) | instskip(SKIP_1) | instid1(VALU_DEP_1)
	v_cmp_lt_u64_e32 vcc_lo, 0xffffff, v[2:3]
	v_add_nc_u32_e32 v4, 15, v23
	v_cndmask_b32_e32 v4, v5, v4, vcc_lo
	v_cndmask_b32_e64 v5, 0, 1, vcc_lo
	s_delay_alu instid0(VALU_DEP_1)
	v_lshrrev_b64 v[2:3], v5, v[2:3]
; %bb.10724:                            ;   in Loop: Header=BB6_8449 Depth=2
	s_and_not1_saveexec_b32 s7, s7
; %bb.10725:                            ;   in Loop: Header=BB6_8449 Depth=2
	s_delay_alu instid0(VALU_DEP_1)
	v_bfe_u32 v4, v2, 23, 1
; %bb.10726:                            ;   in Loop: Header=BB6_8449 Depth=2
	s_or_b32 exec_lo, exec_lo, s7
	s_delay_alu instid0(VALU_DEP_2) | instskip(NEXT) | instid1(VALU_DEP_2)
	v_lshrrev_b64 v[2:3], 21, v[2:3]
	v_cmp_gt_i32_e32 vcc_lo, 32, v4
	v_min_i32_e32 v5, 31, v4
	v_cmp_eq_u32_e64 s7, 0, v4
	s_delay_alu instid0(VALU_DEP_2) | instskip(SKIP_1) | instid1(VALU_DEP_2)
	v_dual_cndmask_b32 v3, 0, v3, vcc_lo :: v_dual_lshlrev_b32 v5, 2, v5
	v_cndmask_b32_e32 v2, 3, v2, vcc_lo
	v_and_b32_e32 v5, 0xfc, v5
	s_delay_alu instid0(VALU_DEP_2) | instskip(NEXT) | instid1(VALU_DEP_2)
	v_cmp_eq_u64_e32 vcc_lo, 0, v[2:3]
	v_and_or_b32 v2, v2, 3, v5
	s_and_b32 s7, s7, vcc_lo
	s_delay_alu instid0(VALU_DEP_1) | instid1(SALU_CYCLE_1)
	v_cndmask_b32_e64 v2, v2, 0, s7
	s_delay_alu instid0(VALU_DEP_1)
	v_or_b32_e32 v23, v2, v83
.LBB6_10727:                            ;   in Loop: Header=BB6_8449 Depth=2
	s_or_b32 exec_lo, exec_lo, s40
                                        ; implicit-def: $vgpr83
.LBB6_10728:                            ;   in Loop: Header=BB6_8449 Depth=2
	s_and_not1_saveexec_b32 s7, s29
; %bb.10729:                            ;   in Loop: Header=BB6_8449 Depth=2
	v_or_b32_e32 v23, 0x7b, v83
; %bb.10730:                            ;   in Loop: Header=BB6_8449 Depth=2
	s_or_b32 exec_lo, exec_lo, s7
                                        ; implicit-def: $vgpr4
                                        ; implicit-def: $vgpr2_vgpr3
                                        ; implicit-def: $vgpr5
.LBB6_10731:                            ;   in Loop: Header=BB6_8449 Depth=2
	s_and_not1_saveexec_b32 s7, s28
	s_cbranch_execz .LBB6_10737
; %bb.10732:                            ;   in Loop: Header=BB6_8449 Depth=2
	s_mov_b32 s28, exec_lo
                                        ; implicit-def: $vgpr23
	v_cmpx_ne_u64_e32 0, v[2:3]
	s_xor_b32 s28, exec_lo, s28
; %bb.10733:                            ;   in Loop: Header=BB6_8449 Depth=2
	v_or_b32_e32 v23, 0x7f, v5
                                        ; implicit-def: $vgpr4
; %bb.10734:                            ;   in Loop: Header=BB6_8449 Depth=2
	s_and_not1_saveexec_b32 s28, s28
; %bb.10735:                            ;   in Loop: Header=BB6_8449 Depth=2
	v_cmp_lt_i32_e32 vcc_lo, -1, v4
	v_mov_b32_e32 v2, 0x7c
	s_delay_alu instid0(VALU_DEP_1)
	v_cndmask_b32_e32 v23, 0xfc, v2, vcc_lo
; %bb.10736:                            ;   in Loop: Header=BB6_8449 Depth=2
	s_or_b32 exec_lo, exec_lo, s28
.LBB6_10737:                            ;   in Loop: Header=BB6_8449 Depth=2
	s_delay_alu instid0(SALU_CYCLE_1) | instskip(SKIP_3) | instid1(VALU_DEP_2)
	s_or_b32 exec_lo, exec_lo, s7
	v_lshrrev_b16 v2, 8, v113
	v_dual_mov_b32 v4, 0 :: v_dual_mov_b32 v5, 0
	s_mov_b32 s28, exec_lo
	v_cmpx_ne_u16_e32 0, v2
	s_cbranch_execz .LBB6_10747
; %bb.10738:                            ;   in Loop: Header=BB6_8449 Depth=2
	v_bfrev_b32_e32 v5, 1
	s_mov_b32 s29, exec_lo
	v_cmpx_ne_u16_e32 0x80, v2
	s_cbranch_execz .LBB6_10746
; %bb.10739:                            ;   in Loop: Header=BB6_8449 Depth=2
	v_and_b32_e32 v83, 0xffff, v2
	s_delay_alu instid0(VALU_DEP_1) | instskip(SKIP_1) | instid1(VALU_DEP_2)
	v_and_b32_e32 v5, 0x7c, v83
	v_and_b32_e32 v3, 3, v83
	v_cmp_ne_u32_e32 vcc_lo, 0x7c, v5
                                        ; implicit-def: $vgpr5
	s_and_saveexec_b32 s7, vcc_lo
	s_delay_alu instid0(SALU_CYCLE_1)
	s_xor_b32 s7, exec_lo, s7
	s_cbranch_execz .LBB6_10743
; %bb.10740:                            ;   in Loop: Header=BB6_8449 Depth=2
	v_bfe_u32 v5, v83, 2, 5
	s_mov_b32 s40, exec_lo
	s_delay_alu instid0(VALU_DEP_1)
	v_cmpx_eq_u32_e32 0, v5
	s_cbranch_execz .LBB6_10742
; %bb.10741:                            ;   in Loop: Header=BB6_8449 Depth=2
	v_clz_i32_u32_e32 v3, v3
	s_delay_alu instid0(VALU_DEP_1) | instskip(SKIP_1) | instid1(VALU_DEP_2)
	v_min_u32_e32 v5, 32, v3
	v_mov_b32_e32 v3, v1
	v_subrev_nc_u32_e32 v83, 29, v5
	v_sub_nc_u32_e32 v5, 30, v5
	s_delay_alu instid0(VALU_DEP_2) | instskip(NEXT) | instid1(VALU_DEP_1)
	v_lshlrev_b64_e32 v[2:3], v83, v[2:3]
	v_and_b32_e32 v3, 3, v2
.LBB6_10742:                            ;   in Loop: Header=BB6_8449 Depth=2
	s_or_b32 exec_lo, exec_lo, s40
	v_lshlrev_b32_e32 v2, 16, v113
                                        ; implicit-def: $vgpr113
	s_delay_alu instid0(VALU_DEP_1) | instskip(NEXT) | instid1(VALU_DEP_1)
	v_and_b32_e32 v2, 0x80000000, v2
	v_lshl_add_u32 v2, v5, 23, v2
	s_delay_alu instid0(VALU_DEP_1) | instskip(NEXT) | instid1(VALU_DEP_1)
	v_lshl_or_b32 v2, v3, 21, v2
                                        ; implicit-def: $vgpr3
	v_add_nc_u32_e32 v5, 0x38000000, v2
.LBB6_10743:                            ;   in Loop: Header=BB6_8449 Depth=2
	s_and_not1_saveexec_b32 s40, s7
; %bb.10744:                            ;   in Loop: Header=BB6_8449 Depth=2
	v_cmp_lt_i16_e64 s7, -1, v113
	v_mov_b32_e32 v2, 0x7f800000
	v_cmp_eq_u32_e32 vcc_lo, 0, v3
	s_delay_alu instid0(VALU_DEP_2) | instskip(NEXT) | instid1(VALU_DEP_1)
	v_cndmask_b32_e64 v2, 0xff800000, v2, s7
	v_cndmask_b32_e32 v5, 0x7f800001, v2, vcc_lo
; %bb.10745:                            ;   in Loop: Header=BB6_8449 Depth=2
	s_or_b32 exec_lo, exec_lo, s40
.LBB6_10746:                            ;   in Loop: Header=BB6_8449 Depth=2
	s_delay_alu instid0(SALU_CYCLE_1)
	s_or_b32 exec_lo, exec_lo, s29
.LBB6_10747:                            ;   in Loop: Header=BB6_8449 Depth=2
	s_delay_alu instid0(SALU_CYCLE_1) | instskip(SKIP_2) | instid1(VALU_DEP_1)
	s_or_b32 exec_lo, exec_lo, s28
	v_lshrrev_b16 v2, 8, v24
	s_mov_b32 s28, exec_lo
	v_cmpx_ne_u16_e32 0, v2
	s_cbranch_execz .LBB6_10757
; %bb.10748:                            ;   in Loop: Header=BB6_8449 Depth=2
	v_bfrev_b32_e32 v4, 1
	s_mov_b32 s29, exec_lo
	v_cmpx_ne_u16_e32 0x80, v2
	s_cbranch_execz .LBB6_10756
; %bb.10749:                            ;   in Loop: Header=BB6_8449 Depth=2
	v_and_b32_e32 v83, 0xffff, v2
	s_delay_alu instid0(VALU_DEP_1) | instskip(SKIP_1) | instid1(VALU_DEP_2)
	v_and_b32_e32 v4, 0x7c, v83
	v_and_b32_e32 v3, 3, v83
	v_cmp_ne_u32_e32 vcc_lo, 0x7c, v4
                                        ; implicit-def: $vgpr4
	s_and_saveexec_b32 s7, vcc_lo
	s_delay_alu instid0(SALU_CYCLE_1)
	s_xor_b32 s7, exec_lo, s7
	s_cbranch_execz .LBB6_10753
; %bb.10750:                            ;   in Loop: Header=BB6_8449 Depth=2
	v_bfe_u32 v4, v83, 2, 5
	s_mov_b32 s40, exec_lo
	s_delay_alu instid0(VALU_DEP_1)
	v_cmpx_eq_u32_e32 0, v4
	s_cbranch_execz .LBB6_10752
; %bb.10751:                            ;   in Loop: Header=BB6_8449 Depth=2
	v_clz_i32_u32_e32 v3, v3
	s_delay_alu instid0(VALU_DEP_1) | instskip(SKIP_1) | instid1(VALU_DEP_2)
	v_min_u32_e32 v4, 32, v3
	v_mov_b32_e32 v3, v1
	v_subrev_nc_u32_e32 v83, 29, v4
	v_sub_nc_u32_e32 v4, 30, v4
	s_delay_alu instid0(VALU_DEP_2) | instskip(NEXT) | instid1(VALU_DEP_1)
	v_lshlrev_b64_e32 v[2:3], v83, v[2:3]
	v_and_b32_e32 v3, 3, v2
.LBB6_10752:                            ;   in Loop: Header=BB6_8449 Depth=2
	s_or_b32 exec_lo, exec_lo, s40
	v_lshlrev_b32_e32 v2, 16, v24
	s_delay_alu instid0(VALU_DEP_1) | instskip(NEXT) | instid1(VALU_DEP_1)
	v_and_b32_e32 v2, 0x80000000, v2
	v_lshl_add_u32 v2, v4, 23, v2
	s_delay_alu instid0(VALU_DEP_1) | instskip(NEXT) | instid1(VALU_DEP_1)
	v_lshl_or_b32 v2, v3, 21, v2
                                        ; implicit-def: $vgpr3
	v_add_nc_u32_e32 v4, 0x38000000, v2
.LBB6_10753:                            ;   in Loop: Header=BB6_8449 Depth=2
	s_and_not1_saveexec_b32 s40, s7
; %bb.10754:                            ;   in Loop: Header=BB6_8449 Depth=2
	v_cmp_lt_i16_e64 s7, -1, v24
	v_mov_b32_e32 v2, 0x7f800000
	v_cmp_eq_u32_e32 vcc_lo, 0, v3
	s_delay_alu instid0(VALU_DEP_2) | instskip(NEXT) | instid1(VALU_DEP_1)
	v_cndmask_b32_e64 v2, 0xff800000, v2, s7
	v_cndmask_b32_e32 v4, 0x7f800001, v2, vcc_lo
; %bb.10755:                            ;   in Loop: Header=BB6_8449 Depth=2
	s_or_b32 exec_lo, exec_lo, s40
.LBB6_10756:                            ;   in Loop: Header=BB6_8449 Depth=2
	s_delay_alu instid0(SALU_CYCLE_1)
	s_or_b32 exec_lo, exec_lo, s29
.LBB6_10757:                            ;   in Loop: Header=BB6_8449 Depth=2
	s_delay_alu instid0(SALU_CYCLE_1) | instskip(NEXT) | instid1(VALU_DEP_1)
	s_or_b32 exec_lo, exec_lo, s28
	v_add_f32_e32 v4, v5, v4
	v_dual_mov_b32 v73, v1 :: v_dual_mov_b32 v3, v1
                                        ; implicit-def: $vgpr83
	s_mov_b32 s7, exec_lo
	s_delay_alu instid0(VALU_DEP_2) | instskip(SKIP_2) | instid1(VALU_DEP_3)
	v_and_b32_e32 v72, 0x7f800000, v4
	v_and_b32_e32 v2, 0x7fffff, v4
	v_lshrrev_b32_e32 v5, 24, v4
	v_cmpx_ne_u64_e32 0x7f800000, v[72:73]
	s_xor_b32 s28, exec_lo, s7
	s_cbranch_execz .LBB6_10771
; %bb.10758:                            ;   in Loop: Header=BB6_8449 Depth=2
	v_and_b32_e32 v72, 0x7fffffff, v4
	v_mov_b32_e32 v73, v1
	v_and_b32_e32 v113, 0x80, v5
                                        ; implicit-def: $vgpr83
	s_mov_b32 s7, exec_lo
	s_delay_alu instid0(VALU_DEP_2)
	v_cmpx_gt_u64_e32 0x47600001, v[72:73]
	s_xor_b32 s29, exec_lo, s7
	s_cbranch_execz .LBB6_10768
; %bb.10759:                            ;   in Loop: Header=BB6_8449 Depth=2
	v_mov_b32_e32 v83, 0
	s_mov_b32 s40, exec_lo
	v_cmpx_ne_u32_e32 0, v4
	s_cbranch_execz .LBB6_10767
; %bb.10760:                            ;   in Loop: Header=BB6_8449 Depth=2
	v_bfe_u32 v83, v4, 23, 8
	v_or_b32_e32 v5, 0x800000, v2
	s_delay_alu instid0(VALU_DEP_2) | instskip(SKIP_2) | instid1(VALU_DEP_2)
	v_cmp_gt_u32_e64 s7, 0x72, v83
	v_sub_nc_u32_e32 v4, 0x71, v83
	v_cmp_eq_u32_e32 vcc_lo, 0, v83
	v_dual_cndmask_b32 v4, 0, v4, s7 :: v_dual_cndmask_b32 v2, v5, v2, vcc_lo
	s_delay_alu instid0(VALU_DEP_1) | instskip(NEXT) | instid1(VALU_DEP_1)
	v_cndmask_b32_e64 v118, v4, 0x70, vcc_lo
	v_dual_add_nc_u32 v4, 21, v118 :: v_dual_add_nc_u32 v63, 20, v118
	s_delay_alu instid0(VALU_DEP_1) | instskip(NEXT) | instid1(VALU_DEP_2)
	v_lshlrev_b64_e64 v[4:5], v4, -1
	v_lshlrev_b64_e64 v[72:73], v63, 1
	s_delay_alu instid0(VALU_DEP_2) | instskip(SKIP_1) | instid1(VALU_DEP_4)
	v_bfi_b32 v4, v4, 0, v2
	v_lshrrev_b64 v[2:3], v118, v[2:3]
	v_bfi_b32 v5, v5, 0, 0
	s_delay_alu instid0(VALU_DEP_1) | instskip(NEXT) | instid1(VALU_DEP_3)
	v_cmp_eq_u64_e64 s7, v[4:5], v[72:73]
	v_mov_b64_e32 v[4:5], v[2:3]
	s_and_saveexec_b32 s41, s7
; %bb.10761:                            ;   in Loop: Header=BB6_8449 Depth=2
	v_bfe_u32 v4, v2, 21, 1
	v_mov_b32_e32 v5, v1
	s_delay_alu instid0(VALU_DEP_1) | instskip(NEXT) | instid1(VALU_DEP_1)
	v_add_nc_u64_e32 v[4:5], v[2:3], v[4:5]
	v_add_nc_u64_e32 v[4:5], -1, v[4:5]
; %bb.10762:                            ;   in Loop: Header=BB6_8449 Depth=2
	s_or_b32 exec_lo, exec_lo, s41
	v_add_nc_u32_e32 v3, 0xffffff81, v83
	v_lshrrev_b32_e32 v5, 23, v2
	s_mov_b32 s7, exec_lo
	s_delay_alu instid0(VALU_DEP_2) | instskip(NEXT) | instid1(VALU_DEP_1)
	v_cndmask_b32_e64 v3, v3, 0xffffff82, vcc_lo
	v_add3_u32 v83, v118, v3, v5
	v_and_b32_e32 v3, 0x1fffff, v4
                                        ; implicit-def: $vgpr4
	s_delay_alu instid0(VALU_DEP_1) | instskip(SKIP_1) | instid1(VALU_DEP_2)
	v_dual_add_nc_u32 v5, 14, v83 :: v_dual_add_nc_u32 v2, v3, v2
	v_mov_b32_e32 v3, v1
	v_cmpx_ne_u32_e32 0, v5
	s_xor_b32 s7, exec_lo, s7
; %bb.10763:                            ;   in Loop: Header=BB6_8449 Depth=2
	s_delay_alu instid0(VALU_DEP_2) | instskip(SKIP_1) | instid1(VALU_DEP_1)
	v_cmp_lt_u64_e32 vcc_lo, 0xffffff, v[2:3]
	v_add_nc_u32_e32 v4, 15, v83
	v_cndmask_b32_e32 v4, v5, v4, vcc_lo
	v_cndmask_b32_e64 v5, 0, 1, vcc_lo
	s_delay_alu instid0(VALU_DEP_1)
	v_lshrrev_b64 v[2:3], v5, v[2:3]
; %bb.10764:                            ;   in Loop: Header=BB6_8449 Depth=2
	s_and_not1_saveexec_b32 s7, s7
; %bb.10765:                            ;   in Loop: Header=BB6_8449 Depth=2
	s_delay_alu instid0(VALU_DEP_1)
	v_bfe_u32 v4, v2, 23, 1
; %bb.10766:                            ;   in Loop: Header=BB6_8449 Depth=2
	s_or_b32 exec_lo, exec_lo, s7
	s_delay_alu instid0(VALU_DEP_2) | instskip(NEXT) | instid1(VALU_DEP_2)
	v_lshrrev_b64 v[2:3], 21, v[2:3]
	v_cmp_gt_i32_e32 vcc_lo, 32, v4
	v_min_i32_e32 v5, 31, v4
	v_cmp_eq_u32_e64 s7, 0, v4
	s_delay_alu instid0(VALU_DEP_2) | instskip(SKIP_1) | instid1(VALU_DEP_2)
	v_dual_cndmask_b32 v3, 0, v3, vcc_lo :: v_dual_lshlrev_b32 v5, 2, v5
	v_cndmask_b32_e32 v2, 3, v2, vcc_lo
	v_and_b32_e32 v5, 0xfc, v5
	s_delay_alu instid0(VALU_DEP_2) | instskip(NEXT) | instid1(VALU_DEP_2)
	v_cmp_eq_u64_e32 vcc_lo, 0, v[2:3]
	v_and_or_b32 v2, v2, 3, v5
	s_and_b32 s7, s7, vcc_lo
	s_delay_alu instid0(VALU_DEP_1) | instid1(SALU_CYCLE_1)
	v_cndmask_b32_e64 v2, v2, 0, s7
	s_delay_alu instid0(VALU_DEP_1)
	v_or_b32_e32 v83, v2, v113
.LBB6_10767:                            ;   in Loop: Header=BB6_8449 Depth=2
	s_or_b32 exec_lo, exec_lo, s40
                                        ; implicit-def: $vgpr113
.LBB6_10768:                            ;   in Loop: Header=BB6_8449 Depth=2
	s_and_not1_saveexec_b32 s7, s29
; %bb.10769:                            ;   in Loop: Header=BB6_8449 Depth=2
	v_or_b32_e32 v83, 0x7b, v113
; %bb.10770:                            ;   in Loop: Header=BB6_8449 Depth=2
	s_or_b32 exec_lo, exec_lo, s7
                                        ; implicit-def: $vgpr4
                                        ; implicit-def: $vgpr2_vgpr3
                                        ; implicit-def: $vgpr5
.LBB6_10771:                            ;   in Loop: Header=BB6_8449 Depth=2
	s_and_not1_saveexec_b32 s7, s28
	s_cbranch_execz .LBB6_10777
; %bb.10772:                            ;   in Loop: Header=BB6_8449 Depth=2
	s_mov_b32 s28, exec_lo
                                        ; implicit-def: $vgpr83
	v_cmpx_ne_u64_e32 0, v[2:3]
	s_xor_b32 s28, exec_lo, s28
; %bb.10773:                            ;   in Loop: Header=BB6_8449 Depth=2
	v_or_b32_e32 v83, 0x7f, v5
                                        ; implicit-def: $vgpr4
; %bb.10774:                            ;   in Loop: Header=BB6_8449 Depth=2
	s_and_not1_saveexec_b32 s28, s28
; %bb.10775:                            ;   in Loop: Header=BB6_8449 Depth=2
	v_cmp_lt_i32_e32 vcc_lo, -1, v4
	v_mov_b32_e32 v2, 0x7c
	s_delay_alu instid0(VALU_DEP_1)
	v_cndmask_b32_e32 v83, 0xfc, v2, vcc_lo
; %bb.10776:                            ;   in Loop: Header=BB6_8449 Depth=2
	s_or_b32 exec_lo, exec_lo, s28
.LBB6_10777:                            ;   in Loop: Header=BB6_8449 Depth=2
	s_delay_alu instid0(SALU_CYCLE_1) | instskip(SKIP_3) | instid1(VALU_DEP_2)
	s_or_b32 exec_lo, exec_lo, s7
	v_dual_mov_b32 v3, 0 :: v_dual_lshrrev_b32 v2, 16, v0
	v_mov_b32_e32 v4, 0
	s_mov_b32 s28, exec_lo
	v_and_b32_e32 v5, 0xff, v2
	s_delay_alu instid0(VALU_DEP_1)
	v_cmpx_ne_u16_e32 0, v5
	s_cbranch_execz .LBB6_10787
; %bb.10778:                            ;   in Loop: Header=BB6_8449 Depth=2
	v_bfrev_b32_e32 v4, 1
	s_mov_b32 s29, exec_lo
	v_cmpx_ne_u16_e32 0x80, v5
	s_cbranch_execz .LBB6_10786
; %bb.10779:                            ;   in Loop: Header=BB6_8449 Depth=2
	v_and_b32_e32 v4, 0x7c0000, v0
	v_bfe_u32 v5, v0, 16, 2
	s_delay_alu instid0(VALU_DEP_2) | instskip(SKIP_1) | instid1(SALU_CYCLE_1)
	v_cmp_ne_u32_e32 vcc_lo, 0x7c0000, v4
                                        ; implicit-def: $vgpr4
	s_and_saveexec_b32 s7, vcc_lo
	s_xor_b32 s7, exec_lo, s7
	s_cbranch_execz .LBB6_10783
; %bb.10780:                            ;   in Loop: Header=BB6_8449 Depth=2
	v_bfe_u32 v4, v0, 18, 5
	s_mov_b32 s40, exec_lo
	s_delay_alu instid0(VALU_DEP_1)
	v_cmpx_eq_u32_e32 0, v4
; %bb.10781:                            ;   in Loop: Header=BB6_8449 Depth=2
	v_clz_i32_u32_e32 v4, v5
	s_delay_alu instid0(VALU_DEP_1) | instskip(NEXT) | instid1(VALU_DEP_1)
	v_min_u32_e32 v4, 32, v4
	v_subrev_nc_u32_e32 v5, 29, v4
	v_sub_nc_u32_e32 v4, 30, v4
	s_delay_alu instid0(VALU_DEP_2) | instskip(NEXT) | instid1(VALU_DEP_1)
	v_lshlrev_b64_e32 v[72:73], v5, v[2:3]
	v_and_b32_e32 v5, 3, v72
; %bb.10782:                            ;   in Loop: Header=BB6_8449 Depth=2
	s_or_b32 exec_lo, exec_lo, s40
	v_lshlrev_b32_e32 v2, 24, v2
	s_delay_alu instid0(VALU_DEP_1) | instskip(NEXT) | instid1(VALU_DEP_1)
	v_and_b32_e32 v2, 0x80000000, v2
	v_lshl_add_u32 v2, v4, 23, v2
	s_delay_alu instid0(VALU_DEP_1) | instskip(NEXT) | instid1(VALU_DEP_1)
	v_lshl_or_b32 v2, v5, 21, v2
                                        ; implicit-def: $vgpr5
	v_add_nc_u32_e32 v4, 0x38000000, v2
                                        ; implicit-def: $vgpr2
.LBB6_10783:                            ;   in Loop: Header=BB6_8449 Depth=2
	s_and_not1_saveexec_b32 s40, s7
; %bb.10784:                            ;   in Loop: Header=BB6_8449 Depth=2
	v_bfe_i32 v2, v2, 0, 8
	v_cmp_eq_u32_e32 vcc_lo, 0, v5
	s_delay_alu instid0(VALU_DEP_2) | instskip(SKIP_1) | instid1(VALU_DEP_1)
	v_cmp_lt_i16_e64 s7, -1, v2
	v_mov_b32_e32 v2, 0x7f800000
	v_cndmask_b32_e64 v2, 0xff800000, v2, s7
	s_delay_alu instid0(VALU_DEP_1)
	v_cndmask_b32_e32 v4, 0x7f800001, v2, vcc_lo
; %bb.10785:                            ;   in Loop: Header=BB6_8449 Depth=2
	s_or_b32 exec_lo, exec_lo, s40
.LBB6_10786:                            ;   in Loop: Header=BB6_8449 Depth=2
	s_delay_alu instid0(SALU_CYCLE_1)
	s_or_b32 exec_lo, exec_lo, s29
.LBB6_10787:                            ;   in Loop: Header=BB6_8449 Depth=2
	s_delay_alu instid0(SALU_CYCLE_1) | instskip(SKIP_2) | instid1(VALU_DEP_1)
	s_or_b32 exec_lo, exec_lo, s28
	v_lshrrev_b32_e32 v2, 16, v24
	s_mov_b32 s28, exec_lo
	v_and_b32_e32 v5, 0xff, v2
	s_delay_alu instid0(VALU_DEP_1)
	v_cmpx_ne_u16_e32 0, v5
	s_cbranch_execz .LBB6_10797
; %bb.10788:                            ;   in Loop: Header=BB6_8449 Depth=2
	v_bfrev_b32_e32 v3, 1
	s_mov_b32 s29, exec_lo
	v_cmpx_ne_u16_e32 0x80, v5
	s_cbranch_execz .LBB6_10796
; %bb.10789:                            ;   in Loop: Header=BB6_8449 Depth=2
	v_and_b32_e32 v3, 0x7c0000, v24
	v_bfe_u32 v5, v24, 16, 2
	s_delay_alu instid0(VALU_DEP_2) | instskip(SKIP_1) | instid1(SALU_CYCLE_1)
	v_cmp_ne_u32_e32 vcc_lo, 0x7c0000, v3
                                        ; implicit-def: $vgpr3
	s_and_saveexec_b32 s7, vcc_lo
	s_xor_b32 s7, exec_lo, s7
	s_cbranch_execz .LBB6_10793
; %bb.10790:                            ;   in Loop: Header=BB6_8449 Depth=2
	v_bfe_u32 v3, v24, 18, 5
	s_mov_b32 s40, exec_lo
	s_delay_alu instid0(VALU_DEP_1)
	v_cmpx_eq_u32_e32 0, v3
; %bb.10791:                            ;   in Loop: Header=BB6_8449 Depth=2
	v_clz_i32_u32_e32 v3, v5
	s_delay_alu instid0(VALU_DEP_1) | instskip(NEXT) | instid1(VALU_DEP_1)
	v_min_u32_e32 v3, 32, v3
	v_subrev_nc_u32_e32 v5, 29, v3
	s_delay_alu instid0(VALU_DEP_1) | instskip(NEXT) | instid1(VALU_DEP_1)
	v_lshlrev_b64_e32 v[72:73], v5, v[2:3]
	v_dual_sub_nc_u32 v3, 30, v3 :: v_dual_bitop2_b32 v5, 3, v72 bitop3:0x40
; %bb.10792:                            ;   in Loop: Header=BB6_8449 Depth=2
	s_or_b32 exec_lo, exec_lo, s40
	v_lshlrev_b32_e32 v2, 24, v2
	s_delay_alu instid0(VALU_DEP_1) | instskip(NEXT) | instid1(VALU_DEP_1)
	v_and_b32_e32 v2, 0x80000000, v2
	v_lshl_add_u32 v2, v3, 23, v2
	s_delay_alu instid0(VALU_DEP_1) | instskip(NEXT) | instid1(VALU_DEP_1)
	v_lshl_or_b32 v2, v5, 21, v2
                                        ; implicit-def: $vgpr5
	v_add_nc_u32_e32 v3, 0x38000000, v2
                                        ; implicit-def: $vgpr2
.LBB6_10793:                            ;   in Loop: Header=BB6_8449 Depth=2
	s_and_not1_saveexec_b32 s40, s7
; %bb.10794:                            ;   in Loop: Header=BB6_8449 Depth=2
	v_bfe_i32 v2, v2, 0, 8
	v_cmp_eq_u32_e32 vcc_lo, 0, v5
	s_delay_alu instid0(VALU_DEP_2) | instskip(SKIP_1) | instid1(VALU_DEP_1)
	v_cmp_lt_i16_e64 s7, -1, v2
	v_mov_b32_e32 v2, 0x7f800000
	v_cndmask_b32_e64 v2, 0xff800000, v2, s7
	s_delay_alu instid0(VALU_DEP_1)
	v_cndmask_b32_e32 v3, 0x7f800001, v2, vcc_lo
; %bb.10795:                            ;   in Loop: Header=BB6_8449 Depth=2
	s_or_b32 exec_lo, exec_lo, s40
.LBB6_10796:                            ;   in Loop: Header=BB6_8449 Depth=2
	s_delay_alu instid0(SALU_CYCLE_1)
	s_or_b32 exec_lo, exec_lo, s29
.LBB6_10797:                            ;   in Loop: Header=BB6_8449 Depth=2
	s_delay_alu instid0(SALU_CYCLE_1) | instskip(NEXT) | instid1(VALU_DEP_1)
	s_or_b32 exec_lo, exec_lo, s28
	v_dual_add_f32 v4, v4, v3 :: v_dual_mov_b32 v73, v1
	v_mov_b32_e32 v3, v1
                                        ; implicit-def: $vgpr113
	s_mov_b32 s7, exec_lo
	s_delay_alu instid0(VALU_DEP_2) | instskip(SKIP_2) | instid1(VALU_DEP_3)
	v_and_b32_e32 v72, 0x7f800000, v4
	v_and_b32_e32 v2, 0x7fffff, v4
	v_lshrrev_b32_e32 v5, 24, v4
	v_cmpx_ne_u64_e32 0x7f800000, v[72:73]
	s_xor_b32 s28, exec_lo, s7
	s_cbranch_execz .LBB6_10811
; %bb.10798:                            ;   in Loop: Header=BB6_8449 Depth=2
	v_and_b32_e32 v72, 0x7fffffff, v4
	v_mov_b32_e32 v73, v1
	v_and_b32_e32 v118, 0x80, v5
                                        ; implicit-def: $vgpr113
	s_mov_b32 s7, exec_lo
	s_delay_alu instid0(VALU_DEP_2)
	v_cmpx_gt_u64_e32 0x47600001, v[72:73]
	s_xor_b32 s29, exec_lo, s7
	s_cbranch_execz .LBB6_10808
; %bb.10799:                            ;   in Loop: Header=BB6_8449 Depth=2
	v_mov_b32_e32 v113, 0
	s_mov_b32 s40, exec_lo
	v_cmpx_ne_u32_e32 0, v4
	s_cbranch_execz .LBB6_10807
; %bb.10800:                            ;   in Loop: Header=BB6_8449 Depth=2
	v_bfe_u32 v113, v4, 23, 8
	v_or_b32_e32 v5, 0x800000, v2
	s_delay_alu instid0(VALU_DEP_2) | instskip(SKIP_2) | instid1(VALU_DEP_2)
	v_cmp_gt_u32_e64 s7, 0x72, v113
	v_sub_nc_u32_e32 v4, 0x71, v113
	v_cmp_eq_u32_e32 vcc_lo, 0, v113
	v_dual_cndmask_b32 v4, 0, v4, s7 :: v_dual_cndmask_b32 v2, v5, v2, vcc_lo
	s_delay_alu instid0(VALU_DEP_1) | instskip(NEXT) | instid1(VALU_DEP_1)
	v_cndmask_b32_e64 v63, v4, 0x70, vcc_lo
	v_dual_add_nc_u32 v4, 21, v63 :: v_dual_add_nc_u32 v72, 20, v63
	s_delay_alu instid0(VALU_DEP_1) | instskip(NEXT) | instid1(VALU_DEP_2)
	v_lshlrev_b64_e64 v[4:5], v4, -1
	v_lshlrev_b64_e64 v[72:73], v72, 1
	s_delay_alu instid0(VALU_DEP_2) | instskip(SKIP_1) | instid1(VALU_DEP_4)
	v_bfi_b32 v4, v4, 0, v2
	v_lshrrev_b64 v[2:3], v63, v[2:3]
	v_bfi_b32 v5, v5, 0, 0
	s_delay_alu instid0(VALU_DEP_1) | instskip(NEXT) | instid1(VALU_DEP_3)
	v_cmp_eq_u64_e64 s7, v[4:5], v[72:73]
	v_mov_b64_e32 v[4:5], v[2:3]
	s_and_saveexec_b32 s41, s7
; %bb.10801:                            ;   in Loop: Header=BB6_8449 Depth=2
	v_bfe_u32 v4, v2, 21, 1
	v_mov_b32_e32 v5, v1
	s_delay_alu instid0(VALU_DEP_1) | instskip(NEXT) | instid1(VALU_DEP_1)
	v_add_nc_u64_e32 v[4:5], v[2:3], v[4:5]
	v_add_nc_u64_e32 v[4:5], -1, v[4:5]
; %bb.10802:                            ;   in Loop: Header=BB6_8449 Depth=2
	s_or_b32 exec_lo, exec_lo, s41
	v_add_nc_u32_e32 v3, 0xffffff81, v113
	v_lshrrev_b32_e32 v5, 23, v2
	s_mov_b32 s7, exec_lo
	s_delay_alu instid0(VALU_DEP_2) | instskip(NEXT) | instid1(VALU_DEP_1)
	v_cndmask_b32_e64 v3, v3, 0xffffff82, vcc_lo
	v_add3_u32 v113, v63, v3, v5
	v_and_b32_e32 v3, 0x1fffff, v4
                                        ; implicit-def: $vgpr4
	s_delay_alu instid0(VALU_DEP_1) | instskip(SKIP_1) | instid1(VALU_DEP_2)
	v_dual_add_nc_u32 v5, 14, v113 :: v_dual_add_nc_u32 v2, v3, v2
	v_mov_b32_e32 v3, v1
	v_cmpx_ne_u32_e32 0, v5
	s_xor_b32 s7, exec_lo, s7
; %bb.10803:                            ;   in Loop: Header=BB6_8449 Depth=2
	s_delay_alu instid0(VALU_DEP_2) | instskip(SKIP_1) | instid1(VALU_DEP_1)
	v_cmp_lt_u64_e32 vcc_lo, 0xffffff, v[2:3]
	v_add_nc_u32_e32 v4, 15, v113
	v_cndmask_b32_e32 v4, v5, v4, vcc_lo
	v_cndmask_b32_e64 v5, 0, 1, vcc_lo
	s_delay_alu instid0(VALU_DEP_1)
	v_lshrrev_b64 v[2:3], v5, v[2:3]
; %bb.10804:                            ;   in Loop: Header=BB6_8449 Depth=2
	s_and_not1_saveexec_b32 s7, s7
; %bb.10805:                            ;   in Loop: Header=BB6_8449 Depth=2
	s_delay_alu instid0(VALU_DEP_1)
	v_bfe_u32 v4, v2, 23, 1
; %bb.10806:                            ;   in Loop: Header=BB6_8449 Depth=2
	s_or_b32 exec_lo, exec_lo, s7
	s_delay_alu instid0(VALU_DEP_2) | instskip(NEXT) | instid1(VALU_DEP_2)
	v_lshrrev_b64 v[2:3], 21, v[2:3]
	v_cmp_gt_i32_e32 vcc_lo, 32, v4
	v_min_i32_e32 v5, 31, v4
	v_cmp_eq_u32_e64 s7, 0, v4
	s_delay_alu instid0(VALU_DEP_2) | instskip(SKIP_1) | instid1(VALU_DEP_2)
	v_dual_cndmask_b32 v3, 0, v3, vcc_lo :: v_dual_lshlrev_b32 v5, 2, v5
	v_cndmask_b32_e32 v2, 3, v2, vcc_lo
	v_and_b32_e32 v5, 0xfc, v5
	s_delay_alu instid0(VALU_DEP_2) | instskip(NEXT) | instid1(VALU_DEP_2)
	v_cmp_eq_u64_e32 vcc_lo, 0, v[2:3]
	v_and_or_b32 v2, v2, 3, v5
	s_and_b32 s7, s7, vcc_lo
	s_delay_alu instid0(VALU_DEP_1) | instid1(SALU_CYCLE_1)
	v_cndmask_b32_e64 v2, v2, 0, s7
	s_delay_alu instid0(VALU_DEP_1)
	v_or_b32_e32 v113, v2, v118
.LBB6_10807:                            ;   in Loop: Header=BB6_8449 Depth=2
	s_or_b32 exec_lo, exec_lo, s40
                                        ; implicit-def: $vgpr118
.LBB6_10808:                            ;   in Loop: Header=BB6_8449 Depth=2
	s_and_not1_saveexec_b32 s7, s29
; %bb.10809:                            ;   in Loop: Header=BB6_8449 Depth=2
	v_or_b32_e32 v113, 0x7b, v118
; %bb.10810:                            ;   in Loop: Header=BB6_8449 Depth=2
	s_or_b32 exec_lo, exec_lo, s7
                                        ; implicit-def: $vgpr4
                                        ; implicit-def: $vgpr2_vgpr3
                                        ; implicit-def: $vgpr5
.LBB6_10811:                            ;   in Loop: Header=BB6_8449 Depth=2
	s_and_not1_saveexec_b32 s7, s28
	s_cbranch_execz .LBB6_10817
; %bb.10812:                            ;   in Loop: Header=BB6_8449 Depth=2
	s_mov_b32 s28, exec_lo
                                        ; implicit-def: $vgpr113
	v_cmpx_ne_u64_e32 0, v[2:3]
	s_xor_b32 s28, exec_lo, s28
; %bb.10813:                            ;   in Loop: Header=BB6_8449 Depth=2
	v_or_b32_e32 v113, 0x7f, v5
                                        ; implicit-def: $vgpr4
; %bb.10814:                            ;   in Loop: Header=BB6_8449 Depth=2
	s_and_not1_saveexec_b32 s28, s28
; %bb.10815:                            ;   in Loop: Header=BB6_8449 Depth=2
	v_cmp_lt_i32_e32 vcc_lo, -1, v4
	v_mov_b32_e32 v2, 0x7c
	s_delay_alu instid0(VALU_DEP_1)
	v_cndmask_b32_e32 v113, 0xfc, v2, vcc_lo
; %bb.10816:                            ;   in Loop: Header=BB6_8449 Depth=2
	s_or_b32 exec_lo, exec_lo, s28
.LBB6_10817:                            ;   in Loop: Header=BB6_8449 Depth=2
	s_delay_alu instid0(SALU_CYCLE_1)
	s_or_b32 exec_lo, exec_lo, s7
	v_dual_mov_b32 v3, 0 :: v_dual_mov_b32 v4, 0
	s_mov_b32 s28, exec_lo
	v_cmpx_lt_u32_e32 0xffffff, v0
	s_cbranch_execz .LBB6_10827
; %bb.10818:                            ;   in Loop: Header=BB6_8449 Depth=2
	v_lshrrev_b32_e32 v2, 24, v0
	v_bfrev_b32_e32 v4, 1
	s_mov_b32 s29, exec_lo
	s_delay_alu instid0(VALU_DEP_2)
	v_cmpx_ne_u32_e32 0x80, v2
	s_cbranch_execz .LBB6_10826
; %bb.10819:                            ;   in Loop: Header=BB6_8449 Depth=2
	v_and_b32_e32 v4, 0x7c000000, v0
	v_bfe_u32 v5, v0, 24, 2
	s_delay_alu instid0(VALU_DEP_2) | instskip(SKIP_1) | instid1(SALU_CYCLE_1)
	v_cmp_ne_u32_e32 vcc_lo, 0x7c000000, v4
                                        ; implicit-def: $vgpr4
	s_and_saveexec_b32 s7, vcc_lo
	s_xor_b32 s7, exec_lo, s7
	s_cbranch_execz .LBB6_10823
; %bb.10820:                            ;   in Loop: Header=BB6_8449 Depth=2
	v_bfe_u32 v4, v0, 26, 5
	s_mov_b32 s40, exec_lo
	s_delay_alu instid0(VALU_DEP_1)
	v_cmpx_eq_u32_e32 0, v4
; %bb.10821:                            ;   in Loop: Header=BB6_8449 Depth=2
	v_clz_i32_u32_e32 v4, v5
	s_delay_alu instid0(VALU_DEP_1) | instskip(NEXT) | instid1(VALU_DEP_1)
	v_min_u32_e32 v4, 32, v4
	v_subrev_nc_u32_e32 v5, 29, v4
	v_sub_nc_u32_e32 v4, 30, v4
	s_delay_alu instid0(VALU_DEP_2) | instskip(NEXT) | instid1(VALU_DEP_1)
	v_lshlrev_b64_e32 v[72:73], v5, v[2:3]
	v_and_b32_e32 v5, 3, v72
; %bb.10822:                            ;   in Loop: Header=BB6_8449 Depth=2
	s_or_b32 exec_lo, exec_lo, s40
	v_and_b32_e32 v0, 0x80000000, v0
	s_delay_alu instid0(VALU_DEP_1) | instskip(NEXT) | instid1(VALU_DEP_1)
	v_lshl_add_u32 v0, v4, 23, v0
	v_lshl_or_b32 v0, v5, 21, v0
                                        ; implicit-def: $vgpr5
	s_delay_alu instid0(VALU_DEP_1)
	v_add_nc_u32_e32 v4, 0x38000000, v0
.LBB6_10823:                            ;   in Loop: Header=BB6_8449 Depth=2
	s_and_not1_saveexec_b32 s40, s7
; %bb.10824:                            ;   in Loop: Header=BB6_8449 Depth=2
	v_cmp_lt_i32_e64 s7, -1, v0
	v_mov_b32_e32 v0, 0x7f800000
	v_cmp_eq_u32_e32 vcc_lo, 0, v5
	s_delay_alu instid0(VALU_DEP_2) | instskip(NEXT) | instid1(VALU_DEP_1)
	v_cndmask_b32_e64 v0, 0xff800000, v0, s7
	v_cndmask_b32_e32 v4, 0x7f800001, v0, vcc_lo
; %bb.10825:                            ;   in Loop: Header=BB6_8449 Depth=2
	s_or_b32 exec_lo, exec_lo, s40
.LBB6_10826:                            ;   in Loop: Header=BB6_8449 Depth=2
	s_delay_alu instid0(SALU_CYCLE_1)
	s_or_b32 exec_lo, exec_lo, s29
.LBB6_10827:                            ;   in Loop: Header=BB6_8449 Depth=2
	s_delay_alu instid0(SALU_CYCLE_1) | instskip(NEXT) | instid1(SALU_CYCLE_1)
	s_or_b32 exec_lo, exec_lo, s28
	s_mov_b32 s28, exec_lo
	v_cmpx_lt_u32_e32 0xffffff, v24
	s_cbranch_execz .LBB6_10837
; %bb.10828:                            ;   in Loop: Header=BB6_8449 Depth=2
	v_lshrrev_b32_e32 v0, 24, v24
	v_bfrev_b32_e32 v3, 1
	s_mov_b32 s29, exec_lo
	s_delay_alu instid0(VALU_DEP_2)
	v_cmpx_ne_u32_e32 0x80, v0
	s_cbranch_execz .LBB6_10836
; %bb.10829:                            ;   in Loop: Header=BB6_8449 Depth=2
	v_and_b32_e32 v3, 0x7c000000, v24
	v_bfe_u32 v2, v24, 24, 2
	s_delay_alu instid0(VALU_DEP_2) | instskip(SKIP_1) | instid1(SALU_CYCLE_1)
	v_cmp_ne_u32_e32 vcc_lo, 0x7c000000, v3
                                        ; implicit-def: $vgpr3
	s_and_saveexec_b32 s7, vcc_lo
	s_xor_b32 s7, exec_lo, s7
	s_cbranch_execz .LBB6_10833
; %bb.10830:                            ;   in Loop: Header=BB6_8449 Depth=2
	v_bfe_u32 v3, v24, 26, 5
	s_mov_b32 s40, exec_lo
	s_delay_alu instid0(VALU_DEP_1)
	v_cmpx_eq_u32_e32 0, v3
; %bb.10831:                            ;   in Loop: Header=BB6_8449 Depth=2
	v_clz_i32_u32_e32 v2, v2
	s_delay_alu instid0(VALU_DEP_1) | instskip(NEXT) | instid1(VALU_DEP_1)
	v_min_u32_e32 v5, 32, v2
	v_subrev_nc_u32_e32 v2, 29, v5
	s_delay_alu instid0(VALU_DEP_1) | instskip(NEXT) | instid1(VALU_DEP_1)
	v_lshlrev_b64_e32 v[2:3], v2, v[0:1]
	v_dual_sub_nc_u32 v3, 30, v5 :: v_dual_bitop2_b32 v2, 3, v2 bitop3:0x40
; %bb.10832:                            ;   in Loop: Header=BB6_8449 Depth=2
	s_or_b32 exec_lo, exec_lo, s40
	v_and_b32_e32 v0, 0x80000000, v24
	s_delay_alu instid0(VALU_DEP_1) | instskip(NEXT) | instid1(VALU_DEP_1)
	v_lshl_add_u32 v0, v3, 23, v0
	v_lshl_or_b32 v0, v2, 21, v0
                                        ; implicit-def: $vgpr2
	s_delay_alu instid0(VALU_DEP_1)
	v_add_nc_u32_e32 v3, 0x38000000, v0
.LBB6_10833:                            ;   in Loop: Header=BB6_8449 Depth=2
	s_and_not1_saveexec_b32 s40, s7
; %bb.10834:                            ;   in Loop: Header=BB6_8449 Depth=2
	v_cmp_lt_i32_e64 s7, -1, v24
	v_mov_b32_e32 v0, 0x7f800000
	v_cmp_eq_u32_e32 vcc_lo, 0, v2
	s_delay_alu instid0(VALU_DEP_2) | instskip(NEXT) | instid1(VALU_DEP_1)
	v_cndmask_b32_e64 v0, 0xff800000, v0, s7
	v_cndmask_b32_e32 v3, 0x7f800001, v0, vcc_lo
; %bb.10835:                            ;   in Loop: Header=BB6_8449 Depth=2
	s_or_b32 exec_lo, exec_lo, s40
.LBB6_10836:                            ;   in Loop: Header=BB6_8449 Depth=2
	s_delay_alu instid0(SALU_CYCLE_1)
	s_or_b32 exec_lo, exec_lo, s29
.LBB6_10837:                            ;   in Loop: Header=BB6_8449 Depth=2
	s_delay_alu instid0(SALU_CYCLE_1) | instskip(NEXT) | instid1(VALU_DEP_1)
	s_or_b32 exec_lo, exec_lo, s28
	v_dual_add_f32 v2, v4, v3 :: v_dual_mov_b32 v5, v1
                                        ; implicit-def: $vgpr118
	s_mov_b32 s7, exec_lo
	s_delay_alu instid0(VALU_DEP_1) | instskip(SKIP_2) | instid1(VALU_DEP_3)
	v_and_b32_e32 v4, 0x7f800000, v2
	v_and_b32_e32 v0, 0x7fffff, v2
	v_lshrrev_b32_e32 v3, 24, v2
	v_cmpx_ne_u64_e32 0x7f800000, v[4:5]
	s_xor_b32 s28, exec_lo, s7
	s_cbranch_execz .LBB6_10851
; %bb.10838:                            ;   in Loop: Header=BB6_8449 Depth=2
	v_and_b32_e32 v4, 0x7fffffff, v2
	v_mov_b32_e32 v5, v1
	v_and_b32_e32 v63, 0x80, v3
                                        ; implicit-def: $vgpr118
	s_mov_b32 s7, exec_lo
	s_delay_alu instid0(VALU_DEP_2)
	v_cmpx_gt_u64_e32 0x47600001, v[4:5]
	s_xor_b32 s29, exec_lo, s7
	s_cbranch_execz .LBB6_10848
; %bb.10839:                            ;   in Loop: Header=BB6_8449 Depth=2
	v_mov_b32_e32 v118, 0
	s_mov_b32 s40, exec_lo
	v_cmpx_ne_u32_e32 0, v2
	s_cbranch_execz .LBB6_10847
; %bb.10840:                            ;   in Loop: Header=BB6_8449 Depth=2
	v_bfe_u32 v118, v2, 23, 8
	v_or_b32_e32 v3, 0x800000, v0
	s_delay_alu instid0(VALU_DEP_2) | instskip(SKIP_2) | instid1(VALU_DEP_2)
	v_cmp_gt_u32_e64 s7, 0x72, v118
	v_sub_nc_u32_e32 v2, 0x71, v118
	v_cmp_eq_u32_e32 vcc_lo, 0, v118
	v_cndmask_b32_e64 v2, 0, v2, s7
	s_delay_alu instid0(VALU_DEP_1) | instskip(SKIP_1) | instid1(VALU_DEP_2)
	v_cndmask_b32_e64 v72, v2, 0x70, vcc_lo
	v_dual_cndmask_b32 v2, v3, v0 :: v_dual_mov_b32 v3, v1
	v_add_nc_u32_e32 v0, 21, v72
	s_delay_alu instid0(VALU_DEP_1) | instskip(SKIP_1) | instid1(VALU_DEP_1)
	v_lshlrev_b64_e64 v[4:5], v0, -1
	v_add_nc_u32_e32 v0, 20, v72
	v_lshlrev_b64_e64 v[74:75], v0, 1
	s_delay_alu instid0(VALU_DEP_3) | instskip(SKIP_2) | instid1(VALU_DEP_1)
	v_bfi_b32 v4, v4, 0, v2
	v_lshrrev_b64 v[2:3], v72, v[2:3]
	v_bfi_b32 v5, v5, 0, 0
	v_cmp_eq_u64_e64 s7, v[4:5], v[74:75]
	s_delay_alu instid0(VALU_DEP_3)
	v_mov_b64_e32 v[4:5], v[2:3]
	s_and_saveexec_b32 s41, s7
; %bb.10841:                            ;   in Loop: Header=BB6_8449 Depth=2
	v_bfe_u32 v4, v2, 21, 1
	v_mov_b32_e32 v5, v1
	s_delay_alu instid0(VALU_DEP_1) | instskip(NEXT) | instid1(VALU_DEP_1)
	v_add_nc_u64_e32 v[4:5], v[2:3], v[4:5]
	v_add_nc_u64_e32 v[4:5], -1, v[4:5]
; %bb.10842:                            ;   in Loop: Header=BB6_8449 Depth=2
	s_or_b32 exec_lo, exec_lo, s41
	v_add_nc_u32_e32 v0, 0xffffff81, v118
	v_lshrrev_b32_e32 v3, 23, v2
	s_mov_b32 s7, exec_lo
	s_delay_alu instid0(VALU_DEP_2) | instskip(NEXT) | instid1(VALU_DEP_1)
	v_cndmask_b32_e64 v0, v0, 0xffffff82, vcc_lo
	v_add3_u32 v118, v72, v0, v3
	v_and_b32_e32 v0, 0x1fffff, v4
                                        ; implicit-def: $vgpr4
	s_delay_alu instid0(VALU_DEP_2) | instskip(NEXT) | instid1(VALU_DEP_2)
	v_add_nc_u32_e32 v5, 14, v118
	v_add_nc_u32_e32 v0, v0, v2
                                        ; implicit-def: $vgpr2_vgpr3
	s_delay_alu instid0(VALU_DEP_2)
	v_cmpx_ne_u32_e32 0, v5
	s_xor_b32 s7, exec_lo, s7
; %bb.10843:                            ;   in Loop: Header=BB6_8449 Depth=2
	s_delay_alu instid0(VALU_DEP_2) | instskip(SKIP_1) | instid1(VALU_DEP_1)
	v_cmp_lt_u64_e32 vcc_lo, 0xffffff, v[0:1]
	v_add_nc_u32_e32 v2, 15, v118
	v_cndmask_b32_e32 v4, v5, v2, vcc_lo
	v_cndmask_b32_e64 v2, 0, 1, vcc_lo
	s_delay_alu instid0(VALU_DEP_1)
	v_lshrrev_b64 v[2:3], v2, v[0:1]
; %bb.10844:                            ;   in Loop: Header=BB6_8449 Depth=2
	s_and_not1_saveexec_b32 s7, s7
; %bb.10845:                            ;   in Loop: Header=BB6_8449 Depth=2
	v_mov_b64_e32 v[2:3], v[0:1]
	v_bfe_u32 v4, v0, 23, 1
; %bb.10846:                            ;   in Loop: Header=BB6_8449 Depth=2
	s_or_b32 exec_lo, exec_lo, s7
	s_delay_alu instid0(VALU_DEP_2) | instskip(NEXT) | instid1(VALU_DEP_2)
	v_lshrrev_b64 v[2:3], 21, v[2:3]
	v_cmp_gt_i32_e32 vcc_lo, 32, v4
	v_min_i32_e32 v0, 31, v4
	v_cmp_eq_u32_e64 s7, 0, v4
	s_delay_alu instid0(VALU_DEP_2) | instskip(SKIP_1) | instid1(VALU_DEP_2)
	v_dual_cndmask_b32 v3, 0, v3 :: v_dual_lshlrev_b32 v0, 2, v0
	v_cndmask_b32_e32 v2, 3, v2, vcc_lo
	v_and_b32_e32 v0, 0xfc, v0
	s_delay_alu instid0(VALU_DEP_2) | instskip(NEXT) | instid1(VALU_DEP_2)
	v_cmp_eq_u64_e32 vcc_lo, 0, v[2:3]
	v_and_or_b32 v0, v2, 3, v0
	s_and_b32 s7, s7, vcc_lo
	s_delay_alu instid0(VALU_DEP_1) | instid1(SALU_CYCLE_1)
	v_cndmask_b32_e64 v0, v0, 0, s7
	s_delay_alu instid0(VALU_DEP_1)
	v_or_b32_e32 v118, v0, v63
.LBB6_10847:                            ;   in Loop: Header=BB6_8449 Depth=2
	s_or_b32 exec_lo, exec_lo, s40
                                        ; implicit-def: $vgpr63
.LBB6_10848:                            ;   in Loop: Header=BB6_8449 Depth=2
	s_and_not1_saveexec_b32 s7, s29
; %bb.10849:                            ;   in Loop: Header=BB6_8449 Depth=2
	v_or_b32_e32 v118, 0x7b, v63
; %bb.10850:                            ;   in Loop: Header=BB6_8449 Depth=2
	s_or_b32 exec_lo, exec_lo, s7
                                        ; implicit-def: $vgpr2
                                        ; implicit-def: $vgpr3
.LBB6_10851:                            ;   in Loop: Header=BB6_8449 Depth=2
	s_and_not1_saveexec_b32 s7, s28
	s_cbranch_execz .LBB6_10857
; %bb.10852:                            ;   in Loop: Header=BB6_8449 Depth=2
	s_mov_b32 s28, exec_lo
                                        ; implicit-def: $vgpr118
	v_cmpx_ne_u64_e32 0, v[0:1]
	s_xor_b32 s28, exec_lo, s28
; %bb.10853:                            ;   in Loop: Header=BB6_8449 Depth=2
	v_or_b32_e32 v118, 0x7f, v3
                                        ; implicit-def: $vgpr2
; %bb.10854:                            ;   in Loop: Header=BB6_8449 Depth=2
	s_and_not1_saveexec_b32 s28, s28
; %bb.10855:                            ;   in Loop: Header=BB6_8449 Depth=2
	v_cmp_lt_i32_e32 vcc_lo, -1, v2
	v_mov_b32_e32 v0, 0x7c
	s_delay_alu instid0(VALU_DEP_1)
	v_cndmask_b32_e32 v118, 0xfc, v0, vcc_lo
; %bb.10856:                            ;   in Loop: Header=BB6_8449 Depth=2
	s_or_b32 exec_lo, exec_lo, s28
.LBB6_10857:                            ;   in Loop: Header=BB6_8449 Depth=2
	s_delay_alu instid0(SALU_CYCLE_1) | instskip(SKIP_4) | instid1(VALU_DEP_1)
	s_or_b32 exec_lo, exec_lo, s7
	v_dual_mov_b32 v3, 0 :: v_dual_lshlrev_b32 v0, 24, v62
	v_lshlrev_b32_e32 v2, 16, v58
	v_lshl_or_b32 v47, v47, 8, v42
	s_mov_b32 s28, exec_lo
	v_or3_b32 v0, v2, v0, v47
	v_mov_b32_e32 v2, 0
	v_cmpx_ne_u32_e32 0, v42
	s_cbranch_execz .LBB6_10867
; %bb.10858:                            ;   in Loop: Header=BB6_8449 Depth=2
	v_bfrev_b32_e32 v2, 1
	s_mov_b32 s29, exec_lo
	v_cmpx_ne_u32_e32 0x80, v42
	s_cbranch_execz .LBB6_10866
; %bb.10859:                            ;   in Loop: Header=BB6_8449 Depth=2
	v_and_b32_e32 v2, 0x7c, v42
	v_and_b32_e32 v4, 3, v42
	s_delay_alu instid0(VALU_DEP_2) | instskip(SKIP_1) | instid1(SALU_CYCLE_1)
	v_cmp_ne_u32_e32 vcc_lo, 0x7c, v2
                                        ; implicit-def: $vgpr2
	s_and_saveexec_b32 s7, vcc_lo
	s_xor_b32 s7, exec_lo, s7
	s_cbranch_execz .LBB6_10863
; %bb.10860:                            ;   in Loop: Header=BB6_8449 Depth=2
	v_bfe_u32 v2, v42, 2, 5
	s_mov_b32 s40, exec_lo
	s_delay_alu instid0(VALU_DEP_1)
	v_cmpx_eq_u32_e32 0, v2
; %bb.10861:                            ;   in Loop: Header=BB6_8449 Depth=2
	v_clz_i32_u32_e32 v2, v4
	s_delay_alu instid0(VALU_DEP_1) | instskip(NEXT) | instid1(VALU_DEP_1)
	v_min_u32_e32 v2, 32, v2
	v_subrev_nc_u32_e32 v4, 29, v2
	s_delay_alu instid0(VALU_DEP_1) | instskip(NEXT) | instid1(VALU_DEP_1)
	v_lshlrev_b64_e32 v[4:5], v4, v[0:1]
	v_dual_sub_nc_u32 v2, 30, v2 :: v_dual_bitop2_b32 v4, 3, v4 bitop3:0x40
; %bb.10862:                            ;   in Loop: Header=BB6_8449 Depth=2
	s_or_b32 exec_lo, exec_lo, s40
	v_lshlrev_b32_e32 v5, 24, v42
                                        ; implicit-def: $vgpr42
	s_delay_alu instid0(VALU_DEP_1) | instskip(NEXT) | instid1(VALU_DEP_1)
	v_and_b32_e32 v5, 0x80000000, v5
	v_lshl_add_u32 v2, v2, 23, v5
	s_delay_alu instid0(VALU_DEP_1) | instskip(NEXT) | instid1(VALU_DEP_1)
	v_lshl_or_b32 v2, v4, 21, v2
                                        ; implicit-def: $vgpr4
	v_add_nc_u32_e32 v2, 0x38000000, v2
.LBB6_10863:                            ;   in Loop: Header=BB6_8449 Depth=2
	s_and_not1_saveexec_b32 s40, s7
; %bb.10864:                            ;   in Loop: Header=BB6_8449 Depth=2
	v_and_b32_e32 v2, 0x80, v42
	v_cmp_eq_u32_e32 vcc_lo, 0, v4
	s_delay_alu instid0(VALU_DEP_2) | instskip(SKIP_1) | instid1(VALU_DEP_1)
	v_cmp_eq_u32_e64 s7, 0, v2
	v_mov_b32_e32 v2, 0x7f800000
	v_cndmask_b32_e64 v2, 0xff800000, v2, s7
	s_delay_alu instid0(VALU_DEP_1)
	v_cndmask_b32_e32 v2, 0x7f800001, v2, vcc_lo
; %bb.10865:                            ;   in Loop: Header=BB6_8449 Depth=2
	s_or_b32 exec_lo, exec_lo, s40
.LBB6_10866:                            ;   in Loop: Header=BB6_8449 Depth=2
	s_delay_alu instid0(SALU_CYCLE_1)
	s_or_b32 exec_lo, exec_lo, s29
.LBB6_10867:                            ;   in Loop: Header=BB6_8449 Depth=2
	s_delay_alu instid0(SALU_CYCLE_1) | instskip(SKIP_2) | instid1(VALU_DEP_1)
	s_or_b32 exec_lo, exec_lo, s28
	v_and_b32_e32 v4, 0xff, v25
	s_mov_b32 s28, exec_lo
	v_cmpx_ne_u16_e32 0, v4
	s_cbranch_execz .LBB6_10877
; %bb.10868:                            ;   in Loop: Header=BB6_8449 Depth=2
	v_bfrev_b32_e32 v3, 1
	s_mov_b32 s29, exec_lo
	v_cmpx_ne_u16_e32 0x80, v4
	s_cbranch_execz .LBB6_10876
; %bb.10869:                            ;   in Loop: Header=BB6_8449 Depth=2
	v_and_b32_e32 v3, 0x7c, v25
	v_and_b32_e32 v4, 3, v25
	s_delay_alu instid0(VALU_DEP_2) | instskip(SKIP_1) | instid1(SALU_CYCLE_1)
	v_cmp_ne_u32_e32 vcc_lo, 0x7c, v3
                                        ; implicit-def: $vgpr3
	s_and_saveexec_b32 s7, vcc_lo
	s_xor_b32 s7, exec_lo, s7
	s_cbranch_execz .LBB6_10873
; %bb.10870:                            ;   in Loop: Header=BB6_8449 Depth=2
	v_bfe_u32 v3, v25, 2, 5
	s_mov_b32 s40, exec_lo
	s_delay_alu instid0(VALU_DEP_1)
	v_cmpx_eq_u32_e32 0, v3
; %bb.10871:                            ;   in Loop: Header=BB6_8449 Depth=2
	v_clz_i32_u32_e32 v3, v4
	v_dual_mov_b32 v4, v25 :: v_dual_mov_b32 v5, v1
	s_delay_alu instid0(VALU_DEP_2) | instskip(NEXT) | instid1(VALU_DEP_1)
	v_min_u32_e32 v3, 32, v3
	v_subrev_nc_u32_e32 v42, 29, v3
	s_delay_alu instid0(VALU_DEP_1) | instskip(NEXT) | instid1(VALU_DEP_1)
	v_lshlrev_b64_e32 v[4:5], v42, v[4:5]
	v_dual_sub_nc_u32 v3, 30, v3 :: v_dual_bitop2_b32 v4, 3, v4 bitop3:0x40
; %bb.10872:                            ;   in Loop: Header=BB6_8449 Depth=2
	s_or_b32 exec_lo, exec_lo, s40
	v_lshlrev_b32_e32 v5, 24, v25
	s_delay_alu instid0(VALU_DEP_1) | instskip(NEXT) | instid1(VALU_DEP_1)
	v_and_b32_e32 v5, 0x80000000, v5
	v_lshl_add_u32 v3, v3, 23, v5
	s_delay_alu instid0(VALU_DEP_1) | instskip(NEXT) | instid1(VALU_DEP_1)
	v_lshl_or_b32 v3, v4, 21, v3
                                        ; implicit-def: $vgpr4
	v_add_nc_u32_e32 v3, 0x38000000, v3
.LBB6_10873:                            ;   in Loop: Header=BB6_8449 Depth=2
	s_and_not1_saveexec_b32 s40, s7
; %bb.10874:                            ;   in Loop: Header=BB6_8449 Depth=2
	v_bfe_i32 v3, v25, 0, 8
	v_cmp_eq_u32_e32 vcc_lo, 0, v4
	s_delay_alu instid0(VALU_DEP_2) | instskip(SKIP_1) | instid1(VALU_DEP_1)
	v_cmp_lt_i16_e64 s7, -1, v3
	v_mov_b32_e32 v3, 0x7f800000
	v_cndmask_b32_e64 v3, 0xff800000, v3, s7
	s_delay_alu instid0(VALU_DEP_1)
	v_cndmask_b32_e32 v3, 0x7f800001, v3, vcc_lo
; %bb.10875:                            ;   in Loop: Header=BB6_8449 Depth=2
	s_or_b32 exec_lo, exec_lo, s40
.LBB6_10876:                            ;   in Loop: Header=BB6_8449 Depth=2
	s_delay_alu instid0(SALU_CYCLE_1)
	s_or_b32 exec_lo, exec_lo, s29
.LBB6_10877:                            ;   in Loop: Header=BB6_8449 Depth=2
	s_delay_alu instid0(SALU_CYCLE_1) | instskip(NEXT) | instid1(VALU_DEP_1)
	s_or_b32 exec_lo, exec_lo, s28
	v_dual_add_f32 v4, v2, v3 :: v_dual_mov_b32 v63, v1
	v_mov_b32_e32 v3, v1
                                        ; implicit-def: $vgpr42
	s_mov_b32 s7, exec_lo
	s_delay_alu instid0(VALU_DEP_2) | instskip(SKIP_2) | instid1(VALU_DEP_3)
	v_and_b32_e32 v62, 0x7f800000, v4
	v_and_b32_e32 v2, 0x7fffff, v4
	v_lshrrev_b32_e32 v5, 24, v4
	v_cmpx_ne_u64_e32 0x7f800000, v[62:63]
	s_xor_b32 s28, exec_lo, s7
	s_cbranch_execz .LBB6_10891
; %bb.10878:                            ;   in Loop: Header=BB6_8449 Depth=2
	v_and_b32_e32 v62, 0x7fffffff, v4
	v_mov_b32_e32 v63, v1
	v_and_b32_e32 v58, 0x80, v5
                                        ; implicit-def: $vgpr42
	s_mov_b32 s7, exec_lo
	s_delay_alu instid0(VALU_DEP_2)
	v_cmpx_gt_u64_e32 0x47600001, v[62:63]
	s_xor_b32 s29, exec_lo, s7
	s_cbranch_execz .LBB6_10888
; %bb.10879:                            ;   in Loop: Header=BB6_8449 Depth=2
	v_mov_b32_e32 v42, 0
	s_mov_b32 s40, exec_lo
	v_cmpx_ne_u32_e32 0, v4
	s_cbranch_execz .LBB6_10887
; %bb.10880:                            ;   in Loop: Header=BB6_8449 Depth=2
	v_bfe_u32 v42, v4, 23, 8
	v_or_b32_e32 v5, 0x800000, v2
	s_delay_alu instid0(VALU_DEP_2) | instskip(SKIP_2) | instid1(VALU_DEP_2)
	v_cmp_gt_u32_e64 s7, 0x72, v42
	v_sub_nc_u32_e32 v4, 0x71, v42
	v_cmp_eq_u32_e32 vcc_lo, 0, v42
	v_dual_cndmask_b32 v4, 0, v4, s7 :: v_dual_cndmask_b32 v2, v5, v2, vcc_lo
	s_delay_alu instid0(VALU_DEP_1) | instskip(NEXT) | instid1(VALU_DEP_1)
	v_cndmask_b32_e64 v62, v4, 0x70, vcc_lo
	v_dual_add_nc_u32 v4, 21, v62 :: v_dual_add_nc_u32 v63, 20, v62
	s_delay_alu instid0(VALU_DEP_1) | instskip(NEXT) | instid1(VALU_DEP_2)
	v_lshlrev_b64_e64 v[4:5], v4, -1
	v_lshlrev_b64_e64 v[72:73], v63, 1
	s_delay_alu instid0(VALU_DEP_2) | instskip(SKIP_1) | instid1(VALU_DEP_4)
	v_bfi_b32 v4, v4, 0, v2
	v_lshrrev_b64 v[2:3], v62, v[2:3]
	v_bfi_b32 v5, v5, 0, 0
	s_delay_alu instid0(VALU_DEP_1) | instskip(NEXT) | instid1(VALU_DEP_3)
	v_cmp_eq_u64_e64 s7, v[4:5], v[72:73]
	v_mov_b64_e32 v[4:5], v[2:3]
	s_and_saveexec_b32 s41, s7
; %bb.10881:                            ;   in Loop: Header=BB6_8449 Depth=2
	v_bfe_u32 v4, v2, 21, 1
	v_mov_b32_e32 v5, v1
	s_delay_alu instid0(VALU_DEP_1) | instskip(NEXT) | instid1(VALU_DEP_1)
	v_add_nc_u64_e32 v[4:5], v[2:3], v[4:5]
	v_add_nc_u64_e32 v[4:5], -1, v[4:5]
; %bb.10882:                            ;   in Loop: Header=BB6_8449 Depth=2
	s_or_b32 exec_lo, exec_lo, s41
	v_add_nc_u32_e32 v3, 0xffffff81, v42
	v_lshrrev_b32_e32 v5, 23, v2
	s_mov_b32 s7, exec_lo
	s_delay_alu instid0(VALU_DEP_2) | instskip(NEXT) | instid1(VALU_DEP_1)
	v_cndmask_b32_e64 v3, v3, 0xffffff82, vcc_lo
	v_add3_u32 v42, v62, v3, v5
	v_and_b32_e32 v3, 0x1fffff, v4
                                        ; implicit-def: $vgpr4
	s_delay_alu instid0(VALU_DEP_2) | instskip(NEXT) | instid1(VALU_DEP_2)
	v_add_nc_u32_e32 v5, 14, v42
	v_dual_mov_b32 v3, v1 :: v_dual_add_nc_u32 v2, v3, v2
	s_delay_alu instid0(VALU_DEP_2)
	v_cmpx_ne_u32_e32 0, v5
	s_xor_b32 s7, exec_lo, s7
; %bb.10883:                            ;   in Loop: Header=BB6_8449 Depth=2
	s_delay_alu instid0(VALU_DEP_2) | instskip(SKIP_1) | instid1(VALU_DEP_1)
	v_cmp_lt_u64_e32 vcc_lo, 0xffffff, v[2:3]
	v_add_nc_u32_e32 v4, 15, v42
	v_cndmask_b32_e32 v4, v5, v4, vcc_lo
	v_cndmask_b32_e64 v5, 0, 1, vcc_lo
	s_delay_alu instid0(VALU_DEP_1)
	v_lshrrev_b64 v[2:3], v5, v[2:3]
; %bb.10884:                            ;   in Loop: Header=BB6_8449 Depth=2
	s_and_not1_saveexec_b32 s7, s7
; %bb.10885:                            ;   in Loop: Header=BB6_8449 Depth=2
	s_delay_alu instid0(VALU_DEP_1)
	v_bfe_u32 v4, v2, 23, 1
; %bb.10886:                            ;   in Loop: Header=BB6_8449 Depth=2
	s_or_b32 exec_lo, exec_lo, s7
	s_delay_alu instid0(VALU_DEP_2) | instskip(NEXT) | instid1(VALU_DEP_2)
	v_lshrrev_b64 v[2:3], 21, v[2:3]
	v_cmp_gt_i32_e32 vcc_lo, 32, v4
	v_min_i32_e32 v5, 31, v4
	v_cmp_eq_u32_e64 s7, 0, v4
	s_delay_alu instid0(VALU_DEP_2) | instskip(SKIP_1) | instid1(VALU_DEP_2)
	v_dual_cndmask_b32 v3, 0, v3, vcc_lo :: v_dual_lshlrev_b32 v5, 2, v5
	v_cndmask_b32_e32 v2, 3, v2, vcc_lo
	v_and_b32_e32 v5, 0xfc, v5
	s_delay_alu instid0(VALU_DEP_2) | instskip(NEXT) | instid1(VALU_DEP_2)
	v_cmp_eq_u64_e32 vcc_lo, 0, v[2:3]
	v_and_or_b32 v2, v2, 3, v5
	s_and_b32 s7, s7, vcc_lo
	s_delay_alu instid0(VALU_DEP_1) | instid1(SALU_CYCLE_1)
	v_cndmask_b32_e64 v2, v2, 0, s7
	s_delay_alu instid0(VALU_DEP_1)
	v_or_b32_e32 v42, v2, v58
.LBB6_10887:                            ;   in Loop: Header=BB6_8449 Depth=2
	s_or_b32 exec_lo, exec_lo, s40
                                        ; implicit-def: $vgpr58
.LBB6_10888:                            ;   in Loop: Header=BB6_8449 Depth=2
	s_and_not1_saveexec_b32 s7, s29
; %bb.10889:                            ;   in Loop: Header=BB6_8449 Depth=2
	v_or_b32_e32 v42, 0x7b, v58
; %bb.10890:                            ;   in Loop: Header=BB6_8449 Depth=2
	s_or_b32 exec_lo, exec_lo, s7
                                        ; implicit-def: $vgpr4
                                        ; implicit-def: $vgpr2_vgpr3
                                        ; implicit-def: $vgpr5
.LBB6_10891:                            ;   in Loop: Header=BB6_8449 Depth=2
	s_and_not1_saveexec_b32 s7, s28
	s_cbranch_execz .LBB6_10897
; %bb.10892:                            ;   in Loop: Header=BB6_8449 Depth=2
	s_mov_b32 s28, exec_lo
                                        ; implicit-def: $vgpr42
	v_cmpx_ne_u64_e32 0, v[2:3]
	s_xor_b32 s28, exec_lo, s28
; %bb.10893:                            ;   in Loop: Header=BB6_8449 Depth=2
	v_or_b32_e32 v42, 0x7f, v5
                                        ; implicit-def: $vgpr4
; %bb.10894:                            ;   in Loop: Header=BB6_8449 Depth=2
	s_and_not1_saveexec_b32 s28, s28
; %bb.10895:                            ;   in Loop: Header=BB6_8449 Depth=2
	v_cmp_lt_i32_e32 vcc_lo, -1, v4
	v_mov_b32_e32 v2, 0x7c
	s_delay_alu instid0(VALU_DEP_1)
	v_cndmask_b32_e32 v42, 0xfc, v2, vcc_lo
; %bb.10896:                            ;   in Loop: Header=BB6_8449 Depth=2
	s_or_b32 exec_lo, exec_lo, s28
.LBB6_10897:                            ;   in Loop: Header=BB6_8449 Depth=2
	s_delay_alu instid0(SALU_CYCLE_1) | instskip(SKIP_3) | instid1(VALU_DEP_2)
	s_or_b32 exec_lo, exec_lo, s7
	v_lshrrev_b16 v2, 8, v47
	v_dual_mov_b32 v4, 0 :: v_dual_mov_b32 v5, 0
	s_mov_b32 s28, exec_lo
	v_cmpx_ne_u16_e32 0, v2
	s_cbranch_execz .LBB6_10907
; %bb.10898:                            ;   in Loop: Header=BB6_8449 Depth=2
	v_bfrev_b32_e32 v5, 1
	s_mov_b32 s29, exec_lo
	v_cmpx_ne_u16_e32 0x80, v2
	s_cbranch_execz .LBB6_10906
; %bb.10899:                            ;   in Loop: Header=BB6_8449 Depth=2
	v_and_b32_e32 v58, 0xffff, v2
	s_delay_alu instid0(VALU_DEP_1) | instskip(SKIP_1) | instid1(VALU_DEP_2)
	v_and_b32_e32 v5, 0x7c, v58
	v_and_b32_e32 v3, 3, v58
	v_cmp_ne_u32_e32 vcc_lo, 0x7c, v5
                                        ; implicit-def: $vgpr5
	s_and_saveexec_b32 s7, vcc_lo
	s_delay_alu instid0(SALU_CYCLE_1)
	s_xor_b32 s7, exec_lo, s7
	s_cbranch_execz .LBB6_10903
; %bb.10900:                            ;   in Loop: Header=BB6_8449 Depth=2
	v_bfe_u32 v5, v58, 2, 5
	s_mov_b32 s40, exec_lo
	s_delay_alu instid0(VALU_DEP_1)
	v_cmpx_eq_u32_e32 0, v5
	s_cbranch_execz .LBB6_10902
; %bb.10901:                            ;   in Loop: Header=BB6_8449 Depth=2
	v_clz_i32_u32_e32 v3, v3
	s_delay_alu instid0(VALU_DEP_1) | instskip(SKIP_1) | instid1(VALU_DEP_2)
	v_min_u32_e32 v5, 32, v3
	v_mov_b32_e32 v3, v1
	v_subrev_nc_u32_e32 v58, 29, v5
	v_sub_nc_u32_e32 v5, 30, v5
	s_delay_alu instid0(VALU_DEP_2) | instskip(NEXT) | instid1(VALU_DEP_1)
	v_lshlrev_b64_e32 v[2:3], v58, v[2:3]
	v_and_b32_e32 v3, 3, v2
.LBB6_10902:                            ;   in Loop: Header=BB6_8449 Depth=2
	s_or_b32 exec_lo, exec_lo, s40
	v_lshlrev_b32_e32 v2, 16, v47
                                        ; implicit-def: $vgpr47
	s_delay_alu instid0(VALU_DEP_1) | instskip(NEXT) | instid1(VALU_DEP_1)
	v_and_b32_e32 v2, 0x80000000, v2
	v_lshl_add_u32 v2, v5, 23, v2
	s_delay_alu instid0(VALU_DEP_1) | instskip(NEXT) | instid1(VALU_DEP_1)
	v_lshl_or_b32 v2, v3, 21, v2
                                        ; implicit-def: $vgpr3
	v_add_nc_u32_e32 v5, 0x38000000, v2
.LBB6_10903:                            ;   in Loop: Header=BB6_8449 Depth=2
	s_and_not1_saveexec_b32 s40, s7
; %bb.10904:                            ;   in Loop: Header=BB6_8449 Depth=2
	v_cmp_lt_i16_e64 s7, -1, v47
	v_mov_b32_e32 v2, 0x7f800000
	v_cmp_eq_u32_e32 vcc_lo, 0, v3
	s_delay_alu instid0(VALU_DEP_2) | instskip(NEXT) | instid1(VALU_DEP_1)
	v_cndmask_b32_e64 v2, 0xff800000, v2, s7
	v_cndmask_b32_e32 v5, 0x7f800001, v2, vcc_lo
; %bb.10905:                            ;   in Loop: Header=BB6_8449 Depth=2
	s_or_b32 exec_lo, exec_lo, s40
.LBB6_10906:                            ;   in Loop: Header=BB6_8449 Depth=2
	s_delay_alu instid0(SALU_CYCLE_1)
	s_or_b32 exec_lo, exec_lo, s29
.LBB6_10907:                            ;   in Loop: Header=BB6_8449 Depth=2
	s_delay_alu instid0(SALU_CYCLE_1) | instskip(SKIP_2) | instid1(VALU_DEP_1)
	s_or_b32 exec_lo, exec_lo, s28
	v_lshrrev_b16 v2, 8, v25
	s_mov_b32 s28, exec_lo
	v_cmpx_ne_u16_e32 0, v2
	s_cbranch_execz .LBB6_10917
; %bb.10908:                            ;   in Loop: Header=BB6_8449 Depth=2
	v_bfrev_b32_e32 v4, 1
	s_mov_b32 s29, exec_lo
	v_cmpx_ne_u16_e32 0x80, v2
	s_cbranch_execz .LBB6_10916
; %bb.10909:                            ;   in Loop: Header=BB6_8449 Depth=2
	v_and_b32_e32 v47, 0xffff, v2
	s_delay_alu instid0(VALU_DEP_1) | instskip(SKIP_1) | instid1(VALU_DEP_2)
	v_and_b32_e32 v4, 0x7c, v47
	v_and_b32_e32 v3, 3, v47
	v_cmp_ne_u32_e32 vcc_lo, 0x7c, v4
                                        ; implicit-def: $vgpr4
	s_and_saveexec_b32 s7, vcc_lo
	s_delay_alu instid0(SALU_CYCLE_1)
	s_xor_b32 s7, exec_lo, s7
	s_cbranch_execz .LBB6_10913
; %bb.10910:                            ;   in Loop: Header=BB6_8449 Depth=2
	v_bfe_u32 v4, v47, 2, 5
	s_mov_b32 s40, exec_lo
	s_delay_alu instid0(VALU_DEP_1)
	v_cmpx_eq_u32_e32 0, v4
	s_cbranch_execz .LBB6_10912
; %bb.10911:                            ;   in Loop: Header=BB6_8449 Depth=2
	v_clz_i32_u32_e32 v3, v3
	s_delay_alu instid0(VALU_DEP_1) | instskip(SKIP_1) | instid1(VALU_DEP_2)
	v_min_u32_e32 v4, 32, v3
	v_mov_b32_e32 v3, v1
	v_subrev_nc_u32_e32 v47, 29, v4
	v_sub_nc_u32_e32 v4, 30, v4
	s_delay_alu instid0(VALU_DEP_2) | instskip(NEXT) | instid1(VALU_DEP_1)
	v_lshlrev_b64_e32 v[2:3], v47, v[2:3]
	v_and_b32_e32 v3, 3, v2
.LBB6_10912:                            ;   in Loop: Header=BB6_8449 Depth=2
	s_or_b32 exec_lo, exec_lo, s40
	v_lshlrev_b32_e32 v2, 16, v25
	s_delay_alu instid0(VALU_DEP_1) | instskip(NEXT) | instid1(VALU_DEP_1)
	v_and_b32_e32 v2, 0x80000000, v2
	v_lshl_add_u32 v2, v4, 23, v2
	s_delay_alu instid0(VALU_DEP_1) | instskip(NEXT) | instid1(VALU_DEP_1)
	v_lshl_or_b32 v2, v3, 21, v2
                                        ; implicit-def: $vgpr3
	v_add_nc_u32_e32 v4, 0x38000000, v2
.LBB6_10913:                            ;   in Loop: Header=BB6_8449 Depth=2
	s_and_not1_saveexec_b32 s40, s7
; %bb.10914:                            ;   in Loop: Header=BB6_8449 Depth=2
	v_cmp_lt_i16_e64 s7, -1, v25
	v_mov_b32_e32 v2, 0x7f800000
	v_cmp_eq_u32_e32 vcc_lo, 0, v3
	s_delay_alu instid0(VALU_DEP_2) | instskip(NEXT) | instid1(VALU_DEP_1)
	v_cndmask_b32_e64 v2, 0xff800000, v2, s7
	v_cndmask_b32_e32 v4, 0x7f800001, v2, vcc_lo
; %bb.10915:                            ;   in Loop: Header=BB6_8449 Depth=2
	s_or_b32 exec_lo, exec_lo, s40
.LBB6_10916:                            ;   in Loop: Header=BB6_8449 Depth=2
	s_delay_alu instid0(SALU_CYCLE_1)
	s_or_b32 exec_lo, exec_lo, s29
.LBB6_10917:                            ;   in Loop: Header=BB6_8449 Depth=2
	s_delay_alu instid0(SALU_CYCLE_1) | instskip(NEXT) | instid1(VALU_DEP_1)
	s_or_b32 exec_lo, exec_lo, s28
	v_add_f32_e32 v4, v5, v4
	v_dual_mov_b32 v63, v1 :: v_dual_mov_b32 v3, v1
                                        ; implicit-def: $vgpr47
	s_mov_b32 s7, exec_lo
	s_delay_alu instid0(VALU_DEP_2) | instskip(SKIP_2) | instid1(VALU_DEP_3)
	v_and_b32_e32 v62, 0x7f800000, v4
	v_and_b32_e32 v2, 0x7fffff, v4
	v_lshrrev_b32_e32 v5, 24, v4
	v_cmpx_ne_u64_e32 0x7f800000, v[62:63]
	s_xor_b32 s28, exec_lo, s7
	s_cbranch_execz .LBB6_10931
; %bb.10918:                            ;   in Loop: Header=BB6_8449 Depth=2
	v_and_b32_e32 v62, 0x7fffffff, v4
	v_mov_b32_e32 v63, v1
	v_and_b32_e32 v58, 0x80, v5
                                        ; implicit-def: $vgpr47
	s_mov_b32 s7, exec_lo
	s_delay_alu instid0(VALU_DEP_2)
	v_cmpx_gt_u64_e32 0x47600001, v[62:63]
	s_xor_b32 s29, exec_lo, s7
	s_cbranch_execz .LBB6_10928
; %bb.10919:                            ;   in Loop: Header=BB6_8449 Depth=2
	v_mov_b32_e32 v47, 0
	s_mov_b32 s40, exec_lo
	v_cmpx_ne_u32_e32 0, v4
	s_cbranch_execz .LBB6_10927
; %bb.10920:                            ;   in Loop: Header=BB6_8449 Depth=2
	v_bfe_u32 v47, v4, 23, 8
	v_or_b32_e32 v5, 0x800000, v2
	s_delay_alu instid0(VALU_DEP_2) | instskip(SKIP_2) | instid1(VALU_DEP_2)
	v_cmp_gt_u32_e64 s7, 0x72, v47
	v_sub_nc_u32_e32 v4, 0x71, v47
	v_cmp_eq_u32_e32 vcc_lo, 0, v47
	v_dual_cndmask_b32 v4, 0, v4, s7 :: v_dual_cndmask_b32 v2, v5, v2, vcc_lo
	s_delay_alu instid0(VALU_DEP_1) | instskip(NEXT) | instid1(VALU_DEP_1)
	v_cndmask_b32_e64 v62, v4, 0x70, vcc_lo
	v_dual_add_nc_u32 v4, 21, v62 :: v_dual_add_nc_u32 v63, 20, v62
	s_delay_alu instid0(VALU_DEP_1) | instskip(NEXT) | instid1(VALU_DEP_2)
	v_lshlrev_b64_e64 v[4:5], v4, -1
	v_lshlrev_b64_e64 v[72:73], v63, 1
	s_delay_alu instid0(VALU_DEP_2) | instskip(SKIP_1) | instid1(VALU_DEP_4)
	v_bfi_b32 v4, v4, 0, v2
	v_lshrrev_b64 v[2:3], v62, v[2:3]
	v_bfi_b32 v5, v5, 0, 0
	s_delay_alu instid0(VALU_DEP_1) | instskip(NEXT) | instid1(VALU_DEP_3)
	v_cmp_eq_u64_e64 s7, v[4:5], v[72:73]
	v_mov_b64_e32 v[4:5], v[2:3]
	s_and_saveexec_b32 s41, s7
; %bb.10921:                            ;   in Loop: Header=BB6_8449 Depth=2
	v_bfe_u32 v4, v2, 21, 1
	v_mov_b32_e32 v5, v1
	s_delay_alu instid0(VALU_DEP_1) | instskip(NEXT) | instid1(VALU_DEP_1)
	v_add_nc_u64_e32 v[4:5], v[2:3], v[4:5]
	v_add_nc_u64_e32 v[4:5], -1, v[4:5]
; %bb.10922:                            ;   in Loop: Header=BB6_8449 Depth=2
	s_or_b32 exec_lo, exec_lo, s41
	v_add_nc_u32_e32 v3, 0xffffff81, v47
	v_lshrrev_b32_e32 v5, 23, v2
	s_mov_b32 s7, exec_lo
	s_delay_alu instid0(VALU_DEP_2) | instskip(NEXT) | instid1(VALU_DEP_1)
	v_cndmask_b32_e64 v3, v3, 0xffffff82, vcc_lo
	v_add3_u32 v47, v62, v3, v5
	v_and_b32_e32 v3, 0x1fffff, v4
                                        ; implicit-def: $vgpr4
	s_delay_alu instid0(VALU_DEP_1) | instskip(SKIP_1) | instid1(VALU_DEP_2)
	v_dual_add_nc_u32 v5, 14, v47 :: v_dual_add_nc_u32 v2, v3, v2
	v_mov_b32_e32 v3, v1
	v_cmpx_ne_u32_e32 0, v5
	s_xor_b32 s7, exec_lo, s7
; %bb.10923:                            ;   in Loop: Header=BB6_8449 Depth=2
	s_delay_alu instid0(VALU_DEP_2) | instskip(SKIP_1) | instid1(VALU_DEP_1)
	v_cmp_lt_u64_e32 vcc_lo, 0xffffff, v[2:3]
	v_add_nc_u32_e32 v4, 15, v47
	v_cndmask_b32_e32 v4, v5, v4, vcc_lo
	v_cndmask_b32_e64 v5, 0, 1, vcc_lo
	s_delay_alu instid0(VALU_DEP_1)
	v_lshrrev_b64 v[2:3], v5, v[2:3]
; %bb.10924:                            ;   in Loop: Header=BB6_8449 Depth=2
	s_and_not1_saveexec_b32 s7, s7
; %bb.10925:                            ;   in Loop: Header=BB6_8449 Depth=2
	s_delay_alu instid0(VALU_DEP_1)
	v_bfe_u32 v4, v2, 23, 1
; %bb.10926:                            ;   in Loop: Header=BB6_8449 Depth=2
	s_or_b32 exec_lo, exec_lo, s7
	s_delay_alu instid0(VALU_DEP_2) | instskip(NEXT) | instid1(VALU_DEP_2)
	v_lshrrev_b64 v[2:3], 21, v[2:3]
	v_cmp_gt_i32_e32 vcc_lo, 32, v4
	v_min_i32_e32 v5, 31, v4
	v_cmp_eq_u32_e64 s7, 0, v4
	s_delay_alu instid0(VALU_DEP_2) | instskip(SKIP_1) | instid1(VALU_DEP_2)
	v_dual_cndmask_b32 v3, 0, v3, vcc_lo :: v_dual_lshlrev_b32 v5, 2, v5
	v_cndmask_b32_e32 v2, 3, v2, vcc_lo
	v_and_b32_e32 v5, 0xfc, v5
	s_delay_alu instid0(VALU_DEP_2) | instskip(NEXT) | instid1(VALU_DEP_2)
	v_cmp_eq_u64_e32 vcc_lo, 0, v[2:3]
	v_and_or_b32 v2, v2, 3, v5
	s_and_b32 s7, s7, vcc_lo
	s_delay_alu instid0(VALU_DEP_1) | instid1(SALU_CYCLE_1)
	v_cndmask_b32_e64 v2, v2, 0, s7
	s_delay_alu instid0(VALU_DEP_1)
	v_or_b32_e32 v47, v2, v58
.LBB6_10927:                            ;   in Loop: Header=BB6_8449 Depth=2
	s_or_b32 exec_lo, exec_lo, s40
                                        ; implicit-def: $vgpr58
.LBB6_10928:                            ;   in Loop: Header=BB6_8449 Depth=2
	s_and_not1_saveexec_b32 s7, s29
; %bb.10929:                            ;   in Loop: Header=BB6_8449 Depth=2
	v_or_b32_e32 v47, 0x7b, v58
; %bb.10930:                            ;   in Loop: Header=BB6_8449 Depth=2
	s_or_b32 exec_lo, exec_lo, s7
                                        ; implicit-def: $vgpr4
                                        ; implicit-def: $vgpr2_vgpr3
                                        ; implicit-def: $vgpr5
.LBB6_10931:                            ;   in Loop: Header=BB6_8449 Depth=2
	s_and_not1_saveexec_b32 s7, s28
	s_cbranch_execz .LBB6_10937
; %bb.10932:                            ;   in Loop: Header=BB6_8449 Depth=2
	s_mov_b32 s28, exec_lo
                                        ; implicit-def: $vgpr47
	v_cmpx_ne_u64_e32 0, v[2:3]
	s_xor_b32 s28, exec_lo, s28
; %bb.10933:                            ;   in Loop: Header=BB6_8449 Depth=2
	v_or_b32_e32 v47, 0x7f, v5
                                        ; implicit-def: $vgpr4
; %bb.10934:                            ;   in Loop: Header=BB6_8449 Depth=2
	s_and_not1_saveexec_b32 s28, s28
; %bb.10935:                            ;   in Loop: Header=BB6_8449 Depth=2
	v_cmp_lt_i32_e32 vcc_lo, -1, v4
	v_mov_b32_e32 v2, 0x7c
	s_delay_alu instid0(VALU_DEP_1)
	v_cndmask_b32_e32 v47, 0xfc, v2, vcc_lo
; %bb.10936:                            ;   in Loop: Header=BB6_8449 Depth=2
	s_or_b32 exec_lo, exec_lo, s28
.LBB6_10937:                            ;   in Loop: Header=BB6_8449 Depth=2
	s_delay_alu instid0(SALU_CYCLE_1) | instskip(SKIP_3) | instid1(VALU_DEP_2)
	s_or_b32 exec_lo, exec_lo, s7
	v_dual_mov_b32 v3, 0 :: v_dual_lshrrev_b32 v2, 16, v0
	v_mov_b32_e32 v4, 0
	s_mov_b32 s28, exec_lo
	v_and_b32_e32 v5, 0xff, v2
	s_delay_alu instid0(VALU_DEP_1)
	v_cmpx_ne_u16_e32 0, v5
	s_cbranch_execz .LBB6_10947
; %bb.10938:                            ;   in Loop: Header=BB6_8449 Depth=2
	v_bfrev_b32_e32 v4, 1
	s_mov_b32 s29, exec_lo
	v_cmpx_ne_u16_e32 0x80, v5
	s_cbranch_execz .LBB6_10946
; %bb.10939:                            ;   in Loop: Header=BB6_8449 Depth=2
	v_and_b32_e32 v4, 0x7c0000, v0
	v_bfe_u32 v5, v0, 16, 2
	s_delay_alu instid0(VALU_DEP_2) | instskip(SKIP_1) | instid1(SALU_CYCLE_1)
	v_cmp_ne_u32_e32 vcc_lo, 0x7c0000, v4
                                        ; implicit-def: $vgpr4
	s_and_saveexec_b32 s7, vcc_lo
	s_xor_b32 s7, exec_lo, s7
	s_cbranch_execz .LBB6_10943
; %bb.10940:                            ;   in Loop: Header=BB6_8449 Depth=2
	v_bfe_u32 v4, v0, 18, 5
	s_mov_b32 s40, exec_lo
	s_delay_alu instid0(VALU_DEP_1)
	v_cmpx_eq_u32_e32 0, v4
; %bb.10941:                            ;   in Loop: Header=BB6_8449 Depth=2
	v_clz_i32_u32_e32 v4, v5
	s_delay_alu instid0(VALU_DEP_1) | instskip(NEXT) | instid1(VALU_DEP_1)
	v_min_u32_e32 v4, 32, v4
	v_subrev_nc_u32_e32 v5, 29, v4
	s_delay_alu instid0(VALU_DEP_1) | instskip(NEXT) | instid1(VALU_DEP_1)
	v_lshlrev_b64_e32 v[62:63], v5, v[2:3]
	v_dual_sub_nc_u32 v4, 30, v4 :: v_dual_bitop2_b32 v5, 3, v62 bitop3:0x40
; %bb.10942:                            ;   in Loop: Header=BB6_8449 Depth=2
	s_or_b32 exec_lo, exec_lo, s40
	v_lshlrev_b32_e32 v2, 24, v2
	s_delay_alu instid0(VALU_DEP_1) | instskip(NEXT) | instid1(VALU_DEP_1)
	v_and_b32_e32 v2, 0x80000000, v2
	v_lshl_add_u32 v2, v4, 23, v2
	s_delay_alu instid0(VALU_DEP_1) | instskip(NEXT) | instid1(VALU_DEP_1)
	v_lshl_or_b32 v2, v5, 21, v2
                                        ; implicit-def: $vgpr5
	v_add_nc_u32_e32 v4, 0x38000000, v2
                                        ; implicit-def: $vgpr2
.LBB6_10943:                            ;   in Loop: Header=BB6_8449 Depth=2
	s_and_not1_saveexec_b32 s40, s7
; %bb.10944:                            ;   in Loop: Header=BB6_8449 Depth=2
	v_bfe_i32 v2, v2, 0, 8
	v_cmp_eq_u32_e32 vcc_lo, 0, v5
	s_delay_alu instid0(VALU_DEP_2) | instskip(SKIP_1) | instid1(VALU_DEP_1)
	v_cmp_lt_i16_e64 s7, -1, v2
	v_mov_b32_e32 v2, 0x7f800000
	v_cndmask_b32_e64 v2, 0xff800000, v2, s7
	s_delay_alu instid0(VALU_DEP_1)
	v_cndmask_b32_e32 v4, 0x7f800001, v2, vcc_lo
; %bb.10945:                            ;   in Loop: Header=BB6_8449 Depth=2
	s_or_b32 exec_lo, exec_lo, s40
.LBB6_10946:                            ;   in Loop: Header=BB6_8449 Depth=2
	s_delay_alu instid0(SALU_CYCLE_1)
	s_or_b32 exec_lo, exec_lo, s29
.LBB6_10947:                            ;   in Loop: Header=BB6_8449 Depth=2
	s_delay_alu instid0(SALU_CYCLE_1) | instskip(SKIP_2) | instid1(VALU_DEP_1)
	s_or_b32 exec_lo, exec_lo, s28
	v_lshrrev_b32_e32 v2, 16, v25
	s_mov_b32 s28, exec_lo
	v_and_b32_e32 v5, 0xff, v2
	s_delay_alu instid0(VALU_DEP_1)
	v_cmpx_ne_u16_e32 0, v5
	s_cbranch_execz .LBB6_10957
; %bb.10948:                            ;   in Loop: Header=BB6_8449 Depth=2
	v_bfrev_b32_e32 v3, 1
	s_mov_b32 s29, exec_lo
	v_cmpx_ne_u16_e32 0x80, v5
	s_cbranch_execz .LBB6_10956
; %bb.10949:                            ;   in Loop: Header=BB6_8449 Depth=2
	v_and_b32_e32 v3, 0x7c0000, v25
	v_bfe_u32 v5, v25, 16, 2
	s_delay_alu instid0(VALU_DEP_2) | instskip(SKIP_1) | instid1(SALU_CYCLE_1)
	v_cmp_ne_u32_e32 vcc_lo, 0x7c0000, v3
                                        ; implicit-def: $vgpr3
	s_and_saveexec_b32 s7, vcc_lo
	s_xor_b32 s7, exec_lo, s7
	s_cbranch_execz .LBB6_10953
; %bb.10950:                            ;   in Loop: Header=BB6_8449 Depth=2
	v_bfe_u32 v3, v25, 18, 5
	s_mov_b32 s40, exec_lo
	s_delay_alu instid0(VALU_DEP_1)
	v_cmpx_eq_u32_e32 0, v3
; %bb.10951:                            ;   in Loop: Header=BB6_8449 Depth=2
	v_clz_i32_u32_e32 v3, v5
	s_delay_alu instid0(VALU_DEP_1) | instskip(NEXT) | instid1(VALU_DEP_1)
	v_min_u32_e32 v3, 32, v3
	v_subrev_nc_u32_e32 v5, 29, v3
	s_delay_alu instid0(VALU_DEP_1) | instskip(NEXT) | instid1(VALU_DEP_1)
	v_lshlrev_b64_e32 v[62:63], v5, v[2:3]
	v_dual_sub_nc_u32 v3, 30, v3 :: v_dual_bitop2_b32 v5, 3, v62 bitop3:0x40
; %bb.10952:                            ;   in Loop: Header=BB6_8449 Depth=2
	s_or_b32 exec_lo, exec_lo, s40
	v_lshlrev_b32_e32 v2, 24, v2
	s_delay_alu instid0(VALU_DEP_1) | instskip(NEXT) | instid1(VALU_DEP_1)
	v_and_b32_e32 v2, 0x80000000, v2
	v_lshl_add_u32 v2, v3, 23, v2
	s_delay_alu instid0(VALU_DEP_1) | instskip(NEXT) | instid1(VALU_DEP_1)
	v_lshl_or_b32 v2, v5, 21, v2
                                        ; implicit-def: $vgpr5
	v_add_nc_u32_e32 v3, 0x38000000, v2
                                        ; implicit-def: $vgpr2
.LBB6_10953:                            ;   in Loop: Header=BB6_8449 Depth=2
	s_and_not1_saveexec_b32 s40, s7
; %bb.10954:                            ;   in Loop: Header=BB6_8449 Depth=2
	v_bfe_i32 v2, v2, 0, 8
	v_cmp_eq_u32_e32 vcc_lo, 0, v5
	s_delay_alu instid0(VALU_DEP_2) | instskip(SKIP_1) | instid1(VALU_DEP_1)
	v_cmp_lt_i16_e64 s7, -1, v2
	v_mov_b32_e32 v2, 0x7f800000
	v_cndmask_b32_e64 v2, 0xff800000, v2, s7
	s_delay_alu instid0(VALU_DEP_1)
	v_cndmask_b32_e32 v3, 0x7f800001, v2, vcc_lo
; %bb.10955:                            ;   in Loop: Header=BB6_8449 Depth=2
	s_or_b32 exec_lo, exec_lo, s40
.LBB6_10956:                            ;   in Loop: Header=BB6_8449 Depth=2
	s_delay_alu instid0(SALU_CYCLE_1)
	s_or_b32 exec_lo, exec_lo, s29
.LBB6_10957:                            ;   in Loop: Header=BB6_8449 Depth=2
	s_delay_alu instid0(SALU_CYCLE_1) | instskip(NEXT) | instid1(VALU_DEP_1)
	s_or_b32 exec_lo, exec_lo, s28
	v_dual_add_f32 v4, v4, v3 :: v_dual_mov_b32 v63, v1
	v_mov_b32_e32 v3, v1
                                        ; implicit-def: $vgpr58
	s_mov_b32 s7, exec_lo
	s_delay_alu instid0(VALU_DEP_2) | instskip(SKIP_2) | instid1(VALU_DEP_3)
	v_and_b32_e32 v62, 0x7f800000, v4
	v_and_b32_e32 v2, 0x7fffff, v4
	v_lshrrev_b32_e32 v5, 24, v4
	v_cmpx_ne_u64_e32 0x7f800000, v[62:63]
	s_xor_b32 s28, exec_lo, s7
	s_cbranch_execz .LBB6_10971
; %bb.10958:                            ;   in Loop: Header=BB6_8449 Depth=2
	v_and_b32_e32 v62, 0x7fffffff, v4
	v_mov_b32_e32 v63, v1
                                        ; implicit-def: $vgpr58
	s_delay_alu instid0(VALU_DEP_1) | instskip(SKIP_2) | instid1(SALU_CYCLE_1)
	v_cmp_gt_u64_e32 vcc_lo, 0x47600001, v[62:63]
	v_and_b32_e32 v62, 0x80, v5
	s_and_saveexec_b32 s7, vcc_lo
	s_xor_b32 s29, exec_lo, s7
	s_cbranch_execz .LBB6_10968
; %bb.10959:                            ;   in Loop: Header=BB6_8449 Depth=2
	v_mov_b32_e32 v58, 0
	s_mov_b32 s40, exec_lo
	v_cmpx_ne_u32_e32 0, v4
	s_cbranch_execz .LBB6_10967
; %bb.10960:                            ;   in Loop: Header=BB6_8449 Depth=2
	v_bfe_u32 v58, v4, 23, 8
	v_or_b32_e32 v5, 0x800000, v2
	s_delay_alu instid0(VALU_DEP_2) | instskip(SKIP_2) | instid1(VALU_DEP_2)
	v_cmp_gt_u32_e64 s7, 0x72, v58
	v_sub_nc_u32_e32 v4, 0x71, v58
	v_cmp_eq_u32_e32 vcc_lo, 0, v58
	v_dual_cndmask_b32 v4, 0, v4, s7 :: v_dual_cndmask_b32 v2, v5, v2, vcc_lo
	s_delay_alu instid0(VALU_DEP_1) | instskip(NEXT) | instid1(VALU_DEP_1)
	v_cndmask_b32_e64 v63, v4, 0x70, vcc_lo
	v_dual_add_nc_u32 v4, 21, v63 :: v_dual_add_nc_u32 v72, 20, v63
	s_delay_alu instid0(VALU_DEP_1) | instskip(NEXT) | instid1(VALU_DEP_2)
	v_lshlrev_b64_e64 v[4:5], v4, -1
	v_lshlrev_b64_e64 v[72:73], v72, 1
	s_delay_alu instid0(VALU_DEP_2) | instskip(SKIP_1) | instid1(VALU_DEP_4)
	v_bfi_b32 v4, v4, 0, v2
	v_lshrrev_b64 v[2:3], v63, v[2:3]
	v_bfi_b32 v5, v5, 0, 0
	s_delay_alu instid0(VALU_DEP_1) | instskip(NEXT) | instid1(VALU_DEP_3)
	v_cmp_eq_u64_e64 s7, v[4:5], v[72:73]
	v_mov_b64_e32 v[4:5], v[2:3]
	s_and_saveexec_b32 s41, s7
; %bb.10961:                            ;   in Loop: Header=BB6_8449 Depth=2
	v_bfe_u32 v4, v2, 21, 1
	v_mov_b32_e32 v5, v1
	s_delay_alu instid0(VALU_DEP_1) | instskip(NEXT) | instid1(VALU_DEP_1)
	v_add_nc_u64_e32 v[4:5], v[2:3], v[4:5]
	v_add_nc_u64_e32 v[4:5], -1, v[4:5]
; %bb.10962:                            ;   in Loop: Header=BB6_8449 Depth=2
	s_or_b32 exec_lo, exec_lo, s41
	v_add_nc_u32_e32 v3, 0xffffff81, v58
	v_lshrrev_b32_e32 v5, 23, v2
	s_mov_b32 s7, exec_lo
	s_delay_alu instid0(VALU_DEP_2) | instskip(NEXT) | instid1(VALU_DEP_1)
	v_cndmask_b32_e64 v3, v3, 0xffffff82, vcc_lo
	v_add3_u32 v58, v63, v3, v5
	v_and_b32_e32 v3, 0x1fffff, v4
                                        ; implicit-def: $vgpr4
	s_delay_alu instid0(VALU_DEP_2) | instskip(NEXT) | instid1(VALU_DEP_2)
	v_add_nc_u32_e32 v5, 14, v58
	v_dual_mov_b32 v3, v1 :: v_dual_add_nc_u32 v2, v3, v2
	s_delay_alu instid0(VALU_DEP_2)
	v_cmpx_ne_u32_e32 0, v5
	s_xor_b32 s7, exec_lo, s7
; %bb.10963:                            ;   in Loop: Header=BB6_8449 Depth=2
	s_delay_alu instid0(VALU_DEP_2) | instskip(SKIP_1) | instid1(VALU_DEP_1)
	v_cmp_lt_u64_e32 vcc_lo, 0xffffff, v[2:3]
	v_add_nc_u32_e32 v4, 15, v58
	v_cndmask_b32_e32 v4, v5, v4, vcc_lo
	v_cndmask_b32_e64 v5, 0, 1, vcc_lo
	s_delay_alu instid0(VALU_DEP_1)
	v_lshrrev_b64 v[2:3], v5, v[2:3]
; %bb.10964:                            ;   in Loop: Header=BB6_8449 Depth=2
	s_and_not1_saveexec_b32 s7, s7
; %bb.10965:                            ;   in Loop: Header=BB6_8449 Depth=2
	s_delay_alu instid0(VALU_DEP_1)
	v_bfe_u32 v4, v2, 23, 1
; %bb.10966:                            ;   in Loop: Header=BB6_8449 Depth=2
	s_or_b32 exec_lo, exec_lo, s7
	s_delay_alu instid0(VALU_DEP_2) | instskip(NEXT) | instid1(VALU_DEP_2)
	v_lshrrev_b64 v[2:3], 21, v[2:3]
	v_cmp_gt_i32_e32 vcc_lo, 32, v4
	v_min_i32_e32 v5, 31, v4
	v_cmp_eq_u32_e64 s7, 0, v4
	s_delay_alu instid0(VALU_DEP_2) | instskip(SKIP_1) | instid1(VALU_DEP_2)
	v_dual_cndmask_b32 v3, 0, v3, vcc_lo :: v_dual_lshlrev_b32 v5, 2, v5
	v_cndmask_b32_e32 v2, 3, v2, vcc_lo
	v_and_b32_e32 v5, 0xfc, v5
	s_delay_alu instid0(VALU_DEP_2) | instskip(NEXT) | instid1(VALU_DEP_2)
	v_cmp_eq_u64_e32 vcc_lo, 0, v[2:3]
	v_and_or_b32 v2, v2, 3, v5
	s_and_b32 s7, s7, vcc_lo
	s_delay_alu instid0(VALU_DEP_1) | instid1(SALU_CYCLE_1)
	v_cndmask_b32_e64 v2, v2, 0, s7
	s_delay_alu instid0(VALU_DEP_1)
	v_or_b32_e32 v58, v2, v62
.LBB6_10967:                            ;   in Loop: Header=BB6_8449 Depth=2
	s_or_b32 exec_lo, exec_lo, s40
                                        ; implicit-def: $vgpr62
.LBB6_10968:                            ;   in Loop: Header=BB6_8449 Depth=2
	s_and_not1_saveexec_b32 s7, s29
; %bb.10969:                            ;   in Loop: Header=BB6_8449 Depth=2
	v_or_b32_e32 v58, 0x7b, v62
; %bb.10970:                            ;   in Loop: Header=BB6_8449 Depth=2
	s_or_b32 exec_lo, exec_lo, s7
                                        ; implicit-def: $vgpr4
                                        ; implicit-def: $vgpr2_vgpr3
                                        ; implicit-def: $vgpr5
.LBB6_10971:                            ;   in Loop: Header=BB6_8449 Depth=2
	s_and_not1_saveexec_b32 s7, s28
	s_cbranch_execz .LBB6_10977
; %bb.10972:                            ;   in Loop: Header=BB6_8449 Depth=2
	s_mov_b32 s28, exec_lo
                                        ; implicit-def: $vgpr58
	v_cmpx_ne_u64_e32 0, v[2:3]
	s_xor_b32 s28, exec_lo, s28
; %bb.10973:                            ;   in Loop: Header=BB6_8449 Depth=2
	v_or_b32_e32 v58, 0x7f, v5
                                        ; implicit-def: $vgpr4
; %bb.10974:                            ;   in Loop: Header=BB6_8449 Depth=2
	s_and_not1_saveexec_b32 s28, s28
; %bb.10975:                            ;   in Loop: Header=BB6_8449 Depth=2
	v_cmp_lt_i32_e32 vcc_lo, -1, v4
	v_mov_b32_e32 v2, 0x7c
	s_delay_alu instid0(VALU_DEP_1)
	v_cndmask_b32_e32 v58, 0xfc, v2, vcc_lo
; %bb.10976:                            ;   in Loop: Header=BB6_8449 Depth=2
	s_or_b32 exec_lo, exec_lo, s28
.LBB6_10977:                            ;   in Loop: Header=BB6_8449 Depth=2
	s_delay_alu instid0(SALU_CYCLE_1)
	s_or_b32 exec_lo, exec_lo, s7
	v_dual_mov_b32 v3, 0 :: v_dual_mov_b32 v4, 0
	s_mov_b32 s28, exec_lo
	v_cmpx_lt_u32_e32 0xffffff, v0
	s_cbranch_execz .LBB6_10987
; %bb.10978:                            ;   in Loop: Header=BB6_8449 Depth=2
	v_lshrrev_b32_e32 v2, 24, v0
	v_bfrev_b32_e32 v4, 1
	s_mov_b32 s29, exec_lo
	s_delay_alu instid0(VALU_DEP_2)
	v_cmpx_ne_u32_e32 0x80, v2
	s_cbranch_execz .LBB6_10986
; %bb.10979:                            ;   in Loop: Header=BB6_8449 Depth=2
	v_and_b32_e32 v4, 0x7c000000, v0
	v_bfe_u32 v5, v0, 24, 2
	s_delay_alu instid0(VALU_DEP_2) | instskip(SKIP_1) | instid1(SALU_CYCLE_1)
	v_cmp_ne_u32_e32 vcc_lo, 0x7c000000, v4
                                        ; implicit-def: $vgpr4
	s_and_saveexec_b32 s7, vcc_lo
	s_xor_b32 s7, exec_lo, s7
	s_cbranch_execz .LBB6_10983
; %bb.10980:                            ;   in Loop: Header=BB6_8449 Depth=2
	v_bfe_u32 v4, v0, 26, 5
	s_mov_b32 s40, exec_lo
	s_delay_alu instid0(VALU_DEP_1)
	v_cmpx_eq_u32_e32 0, v4
; %bb.10981:                            ;   in Loop: Header=BB6_8449 Depth=2
	v_clz_i32_u32_e32 v4, v5
	s_delay_alu instid0(VALU_DEP_1) | instskip(NEXT) | instid1(VALU_DEP_1)
	v_min_u32_e32 v4, 32, v4
	v_subrev_nc_u32_e32 v5, 29, v4
	s_delay_alu instid0(VALU_DEP_1) | instskip(NEXT) | instid1(VALU_DEP_1)
	v_lshlrev_b64_e32 v[62:63], v5, v[2:3]
	v_dual_sub_nc_u32 v4, 30, v4 :: v_dual_bitop2_b32 v5, 3, v62 bitop3:0x40
; %bb.10982:                            ;   in Loop: Header=BB6_8449 Depth=2
	s_or_b32 exec_lo, exec_lo, s40
	v_and_b32_e32 v0, 0x80000000, v0
	s_delay_alu instid0(VALU_DEP_1) | instskip(NEXT) | instid1(VALU_DEP_1)
	v_lshl_add_u32 v0, v4, 23, v0
	v_lshl_or_b32 v0, v5, 21, v0
                                        ; implicit-def: $vgpr5
	s_delay_alu instid0(VALU_DEP_1)
	v_add_nc_u32_e32 v4, 0x38000000, v0
.LBB6_10983:                            ;   in Loop: Header=BB6_8449 Depth=2
	s_and_not1_saveexec_b32 s40, s7
; %bb.10984:                            ;   in Loop: Header=BB6_8449 Depth=2
	v_cmp_lt_i32_e64 s7, -1, v0
	v_mov_b32_e32 v0, 0x7f800000
	v_cmp_eq_u32_e32 vcc_lo, 0, v5
	s_delay_alu instid0(VALU_DEP_2) | instskip(NEXT) | instid1(VALU_DEP_1)
	v_cndmask_b32_e64 v0, 0xff800000, v0, s7
	v_cndmask_b32_e32 v4, 0x7f800001, v0, vcc_lo
; %bb.10985:                            ;   in Loop: Header=BB6_8449 Depth=2
	s_or_b32 exec_lo, exec_lo, s40
.LBB6_10986:                            ;   in Loop: Header=BB6_8449 Depth=2
	s_delay_alu instid0(SALU_CYCLE_1)
	s_or_b32 exec_lo, exec_lo, s29
.LBB6_10987:                            ;   in Loop: Header=BB6_8449 Depth=2
	s_delay_alu instid0(SALU_CYCLE_1) | instskip(NEXT) | instid1(SALU_CYCLE_1)
	s_or_b32 exec_lo, exec_lo, s28
	s_mov_b32 s28, exec_lo
	v_cmpx_lt_u64_e64 s[12:13], v[24:25]
	s_cbranch_execz .LBB6_10997
; %bb.10988:                            ;   in Loop: Header=BB6_8449 Depth=2
	v_lshrrev_b32_e32 v0, 24, v25
	v_bfrev_b32_e32 v3, 1
	s_mov_b32 s29, exec_lo
	s_delay_alu instid0(VALU_DEP_2)
	v_cmpx_ne_u32_e32 0x80, v0
	s_cbranch_execz .LBB6_10996
; %bb.10989:                            ;   in Loop: Header=BB6_8449 Depth=2
	v_and_b32_e32 v3, 0x7c000000, v25
	v_bfe_u32 v2, v25, 24, 2
	s_delay_alu instid0(VALU_DEP_2) | instskip(SKIP_1) | instid1(SALU_CYCLE_1)
	v_cmp_ne_u32_e32 vcc_lo, 0x7c000000, v3
                                        ; implicit-def: $vgpr3
	s_and_saveexec_b32 s7, vcc_lo
	s_xor_b32 s7, exec_lo, s7
	s_cbranch_execz .LBB6_10993
; %bb.10990:                            ;   in Loop: Header=BB6_8449 Depth=2
	v_bfe_u32 v3, v25, 26, 5
	s_mov_b32 s40, exec_lo
	s_delay_alu instid0(VALU_DEP_1)
	v_cmpx_eq_u32_e32 0, v3
; %bb.10991:                            ;   in Loop: Header=BB6_8449 Depth=2
	v_clz_i32_u32_e32 v2, v2
	s_delay_alu instid0(VALU_DEP_1) | instskip(NEXT) | instid1(VALU_DEP_1)
	v_min_u32_e32 v5, 32, v2
	v_subrev_nc_u32_e32 v2, 29, v5
	s_delay_alu instid0(VALU_DEP_1) | instskip(NEXT) | instid1(VALU_DEP_1)
	v_lshlrev_b64_e32 v[2:3], v2, v[0:1]
	v_dual_sub_nc_u32 v3, 30, v5 :: v_dual_bitop2_b32 v2, 3, v2 bitop3:0x40
; %bb.10992:                            ;   in Loop: Header=BB6_8449 Depth=2
	s_or_b32 exec_lo, exec_lo, s40
	v_and_b32_e32 v0, 0x80000000, v25
                                        ; implicit-def: $vgpr24_vgpr25
	s_delay_alu instid0(VALU_DEP_1) | instskip(NEXT) | instid1(VALU_DEP_1)
	v_lshl_add_u32 v0, v3, 23, v0
	v_lshl_or_b32 v0, v2, 21, v0
                                        ; implicit-def: $vgpr2
	s_delay_alu instid0(VALU_DEP_1)
	v_add_nc_u32_e32 v3, 0x38000000, v0
.LBB6_10993:                            ;   in Loop: Header=BB6_8449 Depth=2
	s_and_not1_saveexec_b32 s40, s7
; %bb.10994:                            ;   in Loop: Header=BB6_8449 Depth=2
	v_cmp_lt_i64_e64 s7, -1, v[24:25]
	v_mov_b32_e32 v0, 0x7f800000
	v_cmp_eq_u32_e32 vcc_lo, 0, v2
	s_delay_alu instid0(VALU_DEP_2) | instskip(NEXT) | instid1(VALU_DEP_1)
	v_cndmask_b32_e64 v0, 0xff800000, v0, s7
	v_cndmask_b32_e32 v3, 0x7f800001, v0, vcc_lo
; %bb.10995:                            ;   in Loop: Header=BB6_8449 Depth=2
	s_or_b32 exec_lo, exec_lo, s40
.LBB6_10996:                            ;   in Loop: Header=BB6_8449 Depth=2
	s_delay_alu instid0(SALU_CYCLE_1)
	s_or_b32 exec_lo, exec_lo, s29
.LBB6_10997:                            ;   in Loop: Header=BB6_8449 Depth=2
	s_delay_alu instid0(SALU_CYCLE_1) | instskip(NEXT) | instid1(VALU_DEP_1)
	s_or_b32 exec_lo, exec_lo, s28
	v_dual_add_f32 v2, v4, v3 :: v_dual_mov_b32 v5, v1
                                        ; implicit-def: $vgpr24
	s_mov_b32 s7, exec_lo
	s_delay_alu instid0(VALU_DEP_1) | instskip(SKIP_2) | instid1(VALU_DEP_3)
	v_and_b32_e32 v4, 0x7f800000, v2
	v_and_b32_e32 v0, 0x7fffff, v2
	v_lshrrev_b32_e32 v3, 24, v2
	v_cmpx_ne_u64_e32 0x7f800000, v[4:5]
	s_xor_b32 s28, exec_lo, s7
	s_cbranch_execz .LBB6_11011
; %bb.10998:                            ;   in Loop: Header=BB6_8449 Depth=2
	v_and_b32_e32 v4, 0x7fffffff, v2
	v_mov_b32_e32 v5, v1
	v_and_b32_e32 v25, 0x80, v3
                                        ; implicit-def: $vgpr24
	s_mov_b32 s7, exec_lo
	s_delay_alu instid0(VALU_DEP_2)
	v_cmpx_gt_u64_e32 0x47600001, v[4:5]
	s_xor_b32 s29, exec_lo, s7
	s_cbranch_execz .LBB6_11008
; %bb.10999:                            ;   in Loop: Header=BB6_8449 Depth=2
	v_mov_b32_e32 v24, 0
	s_mov_b32 s40, exec_lo
	v_cmpx_ne_u32_e32 0, v2
	s_cbranch_execz .LBB6_11007
; %bb.11000:                            ;   in Loop: Header=BB6_8449 Depth=2
	v_bfe_u32 v24, v2, 23, 8
	v_or_b32_e32 v3, 0x800000, v0
	s_delay_alu instid0(VALU_DEP_2) | instskip(SKIP_2) | instid1(VALU_DEP_2)
	v_cmp_gt_u32_e64 s7, 0x72, v24
	v_sub_nc_u32_e32 v2, 0x71, v24
	v_cmp_eq_u32_e32 vcc_lo, 0, v24
	v_cndmask_b32_e64 v2, 0, v2, s7
	s_delay_alu instid0(VALU_DEP_1) | instskip(SKIP_1) | instid1(VALU_DEP_2)
	v_cndmask_b32_e64 v62, v2, 0x70, vcc_lo
	v_dual_cndmask_b32 v2, v3, v0 :: v_dual_mov_b32 v3, v1
	v_add_nc_u32_e32 v0, 21, v62
	s_delay_alu instid0(VALU_DEP_1) | instskip(SKIP_1) | instid1(VALU_DEP_1)
	v_lshlrev_b64_e64 v[4:5], v0, -1
	v_add_nc_u32_e32 v0, 20, v62
	v_lshlrev_b64_e64 v[72:73], v0, 1
	s_delay_alu instid0(VALU_DEP_3) | instskip(SKIP_2) | instid1(VALU_DEP_1)
	v_bfi_b32 v4, v4, 0, v2
	v_lshrrev_b64 v[2:3], v62, v[2:3]
	v_bfi_b32 v5, v5, 0, 0
	v_cmp_eq_u64_e64 s7, v[4:5], v[72:73]
	s_delay_alu instid0(VALU_DEP_3)
	v_mov_b64_e32 v[4:5], v[2:3]
	s_and_saveexec_b32 s41, s7
; %bb.11001:                            ;   in Loop: Header=BB6_8449 Depth=2
	v_bfe_u32 v4, v2, 21, 1
	v_mov_b32_e32 v5, v1
	s_delay_alu instid0(VALU_DEP_1) | instskip(NEXT) | instid1(VALU_DEP_1)
	v_add_nc_u64_e32 v[4:5], v[2:3], v[4:5]
	v_add_nc_u64_e32 v[4:5], -1, v[4:5]
; %bb.11002:                            ;   in Loop: Header=BB6_8449 Depth=2
	s_or_b32 exec_lo, exec_lo, s41
	v_add_nc_u32_e32 v0, 0xffffff81, v24
	v_lshrrev_b32_e32 v3, 23, v2
	s_mov_b32 s7, exec_lo
	s_delay_alu instid0(VALU_DEP_2) | instskip(NEXT) | instid1(VALU_DEP_1)
	v_cndmask_b32_e64 v0, v0, 0xffffff82, vcc_lo
	v_add3_u32 v24, v62, v0, v3
	v_and_b32_e32 v0, 0x1fffff, v4
                                        ; implicit-def: $vgpr4
	s_delay_alu instid0(VALU_DEP_1) | instskip(NEXT) | instid1(VALU_DEP_1)
	v_dual_add_nc_u32 v5, 14, v24 :: v_dual_add_nc_u32 v0, v0, v2
                                        ; implicit-def: $vgpr2_vgpr3
	v_cmpx_ne_u32_e32 0, v5
	s_xor_b32 s7, exec_lo, s7
; %bb.11003:                            ;   in Loop: Header=BB6_8449 Depth=2
	s_delay_alu instid0(VALU_DEP_2) | instskip(SKIP_1) | instid1(VALU_DEP_1)
	v_cmp_lt_u64_e32 vcc_lo, 0xffffff, v[0:1]
	v_add_nc_u32_e32 v2, 15, v24
	v_cndmask_b32_e32 v4, v5, v2, vcc_lo
	v_cndmask_b32_e64 v2, 0, 1, vcc_lo
	s_delay_alu instid0(VALU_DEP_1)
	v_lshrrev_b64 v[2:3], v2, v[0:1]
; %bb.11004:                            ;   in Loop: Header=BB6_8449 Depth=2
	s_and_not1_saveexec_b32 s7, s7
; %bb.11005:                            ;   in Loop: Header=BB6_8449 Depth=2
	v_mov_b64_e32 v[2:3], v[0:1]
	v_bfe_u32 v4, v0, 23, 1
; %bb.11006:                            ;   in Loop: Header=BB6_8449 Depth=2
	s_or_b32 exec_lo, exec_lo, s7
	s_delay_alu instid0(VALU_DEP_2) | instskip(NEXT) | instid1(VALU_DEP_2)
	v_lshrrev_b64 v[2:3], 21, v[2:3]
	v_cmp_gt_i32_e32 vcc_lo, 32, v4
	v_min_i32_e32 v0, 31, v4
	v_cmp_eq_u32_e64 s7, 0, v4
	s_delay_alu instid0(VALU_DEP_2) | instskip(SKIP_1) | instid1(VALU_DEP_2)
	v_dual_cndmask_b32 v3, 0, v3 :: v_dual_lshlrev_b32 v0, 2, v0
	v_cndmask_b32_e32 v2, 3, v2, vcc_lo
	v_and_b32_e32 v0, 0xfc, v0
	s_delay_alu instid0(VALU_DEP_2) | instskip(NEXT) | instid1(VALU_DEP_2)
	v_cmp_eq_u64_e32 vcc_lo, 0, v[2:3]
	v_and_or_b32 v0, v2, 3, v0
	s_and_b32 s7, s7, vcc_lo
	s_delay_alu instid0(VALU_DEP_1) | instid1(SALU_CYCLE_1)
	v_cndmask_b32_e64 v0, v0, 0, s7
	s_delay_alu instid0(VALU_DEP_1)
	v_or_b32_e32 v24, v0, v25
.LBB6_11007:                            ;   in Loop: Header=BB6_8449 Depth=2
	s_or_b32 exec_lo, exec_lo, s40
                                        ; implicit-def: $vgpr25
.LBB6_11008:                            ;   in Loop: Header=BB6_8449 Depth=2
	s_and_not1_saveexec_b32 s7, s29
; %bb.11009:                            ;   in Loop: Header=BB6_8449 Depth=2
	v_or_b32_e32 v24, 0x7b, v25
; %bb.11010:                            ;   in Loop: Header=BB6_8449 Depth=2
	s_or_b32 exec_lo, exec_lo, s7
                                        ; implicit-def: $vgpr2
                                        ; implicit-def: $vgpr3
.LBB6_11011:                            ;   in Loop: Header=BB6_8449 Depth=2
	s_and_not1_saveexec_b32 s7, s28
	s_cbranch_execz .LBB6_11017
; %bb.11012:                            ;   in Loop: Header=BB6_8449 Depth=2
	s_mov_b32 s28, exec_lo
                                        ; implicit-def: $vgpr24
	v_cmpx_ne_u64_e32 0, v[0:1]
	s_xor_b32 s28, exec_lo, s28
; %bb.11013:                            ;   in Loop: Header=BB6_8449 Depth=2
	v_or_b32_e32 v24, 0x7f, v3
                                        ; implicit-def: $vgpr2
; %bb.11014:                            ;   in Loop: Header=BB6_8449 Depth=2
	s_and_not1_saveexec_b32 s28, s28
; %bb.11015:                            ;   in Loop: Header=BB6_8449 Depth=2
	v_cmp_lt_i32_e32 vcc_lo, -1, v2
	v_mov_b32_e32 v0, 0x7c
	s_delay_alu instid0(VALU_DEP_1)
	v_cndmask_b32_e32 v24, 0xfc, v0, vcc_lo
; %bb.11016:                            ;   in Loop: Header=BB6_8449 Depth=2
	s_or_b32 exec_lo, exec_lo, s28
.LBB6_11017:                            ;   in Loop: Header=BB6_8449 Depth=2
	s_delay_alu instid0(SALU_CYCLE_1) | instskip(SKIP_4) | instid1(VALU_DEP_2)
	s_or_b32 exec_lo, exec_lo, s7
	v_lshl_or_b32 v57, v57, 8, v46
	v_dual_lshlrev_b32 v0, 16, v60 :: v_dual_lshlrev_b32 v2, 24, v61
	s_mov_b32 s28, exec_lo
	v_mov_b32_e32 v3, 0
	v_or3_b32 v0, v0, v2, v57
	v_mov_b32_e32 v2, 0
	v_cmpx_ne_u32_e32 0, v46
	s_cbranch_execz .LBB6_11027
; %bb.11018:                            ;   in Loop: Header=BB6_8449 Depth=2
	v_bfrev_b32_e32 v3, 1
	s_mov_b32 s29, exec_lo
	v_cmpx_ne_u32_e32 0x80, v46
	s_cbranch_execz .LBB6_11026
; %bb.11019:                            ;   in Loop: Header=BB6_8449 Depth=2
	v_and_b32_e32 v3, 0x7c, v46
	v_and_b32_e32 v4, 3, v46
	s_delay_alu instid0(VALU_DEP_2) | instskip(SKIP_1) | instid1(SALU_CYCLE_1)
	v_cmp_ne_u32_e32 vcc_lo, 0x7c, v3
                                        ; implicit-def: $vgpr3
	s_and_saveexec_b32 s7, vcc_lo
	s_xor_b32 s7, exec_lo, s7
	s_cbranch_execz .LBB6_11023
; %bb.11020:                            ;   in Loop: Header=BB6_8449 Depth=2
	v_bfe_u32 v3, v46, 2, 5
	s_mov_b32 s40, exec_lo
	s_delay_alu instid0(VALU_DEP_1)
	v_cmpx_eq_u32_e32 0, v3
; %bb.11021:                            ;   in Loop: Header=BB6_8449 Depth=2
	v_clz_i32_u32_e32 v3, v4
	s_delay_alu instid0(VALU_DEP_1) | instskip(NEXT) | instid1(VALU_DEP_1)
	v_min_u32_e32 v3, 32, v3
	v_subrev_nc_u32_e32 v4, 29, v3
	s_delay_alu instid0(VALU_DEP_1) | instskip(NEXT) | instid1(VALU_DEP_1)
	v_lshlrev_b64_e32 v[4:5], v4, v[0:1]
	v_dual_sub_nc_u32 v3, 30, v3 :: v_dual_bitop2_b32 v4, 3, v4 bitop3:0x40
; %bb.11022:                            ;   in Loop: Header=BB6_8449 Depth=2
	s_or_b32 exec_lo, exec_lo, s40
	v_lshlrev_b32_e32 v5, 24, v46
                                        ; implicit-def: $vgpr46
	s_delay_alu instid0(VALU_DEP_1) | instskip(NEXT) | instid1(VALU_DEP_1)
	v_and_b32_e32 v5, 0x80000000, v5
	v_lshl_add_u32 v3, v3, 23, v5
	s_delay_alu instid0(VALU_DEP_1) | instskip(NEXT) | instid1(VALU_DEP_1)
	v_lshl_or_b32 v3, v4, 21, v3
                                        ; implicit-def: $vgpr4
	v_add_nc_u32_e32 v3, 0x38000000, v3
.LBB6_11023:                            ;   in Loop: Header=BB6_8449 Depth=2
	s_and_not1_saveexec_b32 s40, s7
; %bb.11024:                            ;   in Loop: Header=BB6_8449 Depth=2
	v_and_b32_e32 v3, 0x80, v46
	v_cmp_eq_u32_e32 vcc_lo, 0, v4
	s_delay_alu instid0(VALU_DEP_2) | instskip(SKIP_1) | instid1(VALU_DEP_1)
	v_cmp_eq_u32_e64 s7, 0, v3
	v_mov_b32_e32 v3, 0x7f800000
	v_cndmask_b32_e64 v3, 0xff800000, v3, s7
	s_delay_alu instid0(VALU_DEP_1)
	v_cndmask_b32_e32 v3, 0x7f800001, v3, vcc_lo
; %bb.11025:                            ;   in Loop: Header=BB6_8449 Depth=2
	s_or_b32 exec_lo, exec_lo, s40
.LBB6_11026:                            ;   in Loop: Header=BB6_8449 Depth=2
	s_delay_alu instid0(SALU_CYCLE_1)
	s_or_b32 exec_lo, exec_lo, s29
.LBB6_11027:                            ;   in Loop: Header=BB6_8449 Depth=2
	s_delay_alu instid0(SALU_CYCLE_1) | instskip(SKIP_3) | instid1(VALU_DEP_1)
	s_or_b32 exec_lo, exec_lo, s28
	s_wait_loadcnt 0x2
	v_and_b32_e32 v4, 0xff, v18
	s_mov_b32 s28, exec_lo
	v_cmpx_ne_u16_e32 0, v4
	s_cbranch_execz .LBB6_11037
; %bb.11028:                            ;   in Loop: Header=BB6_8449 Depth=2
	v_bfe_i32 v5, v18, 0, 8
	v_bfrev_b32_e32 v2, 1
	s_mov_b32 s29, exec_lo
	s_delay_alu instid0(VALU_DEP_2)
	v_cmpx_ne_u16_e32 0xff80, v5
	s_cbranch_execz .LBB6_11036
; %bb.11029:                            ;   in Loop: Header=BB6_8449 Depth=2
	v_and_b32_e32 v2, 0x7c, v18
	v_and_b32_e32 v4, 3, v18
	s_delay_alu instid0(VALU_DEP_2) | instskip(SKIP_1) | instid1(SALU_CYCLE_1)
	v_cmp_ne_u32_e32 vcc_lo, 0x7c, v2
                                        ; implicit-def: $vgpr2
	s_and_saveexec_b32 s7, vcc_lo
	s_xor_b32 s7, exec_lo, s7
	s_cbranch_execz .LBB6_11033
; %bb.11030:                            ;   in Loop: Header=BB6_8449 Depth=2
	v_bfe_u32 v2, v18, 2, 5
	s_mov_b32 s40, exec_lo
	s_delay_alu instid0(VALU_DEP_1)
	v_cmpx_eq_u32_e32 0, v2
; %bb.11031:                            ;   in Loop: Header=BB6_8449 Depth=2
	v_clz_i32_u32_e32 v2, v4
	s_delay_alu instid0(VALU_DEP_1) | instskip(NEXT) | instid1(VALU_DEP_1)
	v_min_u32_e32 v2, 32, v2
	v_subrev_nc_u32_e32 v4, 29, v2
	s_delay_alu instid0(VALU_DEP_1) | instskip(NEXT) | instid1(VALU_DEP_1)
	v_lshlrev_b64_e32 v[4:5], v4, v[18:19]
	v_dual_sub_nc_u32 v2, 30, v2 :: v_dual_bitop2_b32 v4, 3, v4 bitop3:0x40
; %bb.11032:                            ;   in Loop: Header=BB6_8449 Depth=2
	s_or_b32 exec_lo, exec_lo, s40
	v_lshlrev_b32_e32 v5, 24, v18
	s_delay_alu instid0(VALU_DEP_1) | instskip(NEXT) | instid1(VALU_DEP_1)
	v_and_b32_e32 v5, 0x80000000, v5
	v_lshl_add_u32 v2, v2, 23, v5
                                        ; implicit-def: $vgpr5
	s_delay_alu instid0(VALU_DEP_1) | instskip(NEXT) | instid1(VALU_DEP_1)
	v_lshl_or_b32 v2, v4, 21, v2
                                        ; implicit-def: $vgpr4
	v_add_nc_u32_e32 v2, 0x38000000, v2
.LBB6_11033:                            ;   in Loop: Header=BB6_8449 Depth=2
	s_and_not1_saveexec_b32 s40, s7
; %bb.11034:                            ;   in Loop: Header=BB6_8449 Depth=2
	v_cmp_lt_i16_e64 s7, -1, v5
	v_mov_b32_e32 v2, 0x7f800000
	v_cmp_eq_u32_e32 vcc_lo, 0, v4
	s_delay_alu instid0(VALU_DEP_2) | instskip(NEXT) | instid1(VALU_DEP_1)
	v_cndmask_b32_e64 v2, 0xff800000, v2, s7
	v_cndmask_b32_e32 v2, 0x7f800001, v2, vcc_lo
; %bb.11035:                            ;   in Loop: Header=BB6_8449 Depth=2
	s_or_b32 exec_lo, exec_lo, s40
.LBB6_11036:                            ;   in Loop: Header=BB6_8449 Depth=2
	s_delay_alu instid0(SALU_CYCLE_1)
	s_or_b32 exec_lo, exec_lo, s29
.LBB6_11037:                            ;   in Loop: Header=BB6_8449 Depth=2
	s_delay_alu instid0(SALU_CYCLE_1) | instskip(NEXT) | instid1(VALU_DEP_1)
	s_or_b32 exec_lo, exec_lo, s28
	v_dual_add_f32 v4, v3, v2 :: v_dual_mov_b32 v61, v1
	v_mov_b32_e32 v3, v1
                                        ; implicit-def: $vgpr25
	s_mov_b32 s7, exec_lo
	s_delay_alu instid0(VALU_DEP_2) | instskip(SKIP_2) | instid1(VALU_DEP_3)
	v_and_b32_e32 v60, 0x7f800000, v4
	v_and_b32_e32 v2, 0x7fffff, v4
	v_lshrrev_b32_e32 v5, 24, v4
	v_cmpx_ne_u64_e32 0x7f800000, v[60:61]
	s_xor_b32 s28, exec_lo, s7
	s_cbranch_execz .LBB6_11051
; %bb.11038:                            ;   in Loop: Header=BB6_8449 Depth=2
	v_and_b32_e32 v60, 0x7fffffff, v4
	v_mov_b32_e32 v61, v1
	v_and_b32_e32 v46, 0x80, v5
                                        ; implicit-def: $vgpr25
	s_mov_b32 s7, exec_lo
	s_delay_alu instid0(VALU_DEP_2)
	v_cmpx_gt_u64_e32 0x47600001, v[60:61]
	s_xor_b32 s29, exec_lo, s7
	s_cbranch_execz .LBB6_11048
; %bb.11039:                            ;   in Loop: Header=BB6_8449 Depth=2
	v_mov_b32_e32 v25, 0
	s_mov_b32 s40, exec_lo
	v_cmpx_ne_u32_e32 0, v4
	s_cbranch_execz .LBB6_11047
; %bb.11040:                            ;   in Loop: Header=BB6_8449 Depth=2
	v_bfe_u32 v25, v4, 23, 8
	v_or_b32_e32 v5, 0x800000, v2
	s_delay_alu instid0(VALU_DEP_2) | instskip(SKIP_2) | instid1(VALU_DEP_2)
	v_cmp_gt_u32_e64 s7, 0x72, v25
	v_sub_nc_u32_e32 v4, 0x71, v25
	v_cmp_eq_u32_e32 vcc_lo, 0, v25
	v_dual_cndmask_b32 v4, 0, v4, s7 :: v_dual_cndmask_b32 v2, v5, v2, vcc_lo
	s_delay_alu instid0(VALU_DEP_1) | instskip(NEXT) | instid1(VALU_DEP_1)
	v_cndmask_b32_e64 v60, v4, 0x70, vcc_lo
	v_dual_add_nc_u32 v4, 21, v60 :: v_dual_add_nc_u32 v61, 20, v60
	s_delay_alu instid0(VALU_DEP_1) | instskip(NEXT) | instid1(VALU_DEP_2)
	v_lshlrev_b64_e64 v[4:5], v4, -1
	v_lshlrev_b64_e64 v[62:63], v61, 1
	s_delay_alu instid0(VALU_DEP_2) | instskip(SKIP_1) | instid1(VALU_DEP_4)
	v_bfi_b32 v4, v4, 0, v2
	v_lshrrev_b64 v[2:3], v60, v[2:3]
	v_bfi_b32 v5, v5, 0, 0
	s_delay_alu instid0(VALU_DEP_1) | instskip(NEXT) | instid1(VALU_DEP_3)
	v_cmp_eq_u64_e64 s7, v[4:5], v[62:63]
	v_mov_b64_e32 v[4:5], v[2:3]
	s_and_saveexec_b32 s41, s7
; %bb.11041:                            ;   in Loop: Header=BB6_8449 Depth=2
	v_bfe_u32 v4, v2, 21, 1
	v_mov_b32_e32 v5, v1
	s_delay_alu instid0(VALU_DEP_1) | instskip(NEXT) | instid1(VALU_DEP_1)
	v_add_nc_u64_e32 v[4:5], v[2:3], v[4:5]
	v_add_nc_u64_e32 v[4:5], -1, v[4:5]
; %bb.11042:                            ;   in Loop: Header=BB6_8449 Depth=2
	s_or_b32 exec_lo, exec_lo, s41
	v_add_nc_u32_e32 v3, 0xffffff81, v25
	v_lshrrev_b32_e32 v5, 23, v2
	s_mov_b32 s7, exec_lo
	s_delay_alu instid0(VALU_DEP_2) | instskip(NEXT) | instid1(VALU_DEP_1)
	v_cndmask_b32_e64 v3, v3, 0xffffff82, vcc_lo
	v_add3_u32 v25, v60, v3, v5
	v_and_b32_e32 v3, 0x1fffff, v4
                                        ; implicit-def: $vgpr4
	s_delay_alu instid0(VALU_DEP_1) | instskip(SKIP_1) | instid1(VALU_DEP_2)
	v_dual_add_nc_u32 v5, 14, v25 :: v_dual_add_nc_u32 v2, v3, v2
	v_mov_b32_e32 v3, v1
	v_cmpx_ne_u32_e32 0, v5
	s_xor_b32 s7, exec_lo, s7
; %bb.11043:                            ;   in Loop: Header=BB6_8449 Depth=2
	s_delay_alu instid0(VALU_DEP_2) | instskip(SKIP_1) | instid1(VALU_DEP_1)
	v_cmp_lt_u64_e32 vcc_lo, 0xffffff, v[2:3]
	v_add_nc_u32_e32 v4, 15, v25
	v_cndmask_b32_e32 v4, v5, v4, vcc_lo
	v_cndmask_b32_e64 v5, 0, 1, vcc_lo
	s_delay_alu instid0(VALU_DEP_1)
	v_lshrrev_b64 v[2:3], v5, v[2:3]
; %bb.11044:                            ;   in Loop: Header=BB6_8449 Depth=2
	s_and_not1_saveexec_b32 s7, s7
; %bb.11045:                            ;   in Loop: Header=BB6_8449 Depth=2
	s_delay_alu instid0(VALU_DEP_1)
	v_bfe_u32 v4, v2, 23, 1
; %bb.11046:                            ;   in Loop: Header=BB6_8449 Depth=2
	s_or_b32 exec_lo, exec_lo, s7
	s_delay_alu instid0(VALU_DEP_2) | instskip(NEXT) | instid1(VALU_DEP_2)
	v_lshrrev_b64 v[2:3], 21, v[2:3]
	v_cmp_gt_i32_e32 vcc_lo, 32, v4
	v_min_i32_e32 v5, 31, v4
	v_cmp_eq_u32_e64 s7, 0, v4
	s_delay_alu instid0(VALU_DEP_2) | instskip(SKIP_1) | instid1(VALU_DEP_2)
	v_dual_cndmask_b32 v3, 0, v3, vcc_lo :: v_dual_lshlrev_b32 v5, 2, v5
	v_cndmask_b32_e32 v2, 3, v2, vcc_lo
	v_and_b32_e32 v5, 0xfc, v5
	s_delay_alu instid0(VALU_DEP_2) | instskip(NEXT) | instid1(VALU_DEP_2)
	v_cmp_eq_u64_e32 vcc_lo, 0, v[2:3]
	v_and_or_b32 v2, v2, 3, v5
	s_and_b32 s7, s7, vcc_lo
	s_delay_alu instid0(VALU_DEP_1) | instid1(SALU_CYCLE_1)
	v_cndmask_b32_e64 v2, v2, 0, s7
	s_delay_alu instid0(VALU_DEP_1)
	v_or_b32_e32 v25, v2, v46
.LBB6_11047:                            ;   in Loop: Header=BB6_8449 Depth=2
	s_or_b32 exec_lo, exec_lo, s40
                                        ; implicit-def: $vgpr46
.LBB6_11048:                            ;   in Loop: Header=BB6_8449 Depth=2
	s_and_not1_saveexec_b32 s7, s29
; %bb.11049:                            ;   in Loop: Header=BB6_8449 Depth=2
	v_or_b32_e32 v25, 0x7b, v46
; %bb.11050:                            ;   in Loop: Header=BB6_8449 Depth=2
	s_or_b32 exec_lo, exec_lo, s7
                                        ; implicit-def: $vgpr4
                                        ; implicit-def: $vgpr2_vgpr3
                                        ; implicit-def: $vgpr5
.LBB6_11051:                            ;   in Loop: Header=BB6_8449 Depth=2
	s_and_not1_saveexec_b32 s7, s28
	s_cbranch_execz .LBB6_11057
; %bb.11052:                            ;   in Loop: Header=BB6_8449 Depth=2
	s_mov_b32 s28, exec_lo
                                        ; implicit-def: $vgpr25
	v_cmpx_ne_u64_e32 0, v[2:3]
	s_xor_b32 s28, exec_lo, s28
; %bb.11053:                            ;   in Loop: Header=BB6_8449 Depth=2
	v_or_b32_e32 v25, 0x7f, v5
                                        ; implicit-def: $vgpr4
; %bb.11054:                            ;   in Loop: Header=BB6_8449 Depth=2
	s_and_not1_saveexec_b32 s28, s28
; %bb.11055:                            ;   in Loop: Header=BB6_8449 Depth=2
	v_cmp_lt_i32_e32 vcc_lo, -1, v4
	v_mov_b32_e32 v2, 0x7c
	s_delay_alu instid0(VALU_DEP_1)
	v_cndmask_b32_e32 v25, 0xfc, v2, vcc_lo
; %bb.11056:                            ;   in Loop: Header=BB6_8449 Depth=2
	s_or_b32 exec_lo, exec_lo, s28
.LBB6_11057:                            ;   in Loop: Header=BB6_8449 Depth=2
	s_delay_alu instid0(SALU_CYCLE_1) | instskip(SKIP_3) | instid1(VALU_DEP_2)
	s_or_b32 exec_lo, exec_lo, s7
	v_lshrrev_b16 v2, 8, v57
	v_dual_mov_b32 v4, 0 :: v_dual_mov_b32 v5, 0
	s_mov_b32 s28, exec_lo
	v_cmpx_ne_u16_e32 0, v2
	s_cbranch_execz .LBB6_11067
; %bb.11058:                            ;   in Loop: Header=BB6_8449 Depth=2
	v_bfrev_b32_e32 v5, 1
	s_mov_b32 s29, exec_lo
	v_cmpx_ne_u16_e32 0x80, v2
	s_cbranch_execz .LBB6_11066
; %bb.11059:                            ;   in Loop: Header=BB6_8449 Depth=2
	v_and_b32_e32 v46, 0xffff, v2
	s_delay_alu instid0(VALU_DEP_1) | instskip(SKIP_1) | instid1(VALU_DEP_2)
	v_and_b32_e32 v5, 0x7c, v46
	v_and_b32_e32 v3, 3, v46
	v_cmp_ne_u32_e32 vcc_lo, 0x7c, v5
                                        ; implicit-def: $vgpr5
	s_and_saveexec_b32 s7, vcc_lo
	s_delay_alu instid0(SALU_CYCLE_1)
	s_xor_b32 s7, exec_lo, s7
	s_cbranch_execz .LBB6_11063
; %bb.11060:                            ;   in Loop: Header=BB6_8449 Depth=2
	v_bfe_u32 v5, v46, 2, 5
	s_mov_b32 s40, exec_lo
	s_delay_alu instid0(VALU_DEP_1)
	v_cmpx_eq_u32_e32 0, v5
	s_cbranch_execz .LBB6_11062
; %bb.11061:                            ;   in Loop: Header=BB6_8449 Depth=2
	v_clz_i32_u32_e32 v3, v3
	s_delay_alu instid0(VALU_DEP_1) | instskip(SKIP_1) | instid1(VALU_DEP_2)
	v_min_u32_e32 v5, 32, v3
	v_mov_b32_e32 v3, v1
	v_subrev_nc_u32_e32 v46, 29, v5
	v_sub_nc_u32_e32 v5, 30, v5
	s_delay_alu instid0(VALU_DEP_2) | instskip(NEXT) | instid1(VALU_DEP_1)
	v_lshlrev_b64_e32 v[2:3], v46, v[2:3]
	v_and_b32_e32 v3, 3, v2
.LBB6_11062:                            ;   in Loop: Header=BB6_8449 Depth=2
	s_or_b32 exec_lo, exec_lo, s40
	v_lshlrev_b32_e32 v2, 16, v57
                                        ; implicit-def: $vgpr57
	s_delay_alu instid0(VALU_DEP_1) | instskip(NEXT) | instid1(VALU_DEP_1)
	v_and_b32_e32 v2, 0x80000000, v2
	v_lshl_add_u32 v2, v5, 23, v2
	s_delay_alu instid0(VALU_DEP_1) | instskip(NEXT) | instid1(VALU_DEP_1)
	v_lshl_or_b32 v2, v3, 21, v2
                                        ; implicit-def: $vgpr3
	v_add_nc_u32_e32 v5, 0x38000000, v2
.LBB6_11063:                            ;   in Loop: Header=BB6_8449 Depth=2
	s_and_not1_saveexec_b32 s40, s7
; %bb.11064:                            ;   in Loop: Header=BB6_8449 Depth=2
	v_cmp_lt_i16_e64 s7, -1, v57
	v_mov_b32_e32 v2, 0x7f800000
	v_cmp_eq_u32_e32 vcc_lo, 0, v3
	s_delay_alu instid0(VALU_DEP_2) | instskip(NEXT) | instid1(VALU_DEP_1)
	v_cndmask_b32_e64 v2, 0xff800000, v2, s7
	v_cndmask_b32_e32 v5, 0x7f800001, v2, vcc_lo
; %bb.11065:                            ;   in Loop: Header=BB6_8449 Depth=2
	s_or_b32 exec_lo, exec_lo, s40
.LBB6_11066:                            ;   in Loop: Header=BB6_8449 Depth=2
	s_delay_alu instid0(SALU_CYCLE_1)
	s_or_b32 exec_lo, exec_lo, s29
.LBB6_11067:                            ;   in Loop: Header=BB6_8449 Depth=2
	s_delay_alu instid0(SALU_CYCLE_1) | instskip(SKIP_2) | instid1(VALU_DEP_1)
	s_or_b32 exec_lo, exec_lo, s28
	v_lshrrev_b16 v2, 8, v18
	s_mov_b32 s28, exec_lo
	v_cmpx_ne_u16_e32 0, v2
	s_cbranch_execz .LBB6_11077
; %bb.11068:                            ;   in Loop: Header=BB6_8449 Depth=2
	v_bfrev_b32_e32 v4, 1
	s_mov_b32 s29, exec_lo
	v_cmpx_ne_u16_e32 0x80, v2
	s_cbranch_execz .LBB6_11076
; %bb.11069:                            ;   in Loop: Header=BB6_8449 Depth=2
	v_and_b32_e32 v46, 0xffff, v2
	s_delay_alu instid0(VALU_DEP_1) | instskip(SKIP_1) | instid1(VALU_DEP_2)
	v_and_b32_e32 v4, 0x7c, v46
	v_and_b32_e32 v3, 3, v46
	v_cmp_ne_u32_e32 vcc_lo, 0x7c, v4
                                        ; implicit-def: $vgpr4
	s_and_saveexec_b32 s7, vcc_lo
	s_delay_alu instid0(SALU_CYCLE_1)
	s_xor_b32 s7, exec_lo, s7
	s_cbranch_execz .LBB6_11073
; %bb.11070:                            ;   in Loop: Header=BB6_8449 Depth=2
	v_bfe_u32 v4, v46, 2, 5
	s_mov_b32 s40, exec_lo
	s_delay_alu instid0(VALU_DEP_1)
	v_cmpx_eq_u32_e32 0, v4
	s_cbranch_execz .LBB6_11072
; %bb.11071:                            ;   in Loop: Header=BB6_8449 Depth=2
	v_clz_i32_u32_e32 v3, v3
	s_delay_alu instid0(VALU_DEP_1) | instskip(SKIP_1) | instid1(VALU_DEP_2)
	v_min_u32_e32 v4, 32, v3
	v_mov_b32_e32 v3, v1
	v_subrev_nc_u32_e32 v46, 29, v4
	v_sub_nc_u32_e32 v4, 30, v4
	s_delay_alu instid0(VALU_DEP_2) | instskip(NEXT) | instid1(VALU_DEP_1)
	v_lshlrev_b64_e32 v[2:3], v46, v[2:3]
	v_and_b32_e32 v3, 3, v2
.LBB6_11072:                            ;   in Loop: Header=BB6_8449 Depth=2
	s_or_b32 exec_lo, exec_lo, s40
	v_lshlrev_b32_e32 v2, 16, v18
	s_delay_alu instid0(VALU_DEP_1) | instskip(NEXT) | instid1(VALU_DEP_1)
	v_and_b32_e32 v2, 0x80000000, v2
	v_lshl_add_u32 v2, v4, 23, v2
	s_delay_alu instid0(VALU_DEP_1) | instskip(NEXT) | instid1(VALU_DEP_1)
	v_lshl_or_b32 v2, v3, 21, v2
                                        ; implicit-def: $vgpr3
	v_add_nc_u32_e32 v4, 0x38000000, v2
.LBB6_11073:                            ;   in Loop: Header=BB6_8449 Depth=2
	s_and_not1_saveexec_b32 s40, s7
; %bb.11074:                            ;   in Loop: Header=BB6_8449 Depth=2
	v_cmp_lt_i16_e64 s7, -1, v18
	v_mov_b32_e32 v2, 0x7f800000
	v_cmp_eq_u32_e32 vcc_lo, 0, v3
	s_delay_alu instid0(VALU_DEP_2) | instskip(NEXT) | instid1(VALU_DEP_1)
	v_cndmask_b32_e64 v2, 0xff800000, v2, s7
	v_cndmask_b32_e32 v4, 0x7f800001, v2, vcc_lo
; %bb.11075:                            ;   in Loop: Header=BB6_8449 Depth=2
	s_or_b32 exec_lo, exec_lo, s40
.LBB6_11076:                            ;   in Loop: Header=BB6_8449 Depth=2
	s_delay_alu instid0(SALU_CYCLE_1)
	s_or_b32 exec_lo, exec_lo, s29
.LBB6_11077:                            ;   in Loop: Header=BB6_8449 Depth=2
	s_delay_alu instid0(SALU_CYCLE_1) | instskip(NEXT) | instid1(VALU_DEP_1)
	s_or_b32 exec_lo, exec_lo, s28
	v_add_f32_e32 v4, v5, v4
	v_dual_mov_b32 v61, v1 :: v_dual_mov_b32 v3, v1
                                        ; implicit-def: $vgpr46
	s_mov_b32 s7, exec_lo
	s_delay_alu instid0(VALU_DEP_2) | instskip(SKIP_2) | instid1(VALU_DEP_3)
	v_and_b32_e32 v60, 0x7f800000, v4
	v_and_b32_e32 v2, 0x7fffff, v4
	v_lshrrev_b32_e32 v5, 24, v4
	v_cmpx_ne_u64_e32 0x7f800000, v[60:61]
	s_xor_b32 s28, exec_lo, s7
	s_cbranch_execz .LBB6_11091
; %bb.11078:                            ;   in Loop: Header=BB6_8449 Depth=2
	v_and_b32_e32 v60, 0x7fffffff, v4
	v_mov_b32_e32 v61, v1
	v_and_b32_e32 v57, 0x80, v5
                                        ; implicit-def: $vgpr46
	s_mov_b32 s7, exec_lo
	s_delay_alu instid0(VALU_DEP_2)
	v_cmpx_gt_u64_e32 0x47600001, v[60:61]
	s_xor_b32 s29, exec_lo, s7
	s_cbranch_execz .LBB6_11088
; %bb.11079:                            ;   in Loop: Header=BB6_8449 Depth=2
	v_mov_b32_e32 v46, 0
	s_mov_b32 s40, exec_lo
	v_cmpx_ne_u32_e32 0, v4
	s_cbranch_execz .LBB6_11087
; %bb.11080:                            ;   in Loop: Header=BB6_8449 Depth=2
	v_bfe_u32 v46, v4, 23, 8
	v_or_b32_e32 v5, 0x800000, v2
	s_delay_alu instid0(VALU_DEP_2) | instskip(SKIP_2) | instid1(VALU_DEP_2)
	v_cmp_gt_u32_e64 s7, 0x72, v46
	v_sub_nc_u32_e32 v4, 0x71, v46
	v_cmp_eq_u32_e32 vcc_lo, 0, v46
	v_dual_cndmask_b32 v4, 0, v4, s7 :: v_dual_cndmask_b32 v2, v5, v2, vcc_lo
	s_delay_alu instid0(VALU_DEP_1) | instskip(NEXT) | instid1(VALU_DEP_1)
	v_cndmask_b32_e64 v60, v4, 0x70, vcc_lo
	v_dual_add_nc_u32 v4, 21, v60 :: v_dual_add_nc_u32 v61, 20, v60
	s_delay_alu instid0(VALU_DEP_1) | instskip(NEXT) | instid1(VALU_DEP_2)
	v_lshlrev_b64_e64 v[4:5], v4, -1
	v_lshlrev_b64_e64 v[62:63], v61, 1
	s_delay_alu instid0(VALU_DEP_2) | instskip(SKIP_1) | instid1(VALU_DEP_4)
	v_bfi_b32 v4, v4, 0, v2
	v_lshrrev_b64 v[2:3], v60, v[2:3]
	v_bfi_b32 v5, v5, 0, 0
	s_delay_alu instid0(VALU_DEP_1) | instskip(NEXT) | instid1(VALU_DEP_3)
	v_cmp_eq_u64_e64 s7, v[4:5], v[62:63]
	v_mov_b64_e32 v[4:5], v[2:3]
	s_and_saveexec_b32 s41, s7
; %bb.11081:                            ;   in Loop: Header=BB6_8449 Depth=2
	v_bfe_u32 v4, v2, 21, 1
	v_mov_b32_e32 v5, v1
	s_delay_alu instid0(VALU_DEP_1) | instskip(NEXT) | instid1(VALU_DEP_1)
	v_add_nc_u64_e32 v[4:5], v[2:3], v[4:5]
	v_add_nc_u64_e32 v[4:5], -1, v[4:5]
; %bb.11082:                            ;   in Loop: Header=BB6_8449 Depth=2
	s_or_b32 exec_lo, exec_lo, s41
	v_add_nc_u32_e32 v3, 0xffffff81, v46
	v_lshrrev_b32_e32 v5, 23, v2
	s_mov_b32 s7, exec_lo
	s_delay_alu instid0(VALU_DEP_2) | instskip(NEXT) | instid1(VALU_DEP_1)
	v_cndmask_b32_e64 v3, v3, 0xffffff82, vcc_lo
	v_add3_u32 v46, v60, v3, v5
	v_and_b32_e32 v3, 0x1fffff, v4
                                        ; implicit-def: $vgpr4
	s_delay_alu instid0(VALU_DEP_2) | instskip(NEXT) | instid1(VALU_DEP_2)
	v_add_nc_u32_e32 v5, 14, v46
	v_dual_mov_b32 v3, v1 :: v_dual_add_nc_u32 v2, v3, v2
	s_delay_alu instid0(VALU_DEP_2)
	v_cmpx_ne_u32_e32 0, v5
	s_xor_b32 s7, exec_lo, s7
; %bb.11083:                            ;   in Loop: Header=BB6_8449 Depth=2
	s_delay_alu instid0(VALU_DEP_2) | instskip(SKIP_1) | instid1(VALU_DEP_1)
	v_cmp_lt_u64_e32 vcc_lo, 0xffffff, v[2:3]
	v_add_nc_u32_e32 v4, 15, v46
	v_cndmask_b32_e32 v4, v5, v4, vcc_lo
	v_cndmask_b32_e64 v5, 0, 1, vcc_lo
	s_delay_alu instid0(VALU_DEP_1)
	v_lshrrev_b64 v[2:3], v5, v[2:3]
; %bb.11084:                            ;   in Loop: Header=BB6_8449 Depth=2
	s_and_not1_saveexec_b32 s7, s7
; %bb.11085:                            ;   in Loop: Header=BB6_8449 Depth=2
	s_delay_alu instid0(VALU_DEP_1)
	v_bfe_u32 v4, v2, 23, 1
; %bb.11086:                            ;   in Loop: Header=BB6_8449 Depth=2
	s_or_b32 exec_lo, exec_lo, s7
	s_delay_alu instid0(VALU_DEP_2) | instskip(NEXT) | instid1(VALU_DEP_2)
	v_lshrrev_b64 v[2:3], 21, v[2:3]
	v_cmp_gt_i32_e32 vcc_lo, 32, v4
	v_min_i32_e32 v5, 31, v4
	v_cmp_eq_u32_e64 s7, 0, v4
	s_delay_alu instid0(VALU_DEP_2) | instskip(SKIP_1) | instid1(VALU_DEP_2)
	v_dual_cndmask_b32 v3, 0, v3, vcc_lo :: v_dual_lshlrev_b32 v5, 2, v5
	v_cndmask_b32_e32 v2, 3, v2, vcc_lo
	v_and_b32_e32 v5, 0xfc, v5
	s_delay_alu instid0(VALU_DEP_2) | instskip(NEXT) | instid1(VALU_DEP_2)
	v_cmp_eq_u64_e32 vcc_lo, 0, v[2:3]
	v_and_or_b32 v2, v2, 3, v5
	s_and_b32 s7, s7, vcc_lo
	s_delay_alu instid0(VALU_DEP_1) | instid1(SALU_CYCLE_1)
	v_cndmask_b32_e64 v2, v2, 0, s7
	s_delay_alu instid0(VALU_DEP_1)
	v_or_b32_e32 v46, v2, v57
.LBB6_11087:                            ;   in Loop: Header=BB6_8449 Depth=2
	s_or_b32 exec_lo, exec_lo, s40
                                        ; implicit-def: $vgpr57
.LBB6_11088:                            ;   in Loop: Header=BB6_8449 Depth=2
	s_and_not1_saveexec_b32 s7, s29
; %bb.11089:                            ;   in Loop: Header=BB6_8449 Depth=2
	v_or_b32_e32 v46, 0x7b, v57
; %bb.11090:                            ;   in Loop: Header=BB6_8449 Depth=2
	s_or_b32 exec_lo, exec_lo, s7
                                        ; implicit-def: $vgpr4
                                        ; implicit-def: $vgpr2_vgpr3
                                        ; implicit-def: $vgpr5
.LBB6_11091:                            ;   in Loop: Header=BB6_8449 Depth=2
	s_and_not1_saveexec_b32 s7, s28
	s_cbranch_execz .LBB6_11097
; %bb.11092:                            ;   in Loop: Header=BB6_8449 Depth=2
	s_mov_b32 s28, exec_lo
                                        ; implicit-def: $vgpr46
	v_cmpx_ne_u64_e32 0, v[2:3]
	s_xor_b32 s28, exec_lo, s28
; %bb.11093:                            ;   in Loop: Header=BB6_8449 Depth=2
	v_or_b32_e32 v46, 0x7f, v5
                                        ; implicit-def: $vgpr4
; %bb.11094:                            ;   in Loop: Header=BB6_8449 Depth=2
	s_and_not1_saveexec_b32 s28, s28
; %bb.11095:                            ;   in Loop: Header=BB6_8449 Depth=2
	v_cmp_lt_i32_e32 vcc_lo, -1, v4
	v_mov_b32_e32 v2, 0x7c
	s_delay_alu instid0(VALU_DEP_1)
	v_cndmask_b32_e32 v46, 0xfc, v2, vcc_lo
; %bb.11096:                            ;   in Loop: Header=BB6_8449 Depth=2
	s_or_b32 exec_lo, exec_lo, s28
.LBB6_11097:                            ;   in Loop: Header=BB6_8449 Depth=2
	s_delay_alu instid0(SALU_CYCLE_1) | instskip(SKIP_3) | instid1(VALU_DEP_2)
	s_or_b32 exec_lo, exec_lo, s7
	v_dual_mov_b32 v3, 0 :: v_dual_lshrrev_b32 v2, 16, v0
	v_mov_b32_e32 v4, 0
	s_mov_b32 s28, exec_lo
	v_and_b32_e32 v5, 0xff, v2
	s_delay_alu instid0(VALU_DEP_1)
	v_cmpx_ne_u16_e32 0, v5
	s_cbranch_execz .LBB6_11107
; %bb.11098:                            ;   in Loop: Header=BB6_8449 Depth=2
	v_bfrev_b32_e32 v4, 1
	s_mov_b32 s29, exec_lo
	v_cmpx_ne_u16_e32 0x80, v5
	s_cbranch_execz .LBB6_11106
; %bb.11099:                            ;   in Loop: Header=BB6_8449 Depth=2
	v_and_b32_e32 v4, 0x7c0000, v0
	v_bfe_u32 v5, v0, 16, 2
	s_delay_alu instid0(VALU_DEP_2) | instskip(SKIP_1) | instid1(SALU_CYCLE_1)
	v_cmp_ne_u32_e32 vcc_lo, 0x7c0000, v4
                                        ; implicit-def: $vgpr4
	s_and_saveexec_b32 s7, vcc_lo
	s_xor_b32 s7, exec_lo, s7
	s_cbranch_execz .LBB6_11103
; %bb.11100:                            ;   in Loop: Header=BB6_8449 Depth=2
	v_bfe_u32 v4, v0, 18, 5
	s_mov_b32 s40, exec_lo
	s_delay_alu instid0(VALU_DEP_1)
	v_cmpx_eq_u32_e32 0, v4
; %bb.11101:                            ;   in Loop: Header=BB6_8449 Depth=2
	v_clz_i32_u32_e32 v4, v5
	s_delay_alu instid0(VALU_DEP_1) | instskip(NEXT) | instid1(VALU_DEP_1)
	v_min_u32_e32 v4, 32, v4
	v_subrev_nc_u32_e32 v5, 29, v4
	v_sub_nc_u32_e32 v4, 30, v4
	s_delay_alu instid0(VALU_DEP_2) | instskip(NEXT) | instid1(VALU_DEP_1)
	v_lshlrev_b64_e32 v[60:61], v5, v[2:3]
	v_and_b32_e32 v5, 3, v60
; %bb.11102:                            ;   in Loop: Header=BB6_8449 Depth=2
	s_or_b32 exec_lo, exec_lo, s40
	v_lshlrev_b32_e32 v2, 24, v2
	s_delay_alu instid0(VALU_DEP_1) | instskip(NEXT) | instid1(VALU_DEP_1)
	v_and_b32_e32 v2, 0x80000000, v2
	v_lshl_add_u32 v2, v4, 23, v2
	s_delay_alu instid0(VALU_DEP_1) | instskip(NEXT) | instid1(VALU_DEP_1)
	v_lshl_or_b32 v2, v5, 21, v2
                                        ; implicit-def: $vgpr5
	v_add_nc_u32_e32 v4, 0x38000000, v2
                                        ; implicit-def: $vgpr2
.LBB6_11103:                            ;   in Loop: Header=BB6_8449 Depth=2
	s_and_not1_saveexec_b32 s40, s7
; %bb.11104:                            ;   in Loop: Header=BB6_8449 Depth=2
	v_bfe_i32 v2, v2, 0, 8
	v_cmp_eq_u32_e32 vcc_lo, 0, v5
	s_delay_alu instid0(VALU_DEP_2) | instskip(SKIP_1) | instid1(VALU_DEP_1)
	v_cmp_lt_i16_e64 s7, -1, v2
	v_mov_b32_e32 v2, 0x7f800000
	v_cndmask_b32_e64 v2, 0xff800000, v2, s7
	s_delay_alu instid0(VALU_DEP_1)
	v_cndmask_b32_e32 v4, 0x7f800001, v2, vcc_lo
; %bb.11105:                            ;   in Loop: Header=BB6_8449 Depth=2
	s_or_b32 exec_lo, exec_lo, s40
.LBB6_11106:                            ;   in Loop: Header=BB6_8449 Depth=2
	s_delay_alu instid0(SALU_CYCLE_1)
	s_or_b32 exec_lo, exec_lo, s29
.LBB6_11107:                            ;   in Loop: Header=BB6_8449 Depth=2
	s_delay_alu instid0(SALU_CYCLE_1) | instskip(SKIP_2) | instid1(VALU_DEP_1)
	s_or_b32 exec_lo, exec_lo, s28
	v_lshrrev_b32_e32 v2, 16, v18
	s_mov_b32 s28, exec_lo
	v_and_b32_e32 v5, 0xff, v2
	s_delay_alu instid0(VALU_DEP_1)
	v_cmpx_ne_u16_e32 0, v5
	s_cbranch_execz .LBB6_11117
; %bb.11108:                            ;   in Loop: Header=BB6_8449 Depth=2
	v_bfrev_b32_e32 v3, 1
	s_mov_b32 s29, exec_lo
	v_cmpx_ne_u16_e32 0x80, v5
	s_cbranch_execz .LBB6_11116
; %bb.11109:                            ;   in Loop: Header=BB6_8449 Depth=2
	v_and_b32_e32 v3, 0x7c0000, v18
	v_bfe_u32 v5, v18, 16, 2
	s_delay_alu instid0(VALU_DEP_2) | instskip(SKIP_1) | instid1(SALU_CYCLE_1)
	v_cmp_ne_u32_e32 vcc_lo, 0x7c0000, v3
                                        ; implicit-def: $vgpr3
	s_and_saveexec_b32 s7, vcc_lo
	s_xor_b32 s7, exec_lo, s7
	s_cbranch_execz .LBB6_11113
; %bb.11110:                            ;   in Loop: Header=BB6_8449 Depth=2
	v_bfe_u32 v3, v18, 18, 5
	s_mov_b32 s40, exec_lo
	s_delay_alu instid0(VALU_DEP_1)
	v_cmpx_eq_u32_e32 0, v3
; %bb.11111:                            ;   in Loop: Header=BB6_8449 Depth=2
	v_clz_i32_u32_e32 v3, v5
	s_delay_alu instid0(VALU_DEP_1) | instskip(NEXT) | instid1(VALU_DEP_1)
	v_min_u32_e32 v3, 32, v3
	v_subrev_nc_u32_e32 v5, 29, v3
	s_delay_alu instid0(VALU_DEP_1) | instskip(NEXT) | instid1(VALU_DEP_1)
	v_lshlrev_b64_e32 v[60:61], v5, v[2:3]
	v_dual_sub_nc_u32 v3, 30, v3 :: v_dual_bitop2_b32 v5, 3, v60 bitop3:0x40
; %bb.11112:                            ;   in Loop: Header=BB6_8449 Depth=2
	s_or_b32 exec_lo, exec_lo, s40
	v_lshlrev_b32_e32 v2, 24, v2
	s_delay_alu instid0(VALU_DEP_1) | instskip(NEXT) | instid1(VALU_DEP_1)
	v_and_b32_e32 v2, 0x80000000, v2
	v_lshl_add_u32 v2, v3, 23, v2
	s_delay_alu instid0(VALU_DEP_1) | instskip(NEXT) | instid1(VALU_DEP_1)
	v_lshl_or_b32 v2, v5, 21, v2
                                        ; implicit-def: $vgpr5
	v_add_nc_u32_e32 v3, 0x38000000, v2
                                        ; implicit-def: $vgpr2
.LBB6_11113:                            ;   in Loop: Header=BB6_8449 Depth=2
	s_and_not1_saveexec_b32 s40, s7
; %bb.11114:                            ;   in Loop: Header=BB6_8449 Depth=2
	v_bfe_i32 v2, v2, 0, 8
	v_cmp_eq_u32_e32 vcc_lo, 0, v5
	s_delay_alu instid0(VALU_DEP_2) | instskip(SKIP_1) | instid1(VALU_DEP_1)
	v_cmp_lt_i16_e64 s7, -1, v2
	v_mov_b32_e32 v2, 0x7f800000
	v_cndmask_b32_e64 v2, 0xff800000, v2, s7
	s_delay_alu instid0(VALU_DEP_1)
	v_cndmask_b32_e32 v3, 0x7f800001, v2, vcc_lo
; %bb.11115:                            ;   in Loop: Header=BB6_8449 Depth=2
	s_or_b32 exec_lo, exec_lo, s40
.LBB6_11116:                            ;   in Loop: Header=BB6_8449 Depth=2
	s_delay_alu instid0(SALU_CYCLE_1)
	s_or_b32 exec_lo, exec_lo, s29
.LBB6_11117:                            ;   in Loop: Header=BB6_8449 Depth=2
	s_delay_alu instid0(SALU_CYCLE_1) | instskip(NEXT) | instid1(VALU_DEP_1)
	s_or_b32 exec_lo, exec_lo, s28
	v_dual_add_f32 v4, v4, v3 :: v_dual_mov_b32 v61, v1
	v_mov_b32_e32 v3, v1
                                        ; implicit-def: $vgpr57
	s_mov_b32 s7, exec_lo
	s_delay_alu instid0(VALU_DEP_2) | instskip(SKIP_2) | instid1(VALU_DEP_3)
	v_and_b32_e32 v60, 0x7f800000, v4
	v_and_b32_e32 v2, 0x7fffff, v4
	v_lshrrev_b32_e32 v5, 24, v4
	v_cmpx_ne_u64_e32 0x7f800000, v[60:61]
	s_xor_b32 s28, exec_lo, s7
	s_cbranch_execz .LBB6_11131
; %bb.11118:                            ;   in Loop: Header=BB6_8449 Depth=2
	v_and_b32_e32 v60, 0x7fffffff, v4
	v_mov_b32_e32 v61, v1
                                        ; implicit-def: $vgpr57
	s_delay_alu instid0(VALU_DEP_1) | instskip(SKIP_2) | instid1(SALU_CYCLE_1)
	v_cmp_gt_u64_e32 vcc_lo, 0x47600001, v[60:61]
	v_and_b32_e32 v60, 0x80, v5
	s_and_saveexec_b32 s7, vcc_lo
	s_xor_b32 s29, exec_lo, s7
	s_cbranch_execz .LBB6_11128
; %bb.11119:                            ;   in Loop: Header=BB6_8449 Depth=2
	v_mov_b32_e32 v57, 0
	s_mov_b32 s40, exec_lo
	v_cmpx_ne_u32_e32 0, v4
	s_cbranch_execz .LBB6_11127
; %bb.11120:                            ;   in Loop: Header=BB6_8449 Depth=2
	v_bfe_u32 v57, v4, 23, 8
	v_or_b32_e32 v5, 0x800000, v2
	s_delay_alu instid0(VALU_DEP_2) | instskip(SKIP_2) | instid1(VALU_DEP_2)
	v_cmp_gt_u32_e64 s7, 0x72, v57
	v_sub_nc_u32_e32 v4, 0x71, v57
	v_cmp_eq_u32_e32 vcc_lo, 0, v57
	v_dual_cndmask_b32 v4, 0, v4, s7 :: v_dual_cndmask_b32 v2, v5, v2, vcc_lo
	s_delay_alu instid0(VALU_DEP_1) | instskip(NEXT) | instid1(VALU_DEP_1)
	v_cndmask_b32_e64 v61, v4, 0x70, vcc_lo
	v_dual_add_nc_u32 v4, 21, v61 :: v_dual_add_nc_u32 v62, 20, v61
	s_delay_alu instid0(VALU_DEP_1) | instskip(NEXT) | instid1(VALU_DEP_2)
	v_lshlrev_b64_e64 v[4:5], v4, -1
	v_lshlrev_b64_e64 v[62:63], v62, 1
	s_delay_alu instid0(VALU_DEP_2) | instskip(SKIP_1) | instid1(VALU_DEP_4)
	v_bfi_b32 v4, v4, 0, v2
	v_lshrrev_b64 v[2:3], v61, v[2:3]
	v_bfi_b32 v5, v5, 0, 0
	s_delay_alu instid0(VALU_DEP_1) | instskip(NEXT) | instid1(VALU_DEP_3)
	v_cmp_eq_u64_e64 s7, v[4:5], v[62:63]
	v_mov_b64_e32 v[4:5], v[2:3]
	s_and_saveexec_b32 s41, s7
; %bb.11121:                            ;   in Loop: Header=BB6_8449 Depth=2
	v_bfe_u32 v4, v2, 21, 1
	v_mov_b32_e32 v5, v1
	s_delay_alu instid0(VALU_DEP_1) | instskip(NEXT) | instid1(VALU_DEP_1)
	v_add_nc_u64_e32 v[4:5], v[2:3], v[4:5]
	v_add_nc_u64_e32 v[4:5], -1, v[4:5]
; %bb.11122:                            ;   in Loop: Header=BB6_8449 Depth=2
	s_or_b32 exec_lo, exec_lo, s41
	v_add_nc_u32_e32 v3, 0xffffff81, v57
	v_lshrrev_b32_e32 v5, 23, v2
	s_mov_b32 s7, exec_lo
	s_delay_alu instid0(VALU_DEP_2) | instskip(NEXT) | instid1(VALU_DEP_1)
	v_cndmask_b32_e64 v3, v3, 0xffffff82, vcc_lo
	v_add3_u32 v57, v61, v3, v5
	v_and_b32_e32 v3, 0x1fffff, v4
                                        ; implicit-def: $vgpr4
	s_delay_alu instid0(VALU_DEP_1) | instskip(SKIP_1) | instid1(VALU_DEP_2)
	v_dual_add_nc_u32 v5, 14, v57 :: v_dual_add_nc_u32 v2, v3, v2
	v_mov_b32_e32 v3, v1
	v_cmpx_ne_u32_e32 0, v5
	s_xor_b32 s7, exec_lo, s7
; %bb.11123:                            ;   in Loop: Header=BB6_8449 Depth=2
	s_delay_alu instid0(VALU_DEP_2) | instskip(SKIP_1) | instid1(VALU_DEP_1)
	v_cmp_lt_u64_e32 vcc_lo, 0xffffff, v[2:3]
	v_add_nc_u32_e32 v4, 15, v57
	v_cndmask_b32_e32 v4, v5, v4, vcc_lo
	v_cndmask_b32_e64 v5, 0, 1, vcc_lo
	s_delay_alu instid0(VALU_DEP_1)
	v_lshrrev_b64 v[2:3], v5, v[2:3]
; %bb.11124:                            ;   in Loop: Header=BB6_8449 Depth=2
	s_and_not1_saveexec_b32 s7, s7
; %bb.11125:                            ;   in Loop: Header=BB6_8449 Depth=2
	s_delay_alu instid0(VALU_DEP_1)
	v_bfe_u32 v4, v2, 23, 1
; %bb.11126:                            ;   in Loop: Header=BB6_8449 Depth=2
	s_or_b32 exec_lo, exec_lo, s7
	s_delay_alu instid0(VALU_DEP_2) | instskip(NEXT) | instid1(VALU_DEP_2)
	v_lshrrev_b64 v[2:3], 21, v[2:3]
	v_cmp_gt_i32_e32 vcc_lo, 32, v4
	v_min_i32_e32 v5, 31, v4
	v_cmp_eq_u32_e64 s7, 0, v4
	s_delay_alu instid0(VALU_DEP_2) | instskip(SKIP_1) | instid1(VALU_DEP_2)
	v_dual_cndmask_b32 v3, 0, v3, vcc_lo :: v_dual_lshlrev_b32 v5, 2, v5
	v_cndmask_b32_e32 v2, 3, v2, vcc_lo
	v_and_b32_e32 v5, 0xfc, v5
	s_delay_alu instid0(VALU_DEP_2) | instskip(NEXT) | instid1(VALU_DEP_2)
	v_cmp_eq_u64_e32 vcc_lo, 0, v[2:3]
	v_and_or_b32 v2, v2, 3, v5
	s_and_b32 s7, s7, vcc_lo
	s_delay_alu instid0(VALU_DEP_1) | instid1(SALU_CYCLE_1)
	v_cndmask_b32_e64 v2, v2, 0, s7
	s_delay_alu instid0(VALU_DEP_1)
	v_or_b32_e32 v57, v2, v60
.LBB6_11127:                            ;   in Loop: Header=BB6_8449 Depth=2
	s_or_b32 exec_lo, exec_lo, s40
                                        ; implicit-def: $vgpr60
.LBB6_11128:                            ;   in Loop: Header=BB6_8449 Depth=2
	s_and_not1_saveexec_b32 s7, s29
; %bb.11129:                            ;   in Loop: Header=BB6_8449 Depth=2
	v_or_b32_e32 v57, 0x7b, v60
; %bb.11130:                            ;   in Loop: Header=BB6_8449 Depth=2
	s_or_b32 exec_lo, exec_lo, s7
                                        ; implicit-def: $vgpr4
                                        ; implicit-def: $vgpr2_vgpr3
                                        ; implicit-def: $vgpr5
.LBB6_11131:                            ;   in Loop: Header=BB6_8449 Depth=2
	s_and_not1_saveexec_b32 s7, s28
	s_cbranch_execz .LBB6_11137
; %bb.11132:                            ;   in Loop: Header=BB6_8449 Depth=2
	s_mov_b32 s28, exec_lo
                                        ; implicit-def: $vgpr57
	v_cmpx_ne_u64_e32 0, v[2:3]
	s_xor_b32 s28, exec_lo, s28
; %bb.11133:                            ;   in Loop: Header=BB6_8449 Depth=2
	v_or_b32_e32 v57, 0x7f, v5
                                        ; implicit-def: $vgpr4
; %bb.11134:                            ;   in Loop: Header=BB6_8449 Depth=2
	s_and_not1_saveexec_b32 s28, s28
; %bb.11135:                            ;   in Loop: Header=BB6_8449 Depth=2
	v_cmp_lt_i32_e32 vcc_lo, -1, v4
	v_mov_b32_e32 v2, 0x7c
	s_delay_alu instid0(VALU_DEP_1)
	v_cndmask_b32_e32 v57, 0xfc, v2, vcc_lo
; %bb.11136:                            ;   in Loop: Header=BB6_8449 Depth=2
	s_or_b32 exec_lo, exec_lo, s28
.LBB6_11137:                            ;   in Loop: Header=BB6_8449 Depth=2
	s_delay_alu instid0(SALU_CYCLE_1)
	s_or_b32 exec_lo, exec_lo, s7
	v_dual_mov_b32 v3, 0 :: v_dual_mov_b32 v4, 0
	s_mov_b32 s28, exec_lo
	v_cmpx_lt_u32_e32 0xffffff, v0
	s_cbranch_execz .LBB6_11147
; %bb.11138:                            ;   in Loop: Header=BB6_8449 Depth=2
	v_lshrrev_b32_e32 v2, 24, v0
	v_bfrev_b32_e32 v4, 1
	s_mov_b32 s29, exec_lo
	s_delay_alu instid0(VALU_DEP_2)
	v_cmpx_ne_u32_e32 0x80, v2
	s_cbranch_execz .LBB6_11146
; %bb.11139:                            ;   in Loop: Header=BB6_8449 Depth=2
	v_and_b32_e32 v4, 0x7c000000, v0
	v_bfe_u32 v5, v0, 24, 2
	s_delay_alu instid0(VALU_DEP_2) | instskip(SKIP_1) | instid1(SALU_CYCLE_1)
	v_cmp_ne_u32_e32 vcc_lo, 0x7c000000, v4
                                        ; implicit-def: $vgpr4
	s_and_saveexec_b32 s7, vcc_lo
	s_xor_b32 s7, exec_lo, s7
	s_cbranch_execz .LBB6_11143
; %bb.11140:                            ;   in Loop: Header=BB6_8449 Depth=2
	v_bfe_u32 v4, v0, 26, 5
	s_mov_b32 s40, exec_lo
	s_delay_alu instid0(VALU_DEP_1)
	v_cmpx_eq_u32_e32 0, v4
; %bb.11141:                            ;   in Loop: Header=BB6_8449 Depth=2
	v_clz_i32_u32_e32 v4, v5
	s_delay_alu instid0(VALU_DEP_1) | instskip(NEXT) | instid1(VALU_DEP_1)
	v_min_u32_e32 v4, 32, v4
	v_subrev_nc_u32_e32 v5, 29, v4
	v_sub_nc_u32_e32 v4, 30, v4
	s_delay_alu instid0(VALU_DEP_2) | instskip(NEXT) | instid1(VALU_DEP_1)
	v_lshlrev_b64_e32 v[60:61], v5, v[2:3]
	v_and_b32_e32 v5, 3, v60
; %bb.11142:                            ;   in Loop: Header=BB6_8449 Depth=2
	s_or_b32 exec_lo, exec_lo, s40
	v_and_b32_e32 v0, 0x80000000, v0
	s_delay_alu instid0(VALU_DEP_1) | instskip(NEXT) | instid1(VALU_DEP_1)
	v_lshl_add_u32 v0, v4, 23, v0
	v_lshl_or_b32 v0, v5, 21, v0
                                        ; implicit-def: $vgpr5
	s_delay_alu instid0(VALU_DEP_1)
	v_add_nc_u32_e32 v4, 0x38000000, v0
.LBB6_11143:                            ;   in Loop: Header=BB6_8449 Depth=2
	s_and_not1_saveexec_b32 s40, s7
; %bb.11144:                            ;   in Loop: Header=BB6_8449 Depth=2
	v_cmp_lt_i32_e64 s7, -1, v0
	v_mov_b32_e32 v0, 0x7f800000
	v_cmp_eq_u32_e32 vcc_lo, 0, v5
	s_delay_alu instid0(VALU_DEP_2) | instskip(NEXT) | instid1(VALU_DEP_1)
	v_cndmask_b32_e64 v0, 0xff800000, v0, s7
	v_cndmask_b32_e32 v4, 0x7f800001, v0, vcc_lo
; %bb.11145:                            ;   in Loop: Header=BB6_8449 Depth=2
	s_or_b32 exec_lo, exec_lo, s40
.LBB6_11146:                            ;   in Loop: Header=BB6_8449 Depth=2
	s_delay_alu instid0(SALU_CYCLE_1)
	s_or_b32 exec_lo, exec_lo, s29
.LBB6_11147:                            ;   in Loop: Header=BB6_8449 Depth=2
	s_delay_alu instid0(SALU_CYCLE_1) | instskip(NEXT) | instid1(SALU_CYCLE_1)
	s_or_b32 exec_lo, exec_lo, s28
	s_mov_b32 s28, exec_lo
	v_cmpx_lt_u32_e32 0xffffff, v18
	s_cbranch_execz .LBB6_11157
; %bb.11148:                            ;   in Loop: Header=BB6_8449 Depth=2
	v_lshrrev_b32_e32 v0, 24, v18
	v_bfrev_b32_e32 v3, 1
	s_mov_b32 s29, exec_lo
	s_delay_alu instid0(VALU_DEP_2)
	v_cmpx_ne_u32_e32 0x80, v0
	s_cbranch_execz .LBB6_11156
; %bb.11149:                            ;   in Loop: Header=BB6_8449 Depth=2
	v_and_b32_e32 v3, 0x7c000000, v18
	v_bfe_u32 v2, v18, 24, 2
	s_delay_alu instid0(VALU_DEP_2) | instskip(SKIP_1) | instid1(SALU_CYCLE_1)
	v_cmp_ne_u32_e32 vcc_lo, 0x7c000000, v3
                                        ; implicit-def: $vgpr3
	s_and_saveexec_b32 s7, vcc_lo
	s_xor_b32 s7, exec_lo, s7
	s_cbranch_execz .LBB6_11153
; %bb.11150:                            ;   in Loop: Header=BB6_8449 Depth=2
	v_bfe_u32 v3, v18, 26, 5
	s_mov_b32 s40, exec_lo
	s_delay_alu instid0(VALU_DEP_1)
	v_cmpx_eq_u32_e32 0, v3
; %bb.11151:                            ;   in Loop: Header=BB6_8449 Depth=2
	v_clz_i32_u32_e32 v2, v2
	s_delay_alu instid0(VALU_DEP_1) | instskip(NEXT) | instid1(VALU_DEP_1)
	v_min_u32_e32 v5, 32, v2
	v_subrev_nc_u32_e32 v2, 29, v5
	s_delay_alu instid0(VALU_DEP_1) | instskip(NEXT) | instid1(VALU_DEP_1)
	v_lshlrev_b64_e32 v[2:3], v2, v[0:1]
	v_dual_sub_nc_u32 v3, 30, v5 :: v_dual_bitop2_b32 v2, 3, v2 bitop3:0x40
; %bb.11152:                            ;   in Loop: Header=BB6_8449 Depth=2
	s_or_b32 exec_lo, exec_lo, s40
	v_and_b32_e32 v0, 0x80000000, v18
	s_delay_alu instid0(VALU_DEP_1) | instskip(NEXT) | instid1(VALU_DEP_1)
	v_lshl_add_u32 v0, v3, 23, v0
	v_lshl_or_b32 v0, v2, 21, v0
                                        ; implicit-def: $vgpr2
	s_delay_alu instid0(VALU_DEP_1)
	v_add_nc_u32_e32 v3, 0x38000000, v0
.LBB6_11153:                            ;   in Loop: Header=BB6_8449 Depth=2
	s_and_not1_saveexec_b32 s40, s7
; %bb.11154:                            ;   in Loop: Header=BB6_8449 Depth=2
	v_cmp_lt_i32_e64 s7, -1, v18
	v_mov_b32_e32 v0, 0x7f800000
	v_cmp_eq_u32_e32 vcc_lo, 0, v2
	s_delay_alu instid0(VALU_DEP_2) | instskip(NEXT) | instid1(VALU_DEP_1)
	v_cndmask_b32_e64 v0, 0xff800000, v0, s7
	v_cndmask_b32_e32 v3, 0x7f800001, v0, vcc_lo
; %bb.11155:                            ;   in Loop: Header=BB6_8449 Depth=2
	s_or_b32 exec_lo, exec_lo, s40
.LBB6_11156:                            ;   in Loop: Header=BB6_8449 Depth=2
	s_delay_alu instid0(SALU_CYCLE_1)
	s_or_b32 exec_lo, exec_lo, s29
.LBB6_11157:                            ;   in Loop: Header=BB6_8449 Depth=2
	s_delay_alu instid0(SALU_CYCLE_1) | instskip(NEXT) | instid1(VALU_DEP_1)
	s_or_b32 exec_lo, exec_lo, s28
	v_dual_add_f32 v2, v4, v3 :: v_dual_mov_b32 v5, v1
                                        ; implicit-def: $vgpr60
	s_mov_b32 s7, exec_lo
	s_delay_alu instid0(VALU_DEP_1) | instskip(SKIP_2) | instid1(VALU_DEP_3)
	v_and_b32_e32 v4, 0x7f800000, v2
	v_and_b32_e32 v0, 0x7fffff, v2
	v_lshrrev_b32_e32 v3, 24, v2
	v_cmpx_ne_u64_e32 0x7f800000, v[4:5]
	s_xor_b32 s28, exec_lo, s7
	s_cbranch_execz .LBB6_11171
; %bb.11158:                            ;   in Loop: Header=BB6_8449 Depth=2
	v_and_b32_e32 v4, 0x7fffffff, v2
	v_mov_b32_e32 v5, v1
	v_and_b32_e32 v61, 0x80, v3
                                        ; implicit-def: $vgpr60
	s_mov_b32 s7, exec_lo
	s_delay_alu instid0(VALU_DEP_2)
	v_cmpx_gt_u64_e32 0x47600001, v[4:5]
	s_xor_b32 s29, exec_lo, s7
	s_cbranch_execz .LBB6_11168
; %bb.11159:                            ;   in Loop: Header=BB6_8449 Depth=2
	v_mov_b32_e32 v60, 0
	s_mov_b32 s40, exec_lo
	v_cmpx_ne_u32_e32 0, v2
	s_cbranch_execz .LBB6_11167
; %bb.11160:                            ;   in Loop: Header=BB6_8449 Depth=2
	v_bfe_u32 v60, v2, 23, 8
	v_or_b32_e32 v3, 0x800000, v0
	s_delay_alu instid0(VALU_DEP_2) | instskip(SKIP_2) | instid1(VALU_DEP_2)
	v_cmp_gt_u32_e64 s7, 0x72, v60
	v_sub_nc_u32_e32 v2, 0x71, v60
	v_cmp_eq_u32_e32 vcc_lo, 0, v60
	v_cndmask_b32_e64 v2, 0, v2, s7
	s_delay_alu instid0(VALU_DEP_1) | instskip(SKIP_1) | instid1(VALU_DEP_2)
	v_cndmask_b32_e64 v62, v2, 0x70, vcc_lo
	v_dual_cndmask_b32 v2, v3, v0 :: v_dual_mov_b32 v3, v1
	v_add_nc_u32_e32 v0, 21, v62
	s_delay_alu instid0(VALU_DEP_1) | instskip(SKIP_1) | instid1(VALU_DEP_1)
	v_lshlrev_b64_e64 v[4:5], v0, -1
	v_add_nc_u32_e32 v0, 20, v62
	v_lshlrev_b64_e64 v[72:73], v0, 1
	s_delay_alu instid0(VALU_DEP_3) | instskip(SKIP_2) | instid1(VALU_DEP_1)
	v_bfi_b32 v4, v4, 0, v2
	v_lshrrev_b64 v[2:3], v62, v[2:3]
	v_bfi_b32 v5, v5, 0, 0
	v_cmp_eq_u64_e64 s7, v[4:5], v[72:73]
	s_delay_alu instid0(VALU_DEP_3)
	v_mov_b64_e32 v[4:5], v[2:3]
	s_and_saveexec_b32 s41, s7
; %bb.11161:                            ;   in Loop: Header=BB6_8449 Depth=2
	v_bfe_u32 v4, v2, 21, 1
	v_mov_b32_e32 v5, v1
	s_delay_alu instid0(VALU_DEP_1) | instskip(NEXT) | instid1(VALU_DEP_1)
	v_add_nc_u64_e32 v[4:5], v[2:3], v[4:5]
	v_add_nc_u64_e32 v[4:5], -1, v[4:5]
; %bb.11162:                            ;   in Loop: Header=BB6_8449 Depth=2
	s_or_b32 exec_lo, exec_lo, s41
	v_add_nc_u32_e32 v0, 0xffffff81, v60
	v_lshrrev_b32_e32 v3, 23, v2
	s_mov_b32 s7, exec_lo
	s_delay_alu instid0(VALU_DEP_2) | instskip(NEXT) | instid1(VALU_DEP_1)
	v_cndmask_b32_e64 v0, v0, 0xffffff82, vcc_lo
	v_add3_u32 v60, v62, v0, v3
	v_and_b32_e32 v0, 0x1fffff, v4
                                        ; implicit-def: $vgpr4
	s_delay_alu instid0(VALU_DEP_1) | instskip(NEXT) | instid1(VALU_DEP_1)
	v_dual_add_nc_u32 v5, 14, v60 :: v_dual_add_nc_u32 v0, v0, v2
                                        ; implicit-def: $vgpr2_vgpr3
	v_cmpx_ne_u32_e32 0, v5
	s_xor_b32 s7, exec_lo, s7
; %bb.11163:                            ;   in Loop: Header=BB6_8449 Depth=2
	s_delay_alu instid0(VALU_DEP_2) | instskip(SKIP_1) | instid1(VALU_DEP_1)
	v_cmp_lt_u64_e32 vcc_lo, 0xffffff, v[0:1]
	v_add_nc_u32_e32 v2, 15, v60
	v_cndmask_b32_e32 v4, v5, v2, vcc_lo
	v_cndmask_b32_e64 v2, 0, 1, vcc_lo
	s_delay_alu instid0(VALU_DEP_1)
	v_lshrrev_b64 v[2:3], v2, v[0:1]
; %bb.11164:                            ;   in Loop: Header=BB6_8449 Depth=2
	s_and_not1_saveexec_b32 s7, s7
; %bb.11165:                            ;   in Loop: Header=BB6_8449 Depth=2
	v_mov_b64_e32 v[2:3], v[0:1]
	v_bfe_u32 v4, v0, 23, 1
; %bb.11166:                            ;   in Loop: Header=BB6_8449 Depth=2
	s_or_b32 exec_lo, exec_lo, s7
	s_delay_alu instid0(VALU_DEP_2) | instskip(NEXT) | instid1(VALU_DEP_2)
	v_lshrrev_b64 v[2:3], 21, v[2:3]
	v_cmp_gt_i32_e32 vcc_lo, 32, v4
	v_min_i32_e32 v0, 31, v4
	v_cmp_eq_u32_e64 s7, 0, v4
	s_delay_alu instid0(VALU_DEP_2) | instskip(SKIP_1) | instid1(VALU_DEP_2)
	v_dual_cndmask_b32 v3, 0, v3 :: v_dual_lshlrev_b32 v0, 2, v0
	v_cndmask_b32_e32 v2, 3, v2, vcc_lo
	v_and_b32_e32 v0, 0xfc, v0
	s_delay_alu instid0(VALU_DEP_2) | instskip(NEXT) | instid1(VALU_DEP_2)
	v_cmp_eq_u64_e32 vcc_lo, 0, v[2:3]
	v_and_or_b32 v0, v2, 3, v0
	s_and_b32 s7, s7, vcc_lo
	s_delay_alu instid0(VALU_DEP_1) | instid1(SALU_CYCLE_1)
	v_cndmask_b32_e64 v0, v0, 0, s7
	s_delay_alu instid0(VALU_DEP_1)
	v_or_b32_e32 v60, v0, v61
.LBB6_11167:                            ;   in Loop: Header=BB6_8449 Depth=2
	s_or_b32 exec_lo, exec_lo, s40
                                        ; implicit-def: $vgpr61
.LBB6_11168:                            ;   in Loop: Header=BB6_8449 Depth=2
	s_and_not1_saveexec_b32 s7, s29
; %bb.11169:                            ;   in Loop: Header=BB6_8449 Depth=2
	v_or_b32_e32 v60, 0x7b, v61
; %bb.11170:                            ;   in Loop: Header=BB6_8449 Depth=2
	s_or_b32 exec_lo, exec_lo, s7
                                        ; implicit-def: $vgpr2
                                        ; implicit-def: $vgpr3
.LBB6_11171:                            ;   in Loop: Header=BB6_8449 Depth=2
	s_and_not1_saveexec_b32 s7, s28
	s_cbranch_execz .LBB6_11177
; %bb.11172:                            ;   in Loop: Header=BB6_8449 Depth=2
	s_mov_b32 s28, exec_lo
                                        ; implicit-def: $vgpr60
	v_cmpx_ne_u64_e32 0, v[0:1]
	s_xor_b32 s28, exec_lo, s28
; %bb.11173:                            ;   in Loop: Header=BB6_8449 Depth=2
	v_or_b32_e32 v60, 0x7f, v3
                                        ; implicit-def: $vgpr2
; %bb.11174:                            ;   in Loop: Header=BB6_8449 Depth=2
	s_and_not1_saveexec_b32 s28, s28
; %bb.11175:                            ;   in Loop: Header=BB6_8449 Depth=2
	v_cmp_lt_i32_e32 vcc_lo, -1, v2
	v_mov_b32_e32 v0, 0x7c
	s_delay_alu instid0(VALU_DEP_1)
	v_cndmask_b32_e32 v60, 0xfc, v0, vcc_lo
; %bb.11176:                            ;   in Loop: Header=BB6_8449 Depth=2
	s_or_b32 exec_lo, exec_lo, s28
.LBB6_11177:                            ;   in Loop: Header=BB6_8449 Depth=2
	s_delay_alu instid0(SALU_CYCLE_1) | instskip(SKIP_4) | instid1(VALU_DEP_2)
	s_or_b32 exec_lo, exec_lo, s7
	v_lshl_or_b32 v44, v44, 8, v41
	v_dual_lshlrev_b32 v0, 16, v56 :: v_dual_lshlrev_b32 v2, 24, v59
	v_mov_b32_e32 v3, 0
	s_mov_b32 s28, exec_lo
	v_or3_b32 v0, v0, v2, v44
	v_mov_b32_e32 v2, 0
	v_cmpx_ne_u32_e32 0, v41
	s_cbranch_execz .LBB6_11187
; %bb.11178:                            ;   in Loop: Header=BB6_8449 Depth=2
	v_bfrev_b32_e32 v2, 1
	s_mov_b32 s29, exec_lo
	v_cmpx_ne_u32_e32 0x80, v41
	s_cbranch_execz .LBB6_11186
; %bb.11179:                            ;   in Loop: Header=BB6_8449 Depth=2
	v_and_b32_e32 v2, 0x7c, v41
	v_and_b32_e32 v4, 3, v41
	s_delay_alu instid0(VALU_DEP_2) | instskip(SKIP_1) | instid1(SALU_CYCLE_1)
	v_cmp_ne_u32_e32 vcc_lo, 0x7c, v2
                                        ; implicit-def: $vgpr2
	s_and_saveexec_b32 s7, vcc_lo
	s_xor_b32 s7, exec_lo, s7
	s_cbranch_execz .LBB6_11183
; %bb.11180:                            ;   in Loop: Header=BB6_8449 Depth=2
	v_bfe_u32 v2, v41, 2, 5
	s_mov_b32 s40, exec_lo
	s_delay_alu instid0(VALU_DEP_1)
	v_cmpx_eq_u32_e32 0, v2
; %bb.11181:                            ;   in Loop: Header=BB6_8449 Depth=2
	v_clz_i32_u32_e32 v2, v4
	s_delay_alu instid0(VALU_DEP_1) | instskip(NEXT) | instid1(VALU_DEP_1)
	v_min_u32_e32 v2, 32, v2
	v_subrev_nc_u32_e32 v4, 29, v2
	s_delay_alu instid0(VALU_DEP_1) | instskip(NEXT) | instid1(VALU_DEP_1)
	v_lshlrev_b64_e32 v[4:5], v4, v[0:1]
	v_dual_sub_nc_u32 v2, 30, v2 :: v_dual_bitop2_b32 v4, 3, v4 bitop3:0x40
; %bb.11182:                            ;   in Loop: Header=BB6_8449 Depth=2
	s_or_b32 exec_lo, exec_lo, s40
	v_lshlrev_b32_e32 v5, 24, v41
                                        ; implicit-def: $vgpr41
	s_delay_alu instid0(VALU_DEP_1) | instskip(NEXT) | instid1(VALU_DEP_1)
	v_and_b32_e32 v5, 0x80000000, v5
	v_lshl_add_u32 v2, v2, 23, v5
	s_delay_alu instid0(VALU_DEP_1) | instskip(NEXT) | instid1(VALU_DEP_1)
	v_lshl_or_b32 v2, v4, 21, v2
                                        ; implicit-def: $vgpr4
	v_add_nc_u32_e32 v2, 0x38000000, v2
.LBB6_11183:                            ;   in Loop: Header=BB6_8449 Depth=2
	s_and_not1_saveexec_b32 s40, s7
; %bb.11184:                            ;   in Loop: Header=BB6_8449 Depth=2
	v_and_b32_e32 v2, 0x80, v41
	v_cmp_eq_u32_e32 vcc_lo, 0, v4
	s_delay_alu instid0(VALU_DEP_2) | instskip(SKIP_1) | instid1(VALU_DEP_1)
	v_cmp_eq_u32_e64 s7, 0, v2
	v_mov_b32_e32 v2, 0x7f800000
	v_cndmask_b32_e64 v2, 0xff800000, v2, s7
	s_delay_alu instid0(VALU_DEP_1)
	v_cndmask_b32_e32 v2, 0x7f800001, v2, vcc_lo
; %bb.11185:                            ;   in Loop: Header=BB6_8449 Depth=2
	s_or_b32 exec_lo, exec_lo, s40
.LBB6_11186:                            ;   in Loop: Header=BB6_8449 Depth=2
	s_delay_alu instid0(SALU_CYCLE_1)
	s_or_b32 exec_lo, exec_lo, s29
.LBB6_11187:                            ;   in Loop: Header=BB6_8449 Depth=2
	s_delay_alu instid0(SALU_CYCLE_1) | instskip(SKIP_2) | instid1(VALU_DEP_1)
	s_or_b32 exec_lo, exec_lo, s28
	v_and_b32_e32 v4, 0xff, v19
	s_mov_b32 s28, exec_lo
	v_cmpx_ne_u16_e32 0, v4
	s_cbranch_execz .LBB6_11197
; %bb.11188:                            ;   in Loop: Header=BB6_8449 Depth=2
	v_bfrev_b32_e32 v3, 1
	s_mov_b32 s29, exec_lo
	v_cmpx_ne_u16_e32 0x80, v4
	s_cbranch_execz .LBB6_11196
; %bb.11189:                            ;   in Loop: Header=BB6_8449 Depth=2
	v_and_b32_e32 v3, 0x7c, v19
	v_and_b32_e32 v4, 3, v19
	s_delay_alu instid0(VALU_DEP_2) | instskip(SKIP_1) | instid1(SALU_CYCLE_1)
	v_cmp_ne_u32_e32 vcc_lo, 0x7c, v3
                                        ; implicit-def: $vgpr3
	s_and_saveexec_b32 s7, vcc_lo
	s_xor_b32 s7, exec_lo, s7
	s_cbranch_execz .LBB6_11193
; %bb.11190:                            ;   in Loop: Header=BB6_8449 Depth=2
	v_bfe_u32 v3, v19, 2, 5
	s_mov_b32 s40, exec_lo
	s_delay_alu instid0(VALU_DEP_1)
	v_cmpx_eq_u32_e32 0, v3
; %bb.11191:                            ;   in Loop: Header=BB6_8449 Depth=2
	v_clz_i32_u32_e32 v3, v4
	v_dual_mov_b32 v4, v19 :: v_dual_mov_b32 v5, v1
	s_delay_alu instid0(VALU_DEP_2) | instskip(NEXT) | instid1(VALU_DEP_1)
	v_min_u32_e32 v3, 32, v3
	v_subrev_nc_u32_e32 v41, 29, v3
	s_delay_alu instid0(VALU_DEP_1) | instskip(NEXT) | instid1(VALU_DEP_1)
	v_lshlrev_b64_e32 v[4:5], v41, v[4:5]
	v_dual_sub_nc_u32 v3, 30, v3 :: v_dual_bitop2_b32 v4, 3, v4 bitop3:0x40
; %bb.11192:                            ;   in Loop: Header=BB6_8449 Depth=2
	s_or_b32 exec_lo, exec_lo, s40
	v_lshlrev_b32_e32 v5, 24, v19
	s_delay_alu instid0(VALU_DEP_1) | instskip(NEXT) | instid1(VALU_DEP_1)
	v_and_b32_e32 v5, 0x80000000, v5
	v_lshl_add_u32 v3, v3, 23, v5
	s_delay_alu instid0(VALU_DEP_1) | instskip(NEXT) | instid1(VALU_DEP_1)
	v_lshl_or_b32 v3, v4, 21, v3
                                        ; implicit-def: $vgpr4
	v_add_nc_u32_e32 v3, 0x38000000, v3
.LBB6_11193:                            ;   in Loop: Header=BB6_8449 Depth=2
	s_and_not1_saveexec_b32 s40, s7
; %bb.11194:                            ;   in Loop: Header=BB6_8449 Depth=2
	v_bfe_i32 v3, v19, 0, 8
	v_cmp_eq_u32_e32 vcc_lo, 0, v4
	s_delay_alu instid0(VALU_DEP_2) | instskip(SKIP_1) | instid1(VALU_DEP_1)
	v_cmp_lt_i16_e64 s7, -1, v3
	v_mov_b32_e32 v3, 0x7f800000
	v_cndmask_b32_e64 v3, 0xff800000, v3, s7
	s_delay_alu instid0(VALU_DEP_1)
	v_cndmask_b32_e32 v3, 0x7f800001, v3, vcc_lo
; %bb.11195:                            ;   in Loop: Header=BB6_8449 Depth=2
	s_or_b32 exec_lo, exec_lo, s40
.LBB6_11196:                            ;   in Loop: Header=BB6_8449 Depth=2
	s_delay_alu instid0(SALU_CYCLE_1)
	s_or_b32 exec_lo, exec_lo, s29
.LBB6_11197:                            ;   in Loop: Header=BB6_8449 Depth=2
	s_delay_alu instid0(SALU_CYCLE_1) | instskip(NEXT) | instid1(VALU_DEP_1)
	s_or_b32 exec_lo, exec_lo, s28
	v_dual_add_f32 v4, v2, v3 :: v_dual_mov_b32 v63, v1
	v_mov_b32_e32 v3, v1
                                        ; implicit-def: $vgpr41
	s_mov_b32 s7, exec_lo
	s_delay_alu instid0(VALU_DEP_2) | instskip(SKIP_2) | instid1(VALU_DEP_3)
	v_and_b32_e32 v62, 0x7f800000, v4
	v_and_b32_e32 v2, 0x7fffff, v4
	v_lshrrev_b32_e32 v5, 24, v4
	v_cmpx_ne_u64_e32 0x7f800000, v[62:63]
	s_xor_b32 s28, exec_lo, s7
	s_cbranch_execz .LBB6_11211
; %bb.11198:                            ;   in Loop: Header=BB6_8449 Depth=2
	v_and_b32_e32 v62, 0x7fffffff, v4
	v_mov_b32_e32 v63, v1
	v_and_b32_e32 v56, 0x80, v5
                                        ; implicit-def: $vgpr41
	s_mov_b32 s7, exec_lo
	s_delay_alu instid0(VALU_DEP_2)
	v_cmpx_gt_u64_e32 0x47600001, v[62:63]
	s_xor_b32 s29, exec_lo, s7
	s_cbranch_execz .LBB6_11208
; %bb.11199:                            ;   in Loop: Header=BB6_8449 Depth=2
	v_mov_b32_e32 v41, 0
	s_mov_b32 s40, exec_lo
	v_cmpx_ne_u32_e32 0, v4
	s_cbranch_execz .LBB6_11207
; %bb.11200:                            ;   in Loop: Header=BB6_8449 Depth=2
	v_bfe_u32 v41, v4, 23, 8
	v_or_b32_e32 v5, 0x800000, v2
	s_delay_alu instid0(VALU_DEP_2) | instskip(SKIP_2) | instid1(VALU_DEP_2)
	v_cmp_gt_u32_e64 s7, 0x72, v41
	v_sub_nc_u32_e32 v4, 0x71, v41
	v_cmp_eq_u32_e32 vcc_lo, 0, v41
	v_dual_cndmask_b32 v4, 0, v4, s7 :: v_dual_cndmask_b32 v2, v5, v2, vcc_lo
	s_delay_alu instid0(VALU_DEP_1) | instskip(NEXT) | instid1(VALU_DEP_1)
	v_cndmask_b32_e64 v59, v4, 0x70, vcc_lo
	v_dual_add_nc_u32 v4, 21, v59 :: v_dual_add_nc_u32 v61, 20, v59
	s_delay_alu instid0(VALU_DEP_1) | instskip(NEXT) | instid1(VALU_DEP_2)
	v_lshlrev_b64_e64 v[4:5], v4, -1
	v_lshlrev_b64_e64 v[62:63], v61, 1
	s_delay_alu instid0(VALU_DEP_2) | instskip(SKIP_1) | instid1(VALU_DEP_4)
	v_bfi_b32 v4, v4, 0, v2
	v_lshrrev_b64 v[2:3], v59, v[2:3]
	v_bfi_b32 v5, v5, 0, 0
	s_delay_alu instid0(VALU_DEP_1) | instskip(NEXT) | instid1(VALU_DEP_3)
	v_cmp_eq_u64_e64 s7, v[4:5], v[62:63]
	v_mov_b64_e32 v[4:5], v[2:3]
	s_and_saveexec_b32 s41, s7
; %bb.11201:                            ;   in Loop: Header=BB6_8449 Depth=2
	v_bfe_u32 v4, v2, 21, 1
	v_mov_b32_e32 v5, v1
	s_delay_alu instid0(VALU_DEP_1) | instskip(NEXT) | instid1(VALU_DEP_1)
	v_add_nc_u64_e32 v[4:5], v[2:3], v[4:5]
	v_add_nc_u64_e32 v[4:5], -1, v[4:5]
; %bb.11202:                            ;   in Loop: Header=BB6_8449 Depth=2
	s_or_b32 exec_lo, exec_lo, s41
	v_add_nc_u32_e32 v3, 0xffffff81, v41
	v_lshrrev_b32_e32 v5, 23, v2
	s_mov_b32 s7, exec_lo
	s_delay_alu instid0(VALU_DEP_2) | instskip(NEXT) | instid1(VALU_DEP_1)
	v_cndmask_b32_e64 v3, v3, 0xffffff82, vcc_lo
	v_add3_u32 v41, v59, v3, v5
	v_and_b32_e32 v3, 0x1fffff, v4
                                        ; implicit-def: $vgpr4
	s_delay_alu instid0(VALU_DEP_1) | instskip(SKIP_1) | instid1(VALU_DEP_2)
	v_dual_add_nc_u32 v5, 14, v41 :: v_dual_add_nc_u32 v2, v3, v2
	v_mov_b32_e32 v3, v1
	v_cmpx_ne_u32_e32 0, v5
	s_xor_b32 s7, exec_lo, s7
; %bb.11203:                            ;   in Loop: Header=BB6_8449 Depth=2
	s_delay_alu instid0(VALU_DEP_2) | instskip(SKIP_1) | instid1(VALU_DEP_1)
	v_cmp_lt_u64_e32 vcc_lo, 0xffffff, v[2:3]
	v_add_nc_u32_e32 v4, 15, v41
	v_cndmask_b32_e32 v4, v5, v4, vcc_lo
	v_cndmask_b32_e64 v5, 0, 1, vcc_lo
	s_delay_alu instid0(VALU_DEP_1)
	v_lshrrev_b64 v[2:3], v5, v[2:3]
; %bb.11204:                            ;   in Loop: Header=BB6_8449 Depth=2
	s_and_not1_saveexec_b32 s7, s7
; %bb.11205:                            ;   in Loop: Header=BB6_8449 Depth=2
	s_delay_alu instid0(VALU_DEP_1)
	v_bfe_u32 v4, v2, 23, 1
; %bb.11206:                            ;   in Loop: Header=BB6_8449 Depth=2
	s_or_b32 exec_lo, exec_lo, s7
	s_delay_alu instid0(VALU_DEP_2) | instskip(NEXT) | instid1(VALU_DEP_2)
	v_lshrrev_b64 v[2:3], 21, v[2:3]
	v_cmp_gt_i32_e32 vcc_lo, 32, v4
	v_min_i32_e32 v5, 31, v4
	v_cmp_eq_u32_e64 s7, 0, v4
	s_delay_alu instid0(VALU_DEP_2) | instskip(SKIP_1) | instid1(VALU_DEP_2)
	v_dual_cndmask_b32 v3, 0, v3, vcc_lo :: v_dual_lshlrev_b32 v5, 2, v5
	v_cndmask_b32_e32 v2, 3, v2, vcc_lo
	v_and_b32_e32 v5, 0xfc, v5
	s_delay_alu instid0(VALU_DEP_2) | instskip(NEXT) | instid1(VALU_DEP_2)
	v_cmp_eq_u64_e32 vcc_lo, 0, v[2:3]
	v_and_or_b32 v2, v2, 3, v5
	s_and_b32 s7, s7, vcc_lo
	s_delay_alu instid0(VALU_DEP_1) | instid1(SALU_CYCLE_1)
	v_cndmask_b32_e64 v2, v2, 0, s7
	s_delay_alu instid0(VALU_DEP_1)
	v_or_b32_e32 v41, v2, v56
.LBB6_11207:                            ;   in Loop: Header=BB6_8449 Depth=2
	s_or_b32 exec_lo, exec_lo, s40
                                        ; implicit-def: $vgpr56
.LBB6_11208:                            ;   in Loop: Header=BB6_8449 Depth=2
	s_and_not1_saveexec_b32 s7, s29
; %bb.11209:                            ;   in Loop: Header=BB6_8449 Depth=2
	v_or_b32_e32 v41, 0x7b, v56
; %bb.11210:                            ;   in Loop: Header=BB6_8449 Depth=2
	s_or_b32 exec_lo, exec_lo, s7
                                        ; implicit-def: $vgpr4
                                        ; implicit-def: $vgpr2_vgpr3
                                        ; implicit-def: $vgpr5
.LBB6_11211:                            ;   in Loop: Header=BB6_8449 Depth=2
	s_and_not1_saveexec_b32 s7, s28
	s_cbranch_execz .LBB6_11217
; %bb.11212:                            ;   in Loop: Header=BB6_8449 Depth=2
	s_mov_b32 s28, exec_lo
                                        ; implicit-def: $vgpr41
	v_cmpx_ne_u64_e32 0, v[2:3]
	s_xor_b32 s28, exec_lo, s28
; %bb.11213:                            ;   in Loop: Header=BB6_8449 Depth=2
	v_or_b32_e32 v41, 0x7f, v5
                                        ; implicit-def: $vgpr4
; %bb.11214:                            ;   in Loop: Header=BB6_8449 Depth=2
	s_and_not1_saveexec_b32 s28, s28
; %bb.11215:                            ;   in Loop: Header=BB6_8449 Depth=2
	v_cmp_lt_i32_e32 vcc_lo, -1, v4
	v_mov_b32_e32 v2, 0x7c
	s_delay_alu instid0(VALU_DEP_1)
	v_cndmask_b32_e32 v41, 0xfc, v2, vcc_lo
; %bb.11216:                            ;   in Loop: Header=BB6_8449 Depth=2
	s_or_b32 exec_lo, exec_lo, s28
.LBB6_11217:                            ;   in Loop: Header=BB6_8449 Depth=2
	s_delay_alu instid0(SALU_CYCLE_1) | instskip(SKIP_3) | instid1(VALU_DEP_2)
	s_or_b32 exec_lo, exec_lo, s7
	v_lshrrev_b16 v2, 8, v44
	v_dual_mov_b32 v4, 0 :: v_dual_mov_b32 v5, 0
	s_mov_b32 s28, exec_lo
	v_cmpx_ne_u16_e32 0, v2
	s_cbranch_execz .LBB6_11227
; %bb.11218:                            ;   in Loop: Header=BB6_8449 Depth=2
	v_bfrev_b32_e32 v5, 1
	s_mov_b32 s29, exec_lo
	v_cmpx_ne_u16_e32 0x80, v2
	s_cbranch_execz .LBB6_11226
; %bb.11219:                            ;   in Loop: Header=BB6_8449 Depth=2
	v_and_b32_e32 v56, 0xffff, v2
	s_delay_alu instid0(VALU_DEP_1) | instskip(SKIP_1) | instid1(VALU_DEP_2)
	v_and_b32_e32 v5, 0x7c, v56
	v_and_b32_e32 v3, 3, v56
	v_cmp_ne_u32_e32 vcc_lo, 0x7c, v5
                                        ; implicit-def: $vgpr5
	s_and_saveexec_b32 s7, vcc_lo
	s_delay_alu instid0(SALU_CYCLE_1)
	s_xor_b32 s7, exec_lo, s7
	s_cbranch_execz .LBB6_11223
; %bb.11220:                            ;   in Loop: Header=BB6_8449 Depth=2
	v_bfe_u32 v5, v56, 2, 5
	s_mov_b32 s40, exec_lo
	s_delay_alu instid0(VALU_DEP_1)
	v_cmpx_eq_u32_e32 0, v5
	s_cbranch_execz .LBB6_11222
; %bb.11221:                            ;   in Loop: Header=BB6_8449 Depth=2
	v_clz_i32_u32_e32 v3, v3
	s_delay_alu instid0(VALU_DEP_1) | instskip(SKIP_1) | instid1(VALU_DEP_2)
	v_min_u32_e32 v5, 32, v3
	v_mov_b32_e32 v3, v1
	v_subrev_nc_u32_e32 v56, 29, v5
	v_sub_nc_u32_e32 v5, 30, v5
	s_delay_alu instid0(VALU_DEP_2) | instskip(NEXT) | instid1(VALU_DEP_1)
	v_lshlrev_b64_e32 v[2:3], v56, v[2:3]
	v_and_b32_e32 v3, 3, v2
.LBB6_11222:                            ;   in Loop: Header=BB6_8449 Depth=2
	s_or_b32 exec_lo, exec_lo, s40
	v_lshlrev_b32_e32 v2, 16, v44
                                        ; implicit-def: $vgpr44
	s_delay_alu instid0(VALU_DEP_1) | instskip(NEXT) | instid1(VALU_DEP_1)
	v_and_b32_e32 v2, 0x80000000, v2
	v_lshl_add_u32 v2, v5, 23, v2
	s_delay_alu instid0(VALU_DEP_1) | instskip(NEXT) | instid1(VALU_DEP_1)
	v_lshl_or_b32 v2, v3, 21, v2
                                        ; implicit-def: $vgpr3
	v_add_nc_u32_e32 v5, 0x38000000, v2
.LBB6_11223:                            ;   in Loop: Header=BB6_8449 Depth=2
	s_and_not1_saveexec_b32 s40, s7
; %bb.11224:                            ;   in Loop: Header=BB6_8449 Depth=2
	v_cmp_lt_i16_e64 s7, -1, v44
	v_mov_b32_e32 v2, 0x7f800000
	v_cmp_eq_u32_e32 vcc_lo, 0, v3
	s_delay_alu instid0(VALU_DEP_2) | instskip(NEXT) | instid1(VALU_DEP_1)
	v_cndmask_b32_e64 v2, 0xff800000, v2, s7
	v_cndmask_b32_e32 v5, 0x7f800001, v2, vcc_lo
; %bb.11225:                            ;   in Loop: Header=BB6_8449 Depth=2
	s_or_b32 exec_lo, exec_lo, s40
.LBB6_11226:                            ;   in Loop: Header=BB6_8449 Depth=2
	s_delay_alu instid0(SALU_CYCLE_1)
	s_or_b32 exec_lo, exec_lo, s29
.LBB6_11227:                            ;   in Loop: Header=BB6_8449 Depth=2
	s_delay_alu instid0(SALU_CYCLE_1) | instskip(SKIP_2) | instid1(VALU_DEP_1)
	s_or_b32 exec_lo, exec_lo, s28
	v_lshrrev_b16 v2, 8, v19
	s_mov_b32 s28, exec_lo
	v_cmpx_ne_u16_e32 0, v2
	s_cbranch_execz .LBB6_11237
; %bb.11228:                            ;   in Loop: Header=BB6_8449 Depth=2
	v_bfrev_b32_e32 v4, 1
	s_mov_b32 s29, exec_lo
	v_cmpx_ne_u16_e32 0x80, v2
	s_cbranch_execz .LBB6_11236
; %bb.11229:                            ;   in Loop: Header=BB6_8449 Depth=2
	v_and_b32_e32 v44, 0xffff, v2
	s_delay_alu instid0(VALU_DEP_1) | instskip(SKIP_1) | instid1(VALU_DEP_2)
	v_and_b32_e32 v4, 0x7c, v44
	v_and_b32_e32 v3, 3, v44
	v_cmp_ne_u32_e32 vcc_lo, 0x7c, v4
                                        ; implicit-def: $vgpr4
	s_and_saveexec_b32 s7, vcc_lo
	s_delay_alu instid0(SALU_CYCLE_1)
	s_xor_b32 s7, exec_lo, s7
	s_cbranch_execz .LBB6_11233
; %bb.11230:                            ;   in Loop: Header=BB6_8449 Depth=2
	v_bfe_u32 v4, v44, 2, 5
	s_mov_b32 s40, exec_lo
	s_delay_alu instid0(VALU_DEP_1)
	v_cmpx_eq_u32_e32 0, v4
	s_cbranch_execz .LBB6_11232
; %bb.11231:                            ;   in Loop: Header=BB6_8449 Depth=2
	v_clz_i32_u32_e32 v3, v3
	s_delay_alu instid0(VALU_DEP_1) | instskip(SKIP_1) | instid1(VALU_DEP_2)
	v_min_u32_e32 v4, 32, v3
	v_mov_b32_e32 v3, v1
	v_subrev_nc_u32_e32 v44, 29, v4
	v_sub_nc_u32_e32 v4, 30, v4
	s_delay_alu instid0(VALU_DEP_2) | instskip(NEXT) | instid1(VALU_DEP_1)
	v_lshlrev_b64_e32 v[2:3], v44, v[2:3]
	v_and_b32_e32 v3, 3, v2
.LBB6_11232:                            ;   in Loop: Header=BB6_8449 Depth=2
	s_or_b32 exec_lo, exec_lo, s40
	v_lshlrev_b32_e32 v2, 16, v19
	s_delay_alu instid0(VALU_DEP_1) | instskip(NEXT) | instid1(VALU_DEP_1)
	v_and_b32_e32 v2, 0x80000000, v2
	v_lshl_add_u32 v2, v4, 23, v2
	s_delay_alu instid0(VALU_DEP_1) | instskip(NEXT) | instid1(VALU_DEP_1)
	v_lshl_or_b32 v2, v3, 21, v2
                                        ; implicit-def: $vgpr3
	v_add_nc_u32_e32 v4, 0x38000000, v2
.LBB6_11233:                            ;   in Loop: Header=BB6_8449 Depth=2
	s_and_not1_saveexec_b32 s40, s7
; %bb.11234:                            ;   in Loop: Header=BB6_8449 Depth=2
	v_cmp_lt_i16_e64 s7, -1, v19
	v_mov_b32_e32 v2, 0x7f800000
	v_cmp_eq_u32_e32 vcc_lo, 0, v3
	s_delay_alu instid0(VALU_DEP_2) | instskip(NEXT) | instid1(VALU_DEP_1)
	v_cndmask_b32_e64 v2, 0xff800000, v2, s7
	v_cndmask_b32_e32 v4, 0x7f800001, v2, vcc_lo
; %bb.11235:                            ;   in Loop: Header=BB6_8449 Depth=2
	s_or_b32 exec_lo, exec_lo, s40
.LBB6_11236:                            ;   in Loop: Header=BB6_8449 Depth=2
	s_delay_alu instid0(SALU_CYCLE_1)
	s_or_b32 exec_lo, exec_lo, s29
.LBB6_11237:                            ;   in Loop: Header=BB6_8449 Depth=2
	s_delay_alu instid0(SALU_CYCLE_1) | instskip(NEXT) | instid1(VALU_DEP_1)
	s_or_b32 exec_lo, exec_lo, s28
	v_add_f32_e32 v4, v5, v4
	v_dual_mov_b32 v63, v1 :: v_dual_mov_b32 v3, v1
                                        ; implicit-def: $vgpr44
	s_mov_b32 s7, exec_lo
	s_delay_alu instid0(VALU_DEP_2) | instskip(SKIP_2) | instid1(VALU_DEP_3)
	v_and_b32_e32 v62, 0x7f800000, v4
	v_and_b32_e32 v2, 0x7fffff, v4
	v_lshrrev_b32_e32 v5, 24, v4
	v_cmpx_ne_u64_e32 0x7f800000, v[62:63]
	s_xor_b32 s28, exec_lo, s7
	s_cbranch_execz .LBB6_11251
; %bb.11238:                            ;   in Loop: Header=BB6_8449 Depth=2
	v_and_b32_e32 v62, 0x7fffffff, v4
	v_mov_b32_e32 v63, v1
	v_and_b32_e32 v56, 0x80, v5
                                        ; implicit-def: $vgpr44
	s_mov_b32 s7, exec_lo
	s_delay_alu instid0(VALU_DEP_2)
	v_cmpx_gt_u64_e32 0x47600001, v[62:63]
	s_xor_b32 s29, exec_lo, s7
	s_cbranch_execz .LBB6_11248
; %bb.11239:                            ;   in Loop: Header=BB6_8449 Depth=2
	v_mov_b32_e32 v44, 0
	s_mov_b32 s40, exec_lo
	v_cmpx_ne_u32_e32 0, v4
	s_cbranch_execz .LBB6_11247
; %bb.11240:                            ;   in Loop: Header=BB6_8449 Depth=2
	v_bfe_u32 v44, v4, 23, 8
	v_or_b32_e32 v5, 0x800000, v2
	s_delay_alu instid0(VALU_DEP_2) | instskip(SKIP_2) | instid1(VALU_DEP_2)
	v_cmp_gt_u32_e64 s7, 0x72, v44
	v_sub_nc_u32_e32 v4, 0x71, v44
	v_cmp_eq_u32_e32 vcc_lo, 0, v44
	v_dual_cndmask_b32 v4, 0, v4, s7 :: v_dual_cndmask_b32 v2, v5, v2, vcc_lo
	s_delay_alu instid0(VALU_DEP_1) | instskip(NEXT) | instid1(VALU_DEP_1)
	v_cndmask_b32_e64 v59, v4, 0x70, vcc_lo
	v_dual_add_nc_u32 v4, 21, v59 :: v_dual_add_nc_u32 v61, 20, v59
	s_delay_alu instid0(VALU_DEP_1) | instskip(NEXT) | instid1(VALU_DEP_2)
	v_lshlrev_b64_e64 v[4:5], v4, -1
	v_lshlrev_b64_e64 v[62:63], v61, 1
	s_delay_alu instid0(VALU_DEP_2) | instskip(SKIP_1) | instid1(VALU_DEP_4)
	v_bfi_b32 v4, v4, 0, v2
	v_lshrrev_b64 v[2:3], v59, v[2:3]
	v_bfi_b32 v5, v5, 0, 0
	s_delay_alu instid0(VALU_DEP_1) | instskip(NEXT) | instid1(VALU_DEP_3)
	v_cmp_eq_u64_e64 s7, v[4:5], v[62:63]
	v_mov_b64_e32 v[4:5], v[2:3]
	s_and_saveexec_b32 s41, s7
; %bb.11241:                            ;   in Loop: Header=BB6_8449 Depth=2
	v_bfe_u32 v4, v2, 21, 1
	v_mov_b32_e32 v5, v1
	s_delay_alu instid0(VALU_DEP_1) | instskip(NEXT) | instid1(VALU_DEP_1)
	v_add_nc_u64_e32 v[4:5], v[2:3], v[4:5]
	v_add_nc_u64_e32 v[4:5], -1, v[4:5]
; %bb.11242:                            ;   in Loop: Header=BB6_8449 Depth=2
	s_or_b32 exec_lo, exec_lo, s41
	v_add_nc_u32_e32 v3, 0xffffff81, v44
	v_lshrrev_b32_e32 v5, 23, v2
	s_mov_b32 s7, exec_lo
	s_delay_alu instid0(VALU_DEP_2) | instskip(NEXT) | instid1(VALU_DEP_1)
	v_cndmask_b32_e64 v3, v3, 0xffffff82, vcc_lo
	v_add3_u32 v44, v59, v3, v5
	v_and_b32_e32 v3, 0x1fffff, v4
                                        ; implicit-def: $vgpr4
	s_delay_alu instid0(VALU_DEP_1) | instskip(SKIP_1) | instid1(VALU_DEP_2)
	v_dual_add_nc_u32 v5, 14, v44 :: v_dual_add_nc_u32 v2, v3, v2
	v_mov_b32_e32 v3, v1
	v_cmpx_ne_u32_e32 0, v5
	s_xor_b32 s7, exec_lo, s7
; %bb.11243:                            ;   in Loop: Header=BB6_8449 Depth=2
	s_delay_alu instid0(VALU_DEP_2) | instskip(SKIP_1) | instid1(VALU_DEP_1)
	v_cmp_lt_u64_e32 vcc_lo, 0xffffff, v[2:3]
	v_add_nc_u32_e32 v4, 15, v44
	v_cndmask_b32_e32 v4, v5, v4, vcc_lo
	v_cndmask_b32_e64 v5, 0, 1, vcc_lo
	s_delay_alu instid0(VALU_DEP_1)
	v_lshrrev_b64 v[2:3], v5, v[2:3]
; %bb.11244:                            ;   in Loop: Header=BB6_8449 Depth=2
	s_and_not1_saveexec_b32 s7, s7
; %bb.11245:                            ;   in Loop: Header=BB6_8449 Depth=2
	s_delay_alu instid0(VALU_DEP_1)
	v_bfe_u32 v4, v2, 23, 1
; %bb.11246:                            ;   in Loop: Header=BB6_8449 Depth=2
	s_or_b32 exec_lo, exec_lo, s7
	s_delay_alu instid0(VALU_DEP_2) | instskip(NEXT) | instid1(VALU_DEP_2)
	v_lshrrev_b64 v[2:3], 21, v[2:3]
	v_cmp_gt_i32_e32 vcc_lo, 32, v4
	v_min_i32_e32 v5, 31, v4
	v_cmp_eq_u32_e64 s7, 0, v4
	s_delay_alu instid0(VALU_DEP_2) | instskip(SKIP_1) | instid1(VALU_DEP_2)
	v_dual_cndmask_b32 v3, 0, v3, vcc_lo :: v_dual_lshlrev_b32 v5, 2, v5
	v_cndmask_b32_e32 v2, 3, v2, vcc_lo
	v_and_b32_e32 v5, 0xfc, v5
	s_delay_alu instid0(VALU_DEP_2) | instskip(NEXT) | instid1(VALU_DEP_2)
	v_cmp_eq_u64_e32 vcc_lo, 0, v[2:3]
	v_and_or_b32 v2, v2, 3, v5
	s_and_b32 s7, s7, vcc_lo
	s_delay_alu instid0(VALU_DEP_1) | instid1(SALU_CYCLE_1)
	v_cndmask_b32_e64 v2, v2, 0, s7
	s_delay_alu instid0(VALU_DEP_1)
	v_or_b32_e32 v44, v2, v56
.LBB6_11247:                            ;   in Loop: Header=BB6_8449 Depth=2
	s_or_b32 exec_lo, exec_lo, s40
                                        ; implicit-def: $vgpr56
.LBB6_11248:                            ;   in Loop: Header=BB6_8449 Depth=2
	s_and_not1_saveexec_b32 s7, s29
; %bb.11249:                            ;   in Loop: Header=BB6_8449 Depth=2
	v_or_b32_e32 v44, 0x7b, v56
; %bb.11250:                            ;   in Loop: Header=BB6_8449 Depth=2
	s_or_b32 exec_lo, exec_lo, s7
                                        ; implicit-def: $vgpr4
                                        ; implicit-def: $vgpr2_vgpr3
                                        ; implicit-def: $vgpr5
.LBB6_11251:                            ;   in Loop: Header=BB6_8449 Depth=2
	s_and_not1_saveexec_b32 s7, s28
	s_cbranch_execz .LBB6_11257
; %bb.11252:                            ;   in Loop: Header=BB6_8449 Depth=2
	s_mov_b32 s28, exec_lo
                                        ; implicit-def: $vgpr44
	v_cmpx_ne_u64_e32 0, v[2:3]
	s_xor_b32 s28, exec_lo, s28
; %bb.11253:                            ;   in Loop: Header=BB6_8449 Depth=2
	v_or_b32_e32 v44, 0x7f, v5
                                        ; implicit-def: $vgpr4
; %bb.11254:                            ;   in Loop: Header=BB6_8449 Depth=2
	s_and_not1_saveexec_b32 s28, s28
; %bb.11255:                            ;   in Loop: Header=BB6_8449 Depth=2
	v_cmp_lt_i32_e32 vcc_lo, -1, v4
	v_mov_b32_e32 v2, 0x7c
	s_delay_alu instid0(VALU_DEP_1)
	v_cndmask_b32_e32 v44, 0xfc, v2, vcc_lo
; %bb.11256:                            ;   in Loop: Header=BB6_8449 Depth=2
	s_or_b32 exec_lo, exec_lo, s28
.LBB6_11257:                            ;   in Loop: Header=BB6_8449 Depth=2
	s_delay_alu instid0(SALU_CYCLE_1) | instskip(SKIP_3) | instid1(VALU_DEP_2)
	s_or_b32 exec_lo, exec_lo, s7
	v_dual_mov_b32 v3, 0 :: v_dual_lshrrev_b32 v2, 16, v0
	v_mov_b32_e32 v4, 0
	s_mov_b32 s28, exec_lo
	v_and_b32_e32 v5, 0xff, v2
	s_delay_alu instid0(VALU_DEP_1)
	v_cmpx_ne_u16_e32 0, v5
	s_cbranch_execz .LBB6_11267
; %bb.11258:                            ;   in Loop: Header=BB6_8449 Depth=2
	v_bfrev_b32_e32 v4, 1
	s_mov_b32 s29, exec_lo
	v_cmpx_ne_u16_e32 0x80, v5
	s_cbranch_execz .LBB6_11266
; %bb.11259:                            ;   in Loop: Header=BB6_8449 Depth=2
	v_and_b32_e32 v4, 0x7c0000, v0
	v_bfe_u32 v5, v0, 16, 2
	s_delay_alu instid0(VALU_DEP_2) | instskip(SKIP_1) | instid1(SALU_CYCLE_1)
	v_cmp_ne_u32_e32 vcc_lo, 0x7c0000, v4
                                        ; implicit-def: $vgpr4
	s_and_saveexec_b32 s7, vcc_lo
	s_xor_b32 s7, exec_lo, s7
	s_cbranch_execz .LBB6_11263
; %bb.11260:                            ;   in Loop: Header=BB6_8449 Depth=2
	v_bfe_u32 v4, v0, 18, 5
	s_mov_b32 s40, exec_lo
	s_delay_alu instid0(VALU_DEP_1)
	v_cmpx_eq_u32_e32 0, v4
; %bb.11261:                            ;   in Loop: Header=BB6_8449 Depth=2
	v_clz_i32_u32_e32 v4, v5
	s_delay_alu instid0(VALU_DEP_1) | instskip(NEXT) | instid1(VALU_DEP_1)
	v_min_u32_e32 v4, 32, v4
	v_subrev_nc_u32_e32 v5, 29, v4
	s_delay_alu instid0(VALU_DEP_1) | instskip(NEXT) | instid1(VALU_DEP_1)
	v_lshlrev_b64_e32 v[62:63], v5, v[2:3]
	v_dual_sub_nc_u32 v4, 30, v4 :: v_dual_bitop2_b32 v5, 3, v62 bitop3:0x40
; %bb.11262:                            ;   in Loop: Header=BB6_8449 Depth=2
	s_or_b32 exec_lo, exec_lo, s40
	v_lshlrev_b32_e32 v2, 24, v2
	s_delay_alu instid0(VALU_DEP_1) | instskip(NEXT) | instid1(VALU_DEP_1)
	v_and_b32_e32 v2, 0x80000000, v2
	v_lshl_add_u32 v2, v4, 23, v2
	s_delay_alu instid0(VALU_DEP_1) | instskip(NEXT) | instid1(VALU_DEP_1)
	v_lshl_or_b32 v2, v5, 21, v2
                                        ; implicit-def: $vgpr5
	v_add_nc_u32_e32 v4, 0x38000000, v2
                                        ; implicit-def: $vgpr2
.LBB6_11263:                            ;   in Loop: Header=BB6_8449 Depth=2
	s_and_not1_saveexec_b32 s40, s7
; %bb.11264:                            ;   in Loop: Header=BB6_8449 Depth=2
	v_bfe_i32 v2, v2, 0, 8
	v_cmp_eq_u32_e32 vcc_lo, 0, v5
	s_delay_alu instid0(VALU_DEP_2) | instskip(SKIP_1) | instid1(VALU_DEP_1)
	v_cmp_lt_i16_e64 s7, -1, v2
	v_mov_b32_e32 v2, 0x7f800000
	v_cndmask_b32_e64 v2, 0xff800000, v2, s7
	s_delay_alu instid0(VALU_DEP_1)
	v_cndmask_b32_e32 v4, 0x7f800001, v2, vcc_lo
; %bb.11265:                            ;   in Loop: Header=BB6_8449 Depth=2
	s_or_b32 exec_lo, exec_lo, s40
.LBB6_11266:                            ;   in Loop: Header=BB6_8449 Depth=2
	s_delay_alu instid0(SALU_CYCLE_1)
	s_or_b32 exec_lo, exec_lo, s29
.LBB6_11267:                            ;   in Loop: Header=BB6_8449 Depth=2
	s_delay_alu instid0(SALU_CYCLE_1) | instskip(SKIP_2) | instid1(VALU_DEP_1)
	s_or_b32 exec_lo, exec_lo, s28
	v_lshrrev_b32_e32 v2, 16, v19
	s_mov_b32 s28, exec_lo
	v_and_b32_e32 v5, 0xff, v2
	s_delay_alu instid0(VALU_DEP_1)
	v_cmpx_ne_u16_e32 0, v5
	s_cbranch_execz .LBB6_11277
; %bb.11268:                            ;   in Loop: Header=BB6_8449 Depth=2
	v_bfrev_b32_e32 v3, 1
	s_mov_b32 s29, exec_lo
	v_cmpx_ne_u16_e32 0x80, v5
	s_cbranch_execz .LBB6_11276
; %bb.11269:                            ;   in Loop: Header=BB6_8449 Depth=2
	v_and_b32_e32 v3, 0x7c0000, v19
	v_bfe_u32 v5, v19, 16, 2
	s_delay_alu instid0(VALU_DEP_2) | instskip(SKIP_1) | instid1(SALU_CYCLE_1)
	v_cmp_ne_u32_e32 vcc_lo, 0x7c0000, v3
                                        ; implicit-def: $vgpr3
	s_and_saveexec_b32 s7, vcc_lo
	s_xor_b32 s7, exec_lo, s7
	s_cbranch_execz .LBB6_11273
; %bb.11270:                            ;   in Loop: Header=BB6_8449 Depth=2
	v_bfe_u32 v3, v19, 18, 5
	s_mov_b32 s40, exec_lo
	s_delay_alu instid0(VALU_DEP_1)
	v_cmpx_eq_u32_e32 0, v3
; %bb.11271:                            ;   in Loop: Header=BB6_8449 Depth=2
	v_clz_i32_u32_e32 v3, v5
	s_delay_alu instid0(VALU_DEP_1) | instskip(NEXT) | instid1(VALU_DEP_1)
	v_min_u32_e32 v3, 32, v3
	v_subrev_nc_u32_e32 v5, 29, v3
	s_delay_alu instid0(VALU_DEP_1) | instskip(NEXT) | instid1(VALU_DEP_1)
	v_lshlrev_b64_e32 v[62:63], v5, v[2:3]
	v_dual_sub_nc_u32 v3, 30, v3 :: v_dual_bitop2_b32 v5, 3, v62 bitop3:0x40
; %bb.11272:                            ;   in Loop: Header=BB6_8449 Depth=2
	s_or_b32 exec_lo, exec_lo, s40
	v_lshlrev_b32_e32 v2, 24, v2
	s_delay_alu instid0(VALU_DEP_1) | instskip(NEXT) | instid1(VALU_DEP_1)
	v_and_b32_e32 v2, 0x80000000, v2
	v_lshl_add_u32 v2, v3, 23, v2
	s_delay_alu instid0(VALU_DEP_1) | instskip(NEXT) | instid1(VALU_DEP_1)
	v_lshl_or_b32 v2, v5, 21, v2
                                        ; implicit-def: $vgpr5
	v_add_nc_u32_e32 v3, 0x38000000, v2
                                        ; implicit-def: $vgpr2
.LBB6_11273:                            ;   in Loop: Header=BB6_8449 Depth=2
	s_and_not1_saveexec_b32 s40, s7
; %bb.11274:                            ;   in Loop: Header=BB6_8449 Depth=2
	v_bfe_i32 v2, v2, 0, 8
	v_cmp_eq_u32_e32 vcc_lo, 0, v5
	s_delay_alu instid0(VALU_DEP_2) | instskip(SKIP_1) | instid1(VALU_DEP_1)
	v_cmp_lt_i16_e64 s7, -1, v2
	v_mov_b32_e32 v2, 0x7f800000
	v_cndmask_b32_e64 v2, 0xff800000, v2, s7
	s_delay_alu instid0(VALU_DEP_1)
	v_cndmask_b32_e32 v3, 0x7f800001, v2, vcc_lo
; %bb.11275:                            ;   in Loop: Header=BB6_8449 Depth=2
	s_or_b32 exec_lo, exec_lo, s40
.LBB6_11276:                            ;   in Loop: Header=BB6_8449 Depth=2
	s_delay_alu instid0(SALU_CYCLE_1)
	s_or_b32 exec_lo, exec_lo, s29
.LBB6_11277:                            ;   in Loop: Header=BB6_8449 Depth=2
	s_delay_alu instid0(SALU_CYCLE_1) | instskip(NEXT) | instid1(VALU_DEP_1)
	s_or_b32 exec_lo, exec_lo, s28
	v_dual_add_f32 v4, v4, v3 :: v_dual_mov_b32 v63, v1
	v_mov_b32_e32 v3, v1
                                        ; implicit-def: $vgpr56
	s_mov_b32 s7, exec_lo
	s_delay_alu instid0(VALU_DEP_2) | instskip(SKIP_2) | instid1(VALU_DEP_3)
	v_and_b32_e32 v62, 0x7f800000, v4
	v_and_b32_e32 v2, 0x7fffff, v4
	v_lshrrev_b32_e32 v5, 24, v4
	v_cmpx_ne_u64_e32 0x7f800000, v[62:63]
	s_xor_b32 s28, exec_lo, s7
	s_cbranch_execz .LBB6_11291
; %bb.11278:                            ;   in Loop: Header=BB6_8449 Depth=2
	v_and_b32_e32 v62, 0x7fffffff, v4
	v_mov_b32_e32 v63, v1
	v_and_b32_e32 v59, 0x80, v5
                                        ; implicit-def: $vgpr56
	s_mov_b32 s7, exec_lo
	s_delay_alu instid0(VALU_DEP_2)
	v_cmpx_gt_u64_e32 0x47600001, v[62:63]
	s_xor_b32 s29, exec_lo, s7
	s_cbranch_execz .LBB6_11288
; %bb.11279:                            ;   in Loop: Header=BB6_8449 Depth=2
	v_mov_b32_e32 v56, 0
	s_mov_b32 s40, exec_lo
	v_cmpx_ne_u32_e32 0, v4
	s_cbranch_execz .LBB6_11287
; %bb.11280:                            ;   in Loop: Header=BB6_8449 Depth=2
	v_bfe_u32 v56, v4, 23, 8
	v_or_b32_e32 v5, 0x800000, v2
	s_delay_alu instid0(VALU_DEP_2) | instskip(SKIP_2) | instid1(VALU_DEP_2)
	v_cmp_gt_u32_e64 s7, 0x72, v56
	v_sub_nc_u32_e32 v4, 0x71, v56
	v_cmp_eq_u32_e32 vcc_lo, 0, v56
	v_dual_cndmask_b32 v4, 0, v4, s7 :: v_dual_cndmask_b32 v2, v5, v2, vcc_lo
	s_delay_alu instid0(VALU_DEP_1) | instskip(NEXT) | instid1(VALU_DEP_1)
	v_cndmask_b32_e64 v61, v4, 0x70, vcc_lo
	v_dual_add_nc_u32 v4, 21, v61 :: v_dual_add_nc_u32 v62, 20, v61
	s_delay_alu instid0(VALU_DEP_1) | instskip(NEXT) | instid1(VALU_DEP_2)
	v_lshlrev_b64_e64 v[4:5], v4, -1
	v_lshlrev_b64_e64 v[62:63], v62, 1
	s_delay_alu instid0(VALU_DEP_2) | instskip(SKIP_1) | instid1(VALU_DEP_4)
	v_bfi_b32 v4, v4, 0, v2
	v_lshrrev_b64 v[2:3], v61, v[2:3]
	v_bfi_b32 v5, v5, 0, 0
	s_delay_alu instid0(VALU_DEP_1) | instskip(NEXT) | instid1(VALU_DEP_3)
	v_cmp_eq_u64_e64 s7, v[4:5], v[62:63]
	v_mov_b64_e32 v[4:5], v[2:3]
	s_and_saveexec_b32 s41, s7
; %bb.11281:                            ;   in Loop: Header=BB6_8449 Depth=2
	v_bfe_u32 v4, v2, 21, 1
	v_mov_b32_e32 v5, v1
	s_delay_alu instid0(VALU_DEP_1) | instskip(NEXT) | instid1(VALU_DEP_1)
	v_add_nc_u64_e32 v[4:5], v[2:3], v[4:5]
	v_add_nc_u64_e32 v[4:5], -1, v[4:5]
; %bb.11282:                            ;   in Loop: Header=BB6_8449 Depth=2
	s_or_b32 exec_lo, exec_lo, s41
	v_add_nc_u32_e32 v3, 0xffffff81, v56
	v_lshrrev_b32_e32 v5, 23, v2
	s_mov_b32 s7, exec_lo
	s_delay_alu instid0(VALU_DEP_2) | instskip(NEXT) | instid1(VALU_DEP_1)
	v_cndmask_b32_e64 v3, v3, 0xffffff82, vcc_lo
	v_add3_u32 v56, v61, v3, v5
	v_and_b32_e32 v3, 0x1fffff, v4
                                        ; implicit-def: $vgpr4
	s_delay_alu instid0(VALU_DEP_1) | instskip(SKIP_1) | instid1(VALU_DEP_2)
	v_dual_add_nc_u32 v5, 14, v56 :: v_dual_add_nc_u32 v2, v3, v2
	v_mov_b32_e32 v3, v1
	v_cmpx_ne_u32_e32 0, v5
	s_xor_b32 s7, exec_lo, s7
; %bb.11283:                            ;   in Loop: Header=BB6_8449 Depth=2
	s_delay_alu instid0(VALU_DEP_2) | instskip(SKIP_1) | instid1(VALU_DEP_1)
	v_cmp_lt_u64_e32 vcc_lo, 0xffffff, v[2:3]
	v_add_nc_u32_e32 v4, 15, v56
	v_cndmask_b32_e32 v4, v5, v4, vcc_lo
	v_cndmask_b32_e64 v5, 0, 1, vcc_lo
	s_delay_alu instid0(VALU_DEP_1)
	v_lshrrev_b64 v[2:3], v5, v[2:3]
; %bb.11284:                            ;   in Loop: Header=BB6_8449 Depth=2
	s_and_not1_saveexec_b32 s7, s7
; %bb.11285:                            ;   in Loop: Header=BB6_8449 Depth=2
	s_delay_alu instid0(VALU_DEP_1)
	v_bfe_u32 v4, v2, 23, 1
; %bb.11286:                            ;   in Loop: Header=BB6_8449 Depth=2
	s_or_b32 exec_lo, exec_lo, s7
	s_delay_alu instid0(VALU_DEP_2) | instskip(NEXT) | instid1(VALU_DEP_2)
	v_lshrrev_b64 v[2:3], 21, v[2:3]
	v_cmp_gt_i32_e32 vcc_lo, 32, v4
	v_min_i32_e32 v5, 31, v4
	v_cmp_eq_u32_e64 s7, 0, v4
	s_delay_alu instid0(VALU_DEP_2) | instskip(SKIP_1) | instid1(VALU_DEP_2)
	v_dual_cndmask_b32 v3, 0, v3, vcc_lo :: v_dual_lshlrev_b32 v5, 2, v5
	v_cndmask_b32_e32 v2, 3, v2, vcc_lo
	v_and_b32_e32 v5, 0xfc, v5
	s_delay_alu instid0(VALU_DEP_2) | instskip(NEXT) | instid1(VALU_DEP_2)
	v_cmp_eq_u64_e32 vcc_lo, 0, v[2:3]
	v_and_or_b32 v2, v2, 3, v5
	s_and_b32 s7, s7, vcc_lo
	s_delay_alu instid0(VALU_DEP_1) | instid1(SALU_CYCLE_1)
	v_cndmask_b32_e64 v2, v2, 0, s7
	s_delay_alu instid0(VALU_DEP_1)
	v_or_b32_e32 v56, v2, v59
.LBB6_11287:                            ;   in Loop: Header=BB6_8449 Depth=2
	s_or_b32 exec_lo, exec_lo, s40
                                        ; implicit-def: $vgpr59
.LBB6_11288:                            ;   in Loop: Header=BB6_8449 Depth=2
	s_and_not1_saveexec_b32 s7, s29
; %bb.11289:                            ;   in Loop: Header=BB6_8449 Depth=2
	v_or_b32_e32 v56, 0x7b, v59
; %bb.11290:                            ;   in Loop: Header=BB6_8449 Depth=2
	s_or_b32 exec_lo, exec_lo, s7
                                        ; implicit-def: $vgpr4
                                        ; implicit-def: $vgpr2_vgpr3
                                        ; implicit-def: $vgpr5
.LBB6_11291:                            ;   in Loop: Header=BB6_8449 Depth=2
	s_and_not1_saveexec_b32 s7, s28
	s_cbranch_execz .LBB6_11297
; %bb.11292:                            ;   in Loop: Header=BB6_8449 Depth=2
	s_mov_b32 s28, exec_lo
                                        ; implicit-def: $vgpr56
	v_cmpx_ne_u64_e32 0, v[2:3]
	s_xor_b32 s28, exec_lo, s28
; %bb.11293:                            ;   in Loop: Header=BB6_8449 Depth=2
	v_or_b32_e32 v56, 0x7f, v5
                                        ; implicit-def: $vgpr4
; %bb.11294:                            ;   in Loop: Header=BB6_8449 Depth=2
	s_and_not1_saveexec_b32 s28, s28
; %bb.11295:                            ;   in Loop: Header=BB6_8449 Depth=2
	v_cmp_lt_i32_e32 vcc_lo, -1, v4
	v_mov_b32_e32 v2, 0x7c
	s_delay_alu instid0(VALU_DEP_1)
	v_cndmask_b32_e32 v56, 0xfc, v2, vcc_lo
; %bb.11296:                            ;   in Loop: Header=BB6_8449 Depth=2
	s_or_b32 exec_lo, exec_lo, s28
.LBB6_11297:                            ;   in Loop: Header=BB6_8449 Depth=2
	s_delay_alu instid0(SALU_CYCLE_1)
	s_or_b32 exec_lo, exec_lo, s7
	v_dual_mov_b32 v3, 0 :: v_dual_mov_b32 v4, 0
	s_mov_b32 s28, exec_lo
	v_cmpx_lt_u32_e32 0xffffff, v0
	s_cbranch_execz .LBB6_11307
; %bb.11298:                            ;   in Loop: Header=BB6_8449 Depth=2
	v_lshrrev_b32_e32 v2, 24, v0
	v_bfrev_b32_e32 v4, 1
	s_mov_b32 s29, exec_lo
	s_delay_alu instid0(VALU_DEP_2)
	v_cmpx_ne_u32_e32 0x80, v2
	s_cbranch_execz .LBB6_11306
; %bb.11299:                            ;   in Loop: Header=BB6_8449 Depth=2
	v_and_b32_e32 v4, 0x7c000000, v0
	v_bfe_u32 v5, v0, 24, 2
	s_delay_alu instid0(VALU_DEP_2) | instskip(SKIP_1) | instid1(SALU_CYCLE_1)
	v_cmp_ne_u32_e32 vcc_lo, 0x7c000000, v4
                                        ; implicit-def: $vgpr4
	s_and_saveexec_b32 s7, vcc_lo
	s_xor_b32 s7, exec_lo, s7
	s_cbranch_execz .LBB6_11303
; %bb.11300:                            ;   in Loop: Header=BB6_8449 Depth=2
	v_bfe_u32 v4, v0, 26, 5
	s_mov_b32 s40, exec_lo
	s_delay_alu instid0(VALU_DEP_1)
	v_cmpx_eq_u32_e32 0, v4
; %bb.11301:                            ;   in Loop: Header=BB6_8449 Depth=2
	v_clz_i32_u32_e32 v4, v5
	s_delay_alu instid0(VALU_DEP_1) | instskip(NEXT) | instid1(VALU_DEP_1)
	v_min_u32_e32 v4, 32, v4
	v_subrev_nc_u32_e32 v5, 29, v4
	s_delay_alu instid0(VALU_DEP_1) | instskip(NEXT) | instid1(VALU_DEP_1)
	v_lshlrev_b64_e32 v[62:63], v5, v[2:3]
	v_dual_sub_nc_u32 v4, 30, v4 :: v_dual_bitop2_b32 v5, 3, v62 bitop3:0x40
; %bb.11302:                            ;   in Loop: Header=BB6_8449 Depth=2
	s_or_b32 exec_lo, exec_lo, s40
	v_and_b32_e32 v0, 0x80000000, v0
	s_delay_alu instid0(VALU_DEP_1) | instskip(NEXT) | instid1(VALU_DEP_1)
	v_lshl_add_u32 v0, v4, 23, v0
	v_lshl_or_b32 v0, v5, 21, v0
                                        ; implicit-def: $vgpr5
	s_delay_alu instid0(VALU_DEP_1)
	v_add_nc_u32_e32 v4, 0x38000000, v0
.LBB6_11303:                            ;   in Loop: Header=BB6_8449 Depth=2
	s_and_not1_saveexec_b32 s40, s7
; %bb.11304:                            ;   in Loop: Header=BB6_8449 Depth=2
	v_cmp_lt_i32_e64 s7, -1, v0
	v_mov_b32_e32 v0, 0x7f800000
	v_cmp_eq_u32_e32 vcc_lo, 0, v5
	s_delay_alu instid0(VALU_DEP_2) | instskip(NEXT) | instid1(VALU_DEP_1)
	v_cndmask_b32_e64 v0, 0xff800000, v0, s7
	v_cndmask_b32_e32 v4, 0x7f800001, v0, vcc_lo
; %bb.11305:                            ;   in Loop: Header=BB6_8449 Depth=2
	s_or_b32 exec_lo, exec_lo, s40
.LBB6_11306:                            ;   in Loop: Header=BB6_8449 Depth=2
	s_delay_alu instid0(SALU_CYCLE_1)
	s_or_b32 exec_lo, exec_lo, s29
.LBB6_11307:                            ;   in Loop: Header=BB6_8449 Depth=2
	s_delay_alu instid0(SALU_CYCLE_1) | instskip(NEXT) | instid1(SALU_CYCLE_1)
	s_or_b32 exec_lo, exec_lo, s28
	s_mov_b32 s28, exec_lo
	v_cmpx_lt_u64_e64 s[12:13], v[18:19]
	s_cbranch_execz .LBB6_11317
; %bb.11308:                            ;   in Loop: Header=BB6_8449 Depth=2
	v_lshrrev_b32_e32 v0, 24, v19
	v_bfrev_b32_e32 v3, 1
	s_mov_b32 s29, exec_lo
	s_delay_alu instid0(VALU_DEP_2)
	v_cmpx_ne_u32_e32 0x80, v0
	s_cbranch_execz .LBB6_11316
; %bb.11309:                            ;   in Loop: Header=BB6_8449 Depth=2
	v_and_b32_e32 v3, 0x7c000000, v19
	v_bfe_u32 v2, v19, 24, 2
	s_delay_alu instid0(VALU_DEP_2) | instskip(SKIP_1) | instid1(SALU_CYCLE_1)
	v_cmp_ne_u32_e32 vcc_lo, 0x7c000000, v3
                                        ; implicit-def: $vgpr3
	s_and_saveexec_b32 s7, vcc_lo
	s_xor_b32 s7, exec_lo, s7
	s_cbranch_execz .LBB6_11313
; %bb.11310:                            ;   in Loop: Header=BB6_8449 Depth=2
	v_bfe_u32 v3, v19, 26, 5
	s_mov_b32 s40, exec_lo
	s_delay_alu instid0(VALU_DEP_1)
	v_cmpx_eq_u32_e32 0, v3
; %bb.11311:                            ;   in Loop: Header=BB6_8449 Depth=2
	v_clz_i32_u32_e32 v2, v2
	s_delay_alu instid0(VALU_DEP_1) | instskip(NEXT) | instid1(VALU_DEP_1)
	v_min_u32_e32 v5, 32, v2
	v_subrev_nc_u32_e32 v2, 29, v5
	s_delay_alu instid0(VALU_DEP_1) | instskip(NEXT) | instid1(VALU_DEP_1)
	v_lshlrev_b64_e32 v[2:3], v2, v[0:1]
	v_dual_sub_nc_u32 v3, 30, v5 :: v_dual_bitop2_b32 v2, 3, v2 bitop3:0x40
; %bb.11312:                            ;   in Loop: Header=BB6_8449 Depth=2
	s_or_b32 exec_lo, exec_lo, s40
	v_and_b32_e32 v0, 0x80000000, v19
	s_delay_alu instid0(VALU_DEP_1) | instskip(NEXT) | instid1(VALU_DEP_1)
	v_lshl_add_u32 v0, v3, 23, v0
	v_lshl_or_b32 v0, v2, 21, v0
                                        ; implicit-def: $vgpr2
	s_delay_alu instid0(VALU_DEP_1)
	v_add_nc_u32_e32 v3, 0x38000000, v0
.LBB6_11313:                            ;   in Loop: Header=BB6_8449 Depth=2
	s_and_not1_saveexec_b32 s40, s7
; %bb.11314:                            ;   in Loop: Header=BB6_8449 Depth=2
	v_cmp_lt_i64_e64 s7, -1, v[18:19]
	v_mov_b32_e32 v0, 0x7f800000
	v_cmp_eq_u32_e32 vcc_lo, 0, v2
	s_delay_alu instid0(VALU_DEP_2) | instskip(NEXT) | instid1(VALU_DEP_1)
	v_cndmask_b32_e64 v0, 0xff800000, v0, s7
	v_cndmask_b32_e32 v3, 0x7f800001, v0, vcc_lo
; %bb.11315:                            ;   in Loop: Header=BB6_8449 Depth=2
	s_or_b32 exec_lo, exec_lo, s40
.LBB6_11316:                            ;   in Loop: Header=BB6_8449 Depth=2
	s_delay_alu instid0(SALU_CYCLE_1)
	s_or_b32 exec_lo, exec_lo, s29
.LBB6_11317:                            ;   in Loop: Header=BB6_8449 Depth=2
	s_delay_alu instid0(SALU_CYCLE_1) | instskip(NEXT) | instid1(VALU_DEP_1)
	s_or_b32 exec_lo, exec_lo, s28
	v_dual_add_f32 v2, v4, v3 :: v_dual_mov_b32 v5, v1
                                        ; implicit-def: $vgpr18
	s_mov_b32 s7, exec_lo
	s_delay_alu instid0(VALU_DEP_1) | instskip(SKIP_2) | instid1(VALU_DEP_3)
	v_and_b32_e32 v4, 0x7f800000, v2
	v_and_b32_e32 v0, 0x7fffff, v2
	v_lshrrev_b32_e32 v3, 24, v2
	v_cmpx_ne_u64_e32 0x7f800000, v[4:5]
	s_xor_b32 s28, exec_lo, s7
	s_cbranch_execz .LBB6_11331
; %bb.11318:                            ;   in Loop: Header=BB6_8449 Depth=2
	v_and_b32_e32 v4, 0x7fffffff, v2
	v_mov_b32_e32 v5, v1
	v_and_b32_e32 v19, 0x80, v3
                                        ; implicit-def: $vgpr18
	s_mov_b32 s7, exec_lo
	s_delay_alu instid0(VALU_DEP_2)
	v_cmpx_gt_u64_e32 0x47600001, v[4:5]
	s_xor_b32 s29, exec_lo, s7
	s_cbranch_execz .LBB6_11328
; %bb.11319:                            ;   in Loop: Header=BB6_8449 Depth=2
	v_mov_b32_e32 v18, 0
	s_mov_b32 s40, exec_lo
	v_cmpx_ne_u32_e32 0, v2
	s_cbranch_execz .LBB6_11327
; %bb.11320:                            ;   in Loop: Header=BB6_8449 Depth=2
	v_bfe_u32 v18, v2, 23, 8
	v_or_b32_e32 v3, 0x800000, v0
	s_delay_alu instid0(VALU_DEP_2) | instskip(SKIP_2) | instid1(VALU_DEP_2)
	v_cmp_gt_u32_e64 s7, 0x72, v18
	v_sub_nc_u32_e32 v2, 0x71, v18
	v_cmp_eq_u32_e32 vcc_lo, 0, v18
	v_cndmask_b32_e64 v2, 0, v2, s7
	s_delay_alu instid0(VALU_DEP_1) | instskip(SKIP_1) | instid1(VALU_DEP_2)
	v_cndmask_b32_e64 v59, v2, 0x70, vcc_lo
	v_dual_cndmask_b32 v2, v3, v0 :: v_dual_mov_b32 v3, v1
	v_add_nc_u32_e32 v0, 21, v59
	s_delay_alu instid0(VALU_DEP_1) | instskip(SKIP_1) | instid1(VALU_DEP_1)
	v_lshlrev_b64_e64 v[4:5], v0, -1
	v_add_nc_u32_e32 v0, 20, v59
	v_lshlrev_b64_e64 v[62:63], v0, 1
	s_delay_alu instid0(VALU_DEP_3) | instskip(SKIP_2) | instid1(VALU_DEP_1)
	v_bfi_b32 v4, v4, 0, v2
	v_lshrrev_b64 v[2:3], v59, v[2:3]
	v_bfi_b32 v5, v5, 0, 0
	v_cmp_eq_u64_e64 s7, v[4:5], v[62:63]
	s_delay_alu instid0(VALU_DEP_3)
	v_mov_b64_e32 v[4:5], v[2:3]
	s_and_saveexec_b32 s41, s7
; %bb.11321:                            ;   in Loop: Header=BB6_8449 Depth=2
	v_bfe_u32 v4, v2, 21, 1
	v_mov_b32_e32 v5, v1
	s_delay_alu instid0(VALU_DEP_1) | instskip(NEXT) | instid1(VALU_DEP_1)
	v_add_nc_u64_e32 v[4:5], v[2:3], v[4:5]
	v_add_nc_u64_e32 v[4:5], -1, v[4:5]
; %bb.11322:                            ;   in Loop: Header=BB6_8449 Depth=2
	s_or_b32 exec_lo, exec_lo, s41
	v_add_nc_u32_e32 v0, 0xffffff81, v18
	v_lshrrev_b32_e32 v3, 23, v2
	s_mov_b32 s7, exec_lo
	s_delay_alu instid0(VALU_DEP_2) | instskip(NEXT) | instid1(VALU_DEP_1)
	v_cndmask_b32_e64 v0, v0, 0xffffff82, vcc_lo
	v_add3_u32 v18, v59, v0, v3
	v_and_b32_e32 v0, 0x1fffff, v4
                                        ; implicit-def: $vgpr4
	s_delay_alu instid0(VALU_DEP_2) | instskip(NEXT) | instid1(VALU_DEP_2)
	v_add_nc_u32_e32 v5, 14, v18
	v_add_nc_u32_e32 v0, v0, v2
                                        ; implicit-def: $vgpr2_vgpr3
	s_delay_alu instid0(VALU_DEP_2)
	v_cmpx_ne_u32_e32 0, v5
	s_xor_b32 s7, exec_lo, s7
; %bb.11323:                            ;   in Loop: Header=BB6_8449 Depth=2
	s_delay_alu instid0(VALU_DEP_2) | instskip(SKIP_1) | instid1(VALU_DEP_1)
	v_cmp_lt_u64_e32 vcc_lo, 0xffffff, v[0:1]
	v_add_nc_u32_e32 v2, 15, v18
	v_cndmask_b32_e32 v4, v5, v2, vcc_lo
	v_cndmask_b32_e64 v2, 0, 1, vcc_lo
	s_delay_alu instid0(VALU_DEP_1)
	v_lshrrev_b64 v[2:3], v2, v[0:1]
; %bb.11324:                            ;   in Loop: Header=BB6_8449 Depth=2
	s_and_not1_saveexec_b32 s7, s7
; %bb.11325:                            ;   in Loop: Header=BB6_8449 Depth=2
	v_mov_b64_e32 v[2:3], v[0:1]
	v_bfe_u32 v4, v0, 23, 1
; %bb.11326:                            ;   in Loop: Header=BB6_8449 Depth=2
	s_or_b32 exec_lo, exec_lo, s7
	s_delay_alu instid0(VALU_DEP_2) | instskip(NEXT) | instid1(VALU_DEP_2)
	v_lshrrev_b64 v[2:3], 21, v[2:3]
	v_cmp_gt_i32_e32 vcc_lo, 32, v4
	v_min_i32_e32 v0, 31, v4
	v_cmp_eq_u32_e64 s7, 0, v4
	s_delay_alu instid0(VALU_DEP_2) | instskip(SKIP_1) | instid1(VALU_DEP_2)
	v_dual_cndmask_b32 v3, 0, v3 :: v_dual_lshlrev_b32 v0, 2, v0
	v_cndmask_b32_e32 v2, 3, v2, vcc_lo
	v_and_b32_e32 v0, 0xfc, v0
	s_delay_alu instid0(VALU_DEP_2) | instskip(NEXT) | instid1(VALU_DEP_2)
	v_cmp_eq_u64_e32 vcc_lo, 0, v[2:3]
	v_and_or_b32 v0, v2, 3, v0
	s_and_b32 s7, s7, vcc_lo
	s_delay_alu instid0(VALU_DEP_1) | instid1(SALU_CYCLE_1)
	v_cndmask_b32_e64 v0, v0, 0, s7
	s_delay_alu instid0(VALU_DEP_1)
	v_or_b32_e32 v18, v0, v19
.LBB6_11327:                            ;   in Loop: Header=BB6_8449 Depth=2
	s_or_b32 exec_lo, exec_lo, s40
                                        ; implicit-def: $vgpr19
.LBB6_11328:                            ;   in Loop: Header=BB6_8449 Depth=2
	s_and_not1_saveexec_b32 s7, s29
; %bb.11329:                            ;   in Loop: Header=BB6_8449 Depth=2
	v_or_b32_e32 v18, 0x7b, v19
; %bb.11330:                            ;   in Loop: Header=BB6_8449 Depth=2
	s_or_b32 exec_lo, exec_lo, s7
                                        ; implicit-def: $vgpr2
                                        ; implicit-def: $vgpr3
.LBB6_11331:                            ;   in Loop: Header=BB6_8449 Depth=2
	s_and_not1_saveexec_b32 s7, s28
	s_cbranch_execz .LBB6_11337
; %bb.11332:                            ;   in Loop: Header=BB6_8449 Depth=2
	s_mov_b32 s28, exec_lo
                                        ; implicit-def: $vgpr18
	v_cmpx_ne_u64_e32 0, v[0:1]
	s_xor_b32 s28, exec_lo, s28
; %bb.11333:                            ;   in Loop: Header=BB6_8449 Depth=2
	v_or_b32_e32 v18, 0x7f, v3
                                        ; implicit-def: $vgpr2
; %bb.11334:                            ;   in Loop: Header=BB6_8449 Depth=2
	s_and_not1_saveexec_b32 s28, s28
; %bb.11335:                            ;   in Loop: Header=BB6_8449 Depth=2
	v_cmp_lt_i32_e32 vcc_lo, -1, v2
	v_mov_b32_e32 v0, 0x7c
	s_delay_alu instid0(VALU_DEP_1)
	v_cndmask_b32_e32 v18, 0xfc, v0, vcc_lo
; %bb.11336:                            ;   in Loop: Header=BB6_8449 Depth=2
	s_or_b32 exec_lo, exec_lo, s28
.LBB6_11337:                            ;   in Loop: Header=BB6_8449 Depth=2
	s_delay_alu instid0(SALU_CYCLE_1) | instskip(SKIP_4) | instid1(VALU_DEP_2)
	s_or_b32 exec_lo, exec_lo, s7
	v_lshl_or_b32 v119, v119, 8, v116
	v_dual_lshlrev_b32 v0, 16, v43 :: v_dual_lshlrev_b32 v2, 24, v45
	s_mov_b32 s28, exec_lo
	v_mov_b32_e32 v3, 0
	v_or3_b32 v0, v0, v2, v119
	v_mov_b32_e32 v2, 0
	v_cmpx_ne_u32_e32 0, v116
	s_cbranch_execz .LBB6_11347
; %bb.11338:                            ;   in Loop: Header=BB6_8449 Depth=2
	v_bfrev_b32_e32 v3, 1
	s_mov_b32 s29, exec_lo
	v_cmpx_ne_u32_e32 0x80, v116
	s_cbranch_execz .LBB6_11346
; %bb.11339:                            ;   in Loop: Header=BB6_8449 Depth=2
	v_and_b32_e32 v3, 0x7c, v116
	v_and_b32_e32 v4, 3, v116
	s_delay_alu instid0(VALU_DEP_2) | instskip(SKIP_1) | instid1(SALU_CYCLE_1)
	v_cmp_ne_u32_e32 vcc_lo, 0x7c, v3
                                        ; implicit-def: $vgpr3
	s_and_saveexec_b32 s7, vcc_lo
	s_xor_b32 s7, exec_lo, s7
	s_cbranch_execz .LBB6_11343
; %bb.11340:                            ;   in Loop: Header=BB6_8449 Depth=2
	v_bfe_u32 v3, v116, 2, 5
	s_mov_b32 s40, exec_lo
	s_delay_alu instid0(VALU_DEP_1)
	v_cmpx_eq_u32_e32 0, v3
; %bb.11341:                            ;   in Loop: Header=BB6_8449 Depth=2
	v_clz_i32_u32_e32 v3, v4
	s_delay_alu instid0(VALU_DEP_1) | instskip(NEXT) | instid1(VALU_DEP_1)
	v_min_u32_e32 v3, 32, v3
	v_subrev_nc_u32_e32 v4, 29, v3
	s_delay_alu instid0(VALU_DEP_1) | instskip(NEXT) | instid1(VALU_DEP_1)
	v_lshlrev_b64_e32 v[4:5], v4, v[0:1]
	v_dual_sub_nc_u32 v3, 30, v3 :: v_dual_bitop2_b32 v4, 3, v4 bitop3:0x40
; %bb.11342:                            ;   in Loop: Header=BB6_8449 Depth=2
	s_or_b32 exec_lo, exec_lo, s40
	v_lshlrev_b32_e32 v5, 24, v116
                                        ; implicit-def: $vgpr116
	s_delay_alu instid0(VALU_DEP_1) | instskip(NEXT) | instid1(VALU_DEP_1)
	v_and_b32_e32 v5, 0x80000000, v5
	v_lshl_add_u32 v3, v3, 23, v5
	s_delay_alu instid0(VALU_DEP_1) | instskip(NEXT) | instid1(VALU_DEP_1)
	v_lshl_or_b32 v3, v4, 21, v3
                                        ; implicit-def: $vgpr4
	v_add_nc_u32_e32 v3, 0x38000000, v3
.LBB6_11343:                            ;   in Loop: Header=BB6_8449 Depth=2
	s_and_not1_saveexec_b32 s40, s7
; %bb.11344:                            ;   in Loop: Header=BB6_8449 Depth=2
	v_and_b32_e32 v3, 0x80, v116
	v_cmp_eq_u32_e32 vcc_lo, 0, v4
	s_delay_alu instid0(VALU_DEP_2) | instskip(SKIP_1) | instid1(VALU_DEP_1)
	v_cmp_eq_u32_e64 s7, 0, v3
	v_mov_b32_e32 v3, 0x7f800000
	v_cndmask_b32_e64 v3, 0xff800000, v3, s7
	s_delay_alu instid0(VALU_DEP_1)
	v_cndmask_b32_e32 v3, 0x7f800001, v3, vcc_lo
; %bb.11345:                            ;   in Loop: Header=BB6_8449 Depth=2
	s_or_b32 exec_lo, exec_lo, s40
.LBB6_11346:                            ;   in Loop: Header=BB6_8449 Depth=2
	s_delay_alu instid0(SALU_CYCLE_1)
	s_or_b32 exec_lo, exec_lo, s29
.LBB6_11347:                            ;   in Loop: Header=BB6_8449 Depth=2
	s_delay_alu instid0(SALU_CYCLE_1) | instskip(SKIP_2) | instid1(VALU_DEP_1)
	s_or_b32 exec_lo, exec_lo, s28
	v_and_b32_e32 v4, 0xff, v20
	s_mov_b32 s28, exec_lo
	v_cmpx_ne_u16_e32 0, v4
	s_cbranch_execz .LBB6_11357
; %bb.11348:                            ;   in Loop: Header=BB6_8449 Depth=2
	v_bfe_i32 v5, v20, 0, 8
	v_bfrev_b32_e32 v2, 1
	s_mov_b32 s29, exec_lo
	s_delay_alu instid0(VALU_DEP_2)
	v_cmpx_ne_u16_e32 0xff80, v5
	s_cbranch_execz .LBB6_11356
; %bb.11349:                            ;   in Loop: Header=BB6_8449 Depth=2
	v_and_b32_e32 v2, 0x7c, v20
	v_and_b32_e32 v4, 3, v20
	s_delay_alu instid0(VALU_DEP_2) | instskip(SKIP_1) | instid1(SALU_CYCLE_1)
	v_cmp_ne_u32_e32 vcc_lo, 0x7c, v2
                                        ; implicit-def: $vgpr2
	s_and_saveexec_b32 s7, vcc_lo
	s_xor_b32 s7, exec_lo, s7
	s_cbranch_execz .LBB6_11353
; %bb.11350:                            ;   in Loop: Header=BB6_8449 Depth=2
	v_bfe_u32 v2, v20, 2, 5
	s_mov_b32 s40, exec_lo
	s_delay_alu instid0(VALU_DEP_1)
	v_cmpx_eq_u32_e32 0, v2
; %bb.11351:                            ;   in Loop: Header=BB6_8449 Depth=2
	v_clz_i32_u32_e32 v2, v4
	s_delay_alu instid0(VALU_DEP_1) | instskip(NEXT) | instid1(VALU_DEP_1)
	v_min_u32_e32 v2, 32, v2
	v_subrev_nc_u32_e32 v4, 29, v2
	s_delay_alu instid0(VALU_DEP_1) | instskip(NEXT) | instid1(VALU_DEP_1)
	v_lshlrev_b64_e32 v[4:5], v4, v[20:21]
	v_dual_sub_nc_u32 v2, 30, v2 :: v_dual_bitop2_b32 v4, 3, v4 bitop3:0x40
; %bb.11352:                            ;   in Loop: Header=BB6_8449 Depth=2
	s_or_b32 exec_lo, exec_lo, s40
	v_lshlrev_b32_e32 v5, 24, v20
	s_delay_alu instid0(VALU_DEP_1) | instskip(NEXT) | instid1(VALU_DEP_1)
	v_and_b32_e32 v5, 0x80000000, v5
	v_lshl_add_u32 v2, v2, 23, v5
                                        ; implicit-def: $vgpr5
	s_delay_alu instid0(VALU_DEP_1) | instskip(NEXT) | instid1(VALU_DEP_1)
	v_lshl_or_b32 v2, v4, 21, v2
                                        ; implicit-def: $vgpr4
	v_add_nc_u32_e32 v2, 0x38000000, v2
.LBB6_11353:                            ;   in Loop: Header=BB6_8449 Depth=2
	s_and_not1_saveexec_b32 s40, s7
; %bb.11354:                            ;   in Loop: Header=BB6_8449 Depth=2
	v_cmp_lt_i16_e64 s7, -1, v5
	v_mov_b32_e32 v2, 0x7f800000
	v_cmp_eq_u32_e32 vcc_lo, 0, v4
	s_delay_alu instid0(VALU_DEP_2) | instskip(NEXT) | instid1(VALU_DEP_1)
	v_cndmask_b32_e64 v2, 0xff800000, v2, s7
	v_cndmask_b32_e32 v2, 0x7f800001, v2, vcc_lo
; %bb.11355:                            ;   in Loop: Header=BB6_8449 Depth=2
	s_or_b32 exec_lo, exec_lo, s40
.LBB6_11356:                            ;   in Loop: Header=BB6_8449 Depth=2
	s_delay_alu instid0(SALU_CYCLE_1)
	s_or_b32 exec_lo, exec_lo, s29
.LBB6_11357:                            ;   in Loop: Header=BB6_8449 Depth=2
	s_delay_alu instid0(SALU_CYCLE_1) | instskip(NEXT) | instid1(VALU_DEP_1)
	s_or_b32 exec_lo, exec_lo, s28
	v_dual_add_f32 v4, v3, v2 :: v_dual_mov_b32 v63, v1
	v_mov_b32_e32 v3, v1
                                        ; implicit-def: $vgpr19
	s_mov_b32 s7, exec_lo
	s_delay_alu instid0(VALU_DEP_2) | instskip(SKIP_2) | instid1(VALU_DEP_3)
	v_and_b32_e32 v62, 0x7f800000, v4
	v_and_b32_e32 v2, 0x7fffff, v4
	v_lshrrev_b32_e32 v5, 24, v4
	v_cmpx_ne_u64_e32 0x7f800000, v[62:63]
	s_xor_b32 s28, exec_lo, s7
	s_cbranch_execz .LBB6_11371
; %bb.11358:                            ;   in Loop: Header=BB6_8449 Depth=2
	v_and_b32_e32 v62, 0x7fffffff, v4
	v_mov_b32_e32 v63, v1
	v_and_b32_e32 v116, 0x80, v5
                                        ; implicit-def: $vgpr19
	s_mov_b32 s7, exec_lo
	s_delay_alu instid0(VALU_DEP_2)
	v_cmpx_gt_u64_e32 0x47600001, v[62:63]
	s_xor_b32 s29, exec_lo, s7
	s_cbranch_execz .LBB6_11368
; %bb.11359:                            ;   in Loop: Header=BB6_8449 Depth=2
	v_mov_b32_e32 v19, 0
	s_mov_b32 s40, exec_lo
	v_cmpx_ne_u32_e32 0, v4
	s_cbranch_execz .LBB6_11367
; %bb.11360:                            ;   in Loop: Header=BB6_8449 Depth=2
	v_bfe_u32 v19, v4, 23, 8
	v_or_b32_e32 v5, 0x800000, v2
	s_delay_alu instid0(VALU_DEP_2) | instskip(SKIP_2) | instid1(VALU_DEP_2)
	v_cmp_gt_u32_e64 s7, 0x72, v19
	v_sub_nc_u32_e32 v4, 0x71, v19
	v_cmp_eq_u32_e32 vcc_lo, 0, v19
	v_dual_cndmask_b32 v4, 0, v4, s7 :: v_dual_cndmask_b32 v2, v5, v2, vcc_lo
	s_delay_alu instid0(VALU_DEP_1) | instskip(NEXT) | instid1(VALU_DEP_1)
	v_cndmask_b32_e64 v43, v4, 0x70, vcc_lo
	v_dual_add_nc_u32 v4, 21, v43 :: v_dual_add_nc_u32 v45, 20, v43
	s_delay_alu instid0(VALU_DEP_1) | instskip(NEXT) | instid1(VALU_DEP_2)
	v_lshlrev_b64_e64 v[4:5], v4, -1
	v_lshlrev_b64_e64 v[62:63], v45, 1
	s_delay_alu instid0(VALU_DEP_2) | instskip(SKIP_1) | instid1(VALU_DEP_4)
	v_bfi_b32 v4, v4, 0, v2
	v_lshrrev_b64 v[2:3], v43, v[2:3]
	v_bfi_b32 v5, v5, 0, 0
	s_delay_alu instid0(VALU_DEP_1) | instskip(NEXT) | instid1(VALU_DEP_3)
	v_cmp_eq_u64_e64 s7, v[4:5], v[62:63]
	v_mov_b64_e32 v[4:5], v[2:3]
	s_and_saveexec_b32 s41, s7
; %bb.11361:                            ;   in Loop: Header=BB6_8449 Depth=2
	v_bfe_u32 v4, v2, 21, 1
	v_mov_b32_e32 v5, v1
	s_delay_alu instid0(VALU_DEP_1) | instskip(NEXT) | instid1(VALU_DEP_1)
	v_add_nc_u64_e32 v[4:5], v[2:3], v[4:5]
	v_add_nc_u64_e32 v[4:5], -1, v[4:5]
; %bb.11362:                            ;   in Loop: Header=BB6_8449 Depth=2
	s_or_b32 exec_lo, exec_lo, s41
	v_add_nc_u32_e32 v3, 0xffffff81, v19
	v_lshrrev_b32_e32 v5, 23, v2
	s_mov_b32 s7, exec_lo
	s_delay_alu instid0(VALU_DEP_2) | instskip(NEXT) | instid1(VALU_DEP_1)
	v_cndmask_b32_e64 v3, v3, 0xffffff82, vcc_lo
	v_add3_u32 v19, v43, v3, v5
	v_and_b32_e32 v3, 0x1fffff, v4
                                        ; implicit-def: $vgpr4
	s_delay_alu instid0(VALU_DEP_1) | instskip(SKIP_1) | instid1(VALU_DEP_2)
	v_dual_add_nc_u32 v5, 14, v19 :: v_dual_add_nc_u32 v2, v3, v2
	v_mov_b32_e32 v3, v1
	v_cmpx_ne_u32_e32 0, v5
	s_xor_b32 s7, exec_lo, s7
; %bb.11363:                            ;   in Loop: Header=BB6_8449 Depth=2
	s_delay_alu instid0(VALU_DEP_2) | instskip(SKIP_1) | instid1(VALU_DEP_1)
	v_cmp_lt_u64_e32 vcc_lo, 0xffffff, v[2:3]
	v_add_nc_u32_e32 v4, 15, v19
	v_cndmask_b32_e32 v4, v5, v4, vcc_lo
	v_cndmask_b32_e64 v5, 0, 1, vcc_lo
	s_delay_alu instid0(VALU_DEP_1)
	v_lshrrev_b64 v[2:3], v5, v[2:3]
; %bb.11364:                            ;   in Loop: Header=BB6_8449 Depth=2
	s_and_not1_saveexec_b32 s7, s7
; %bb.11365:                            ;   in Loop: Header=BB6_8449 Depth=2
	s_delay_alu instid0(VALU_DEP_1)
	v_bfe_u32 v4, v2, 23, 1
; %bb.11366:                            ;   in Loop: Header=BB6_8449 Depth=2
	s_or_b32 exec_lo, exec_lo, s7
	s_delay_alu instid0(VALU_DEP_2) | instskip(NEXT) | instid1(VALU_DEP_2)
	v_lshrrev_b64 v[2:3], 21, v[2:3]
	v_cmp_gt_i32_e32 vcc_lo, 32, v4
	v_min_i32_e32 v5, 31, v4
	v_cmp_eq_u32_e64 s7, 0, v4
	s_delay_alu instid0(VALU_DEP_2) | instskip(SKIP_1) | instid1(VALU_DEP_2)
	v_dual_cndmask_b32 v3, 0, v3, vcc_lo :: v_dual_lshlrev_b32 v5, 2, v5
	v_cndmask_b32_e32 v2, 3, v2, vcc_lo
	v_and_b32_e32 v5, 0xfc, v5
	s_delay_alu instid0(VALU_DEP_2) | instskip(NEXT) | instid1(VALU_DEP_2)
	v_cmp_eq_u64_e32 vcc_lo, 0, v[2:3]
	v_and_or_b32 v2, v2, 3, v5
	s_and_b32 s7, s7, vcc_lo
	s_delay_alu instid0(VALU_DEP_1) | instid1(SALU_CYCLE_1)
	v_cndmask_b32_e64 v2, v2, 0, s7
	s_delay_alu instid0(VALU_DEP_1)
	v_or_b32_e32 v19, v2, v116
.LBB6_11367:                            ;   in Loop: Header=BB6_8449 Depth=2
	s_or_b32 exec_lo, exec_lo, s40
                                        ; implicit-def: $vgpr116
.LBB6_11368:                            ;   in Loop: Header=BB6_8449 Depth=2
	s_and_not1_saveexec_b32 s7, s29
; %bb.11369:                            ;   in Loop: Header=BB6_8449 Depth=2
	v_or_b32_e32 v19, 0x7b, v116
; %bb.11370:                            ;   in Loop: Header=BB6_8449 Depth=2
	s_or_b32 exec_lo, exec_lo, s7
                                        ; implicit-def: $vgpr4
                                        ; implicit-def: $vgpr2_vgpr3
                                        ; implicit-def: $vgpr5
.LBB6_11371:                            ;   in Loop: Header=BB6_8449 Depth=2
	s_and_not1_saveexec_b32 s7, s28
	s_cbranch_execz .LBB6_11377
; %bb.11372:                            ;   in Loop: Header=BB6_8449 Depth=2
	s_mov_b32 s28, exec_lo
                                        ; implicit-def: $vgpr19
	v_cmpx_ne_u64_e32 0, v[2:3]
	s_xor_b32 s28, exec_lo, s28
; %bb.11373:                            ;   in Loop: Header=BB6_8449 Depth=2
	v_or_b32_e32 v19, 0x7f, v5
                                        ; implicit-def: $vgpr4
; %bb.11374:                            ;   in Loop: Header=BB6_8449 Depth=2
	s_and_not1_saveexec_b32 s28, s28
; %bb.11375:                            ;   in Loop: Header=BB6_8449 Depth=2
	v_cmp_lt_i32_e32 vcc_lo, -1, v4
	v_mov_b32_e32 v2, 0x7c
	s_delay_alu instid0(VALU_DEP_1)
	v_cndmask_b32_e32 v19, 0xfc, v2, vcc_lo
; %bb.11376:                            ;   in Loop: Header=BB6_8449 Depth=2
	s_or_b32 exec_lo, exec_lo, s28
.LBB6_11377:                            ;   in Loop: Header=BB6_8449 Depth=2
	s_delay_alu instid0(SALU_CYCLE_1) | instskip(SKIP_3) | instid1(VALU_DEP_2)
	s_or_b32 exec_lo, exec_lo, s7
	v_lshrrev_b16 v2, 8, v119
	v_dual_mov_b32 v4, 0 :: v_dual_mov_b32 v5, 0
	s_mov_b32 s28, exec_lo
	v_cmpx_ne_u16_e32 0, v2
	s_cbranch_execz .LBB6_11387
; %bb.11378:                            ;   in Loop: Header=BB6_8449 Depth=2
	v_bfrev_b32_e32 v5, 1
	s_mov_b32 s29, exec_lo
	v_cmpx_ne_u16_e32 0x80, v2
	s_cbranch_execz .LBB6_11386
; %bb.11379:                            ;   in Loop: Header=BB6_8449 Depth=2
	v_and_b32_e32 v116, 0xffff, v2
	s_delay_alu instid0(VALU_DEP_1) | instskip(SKIP_1) | instid1(VALU_DEP_2)
	v_and_b32_e32 v5, 0x7c, v116
	v_and_b32_e32 v3, 3, v116
	v_cmp_ne_u32_e32 vcc_lo, 0x7c, v5
                                        ; implicit-def: $vgpr5
	s_and_saveexec_b32 s7, vcc_lo
	s_delay_alu instid0(SALU_CYCLE_1)
	s_xor_b32 s7, exec_lo, s7
	s_cbranch_execz .LBB6_11383
; %bb.11380:                            ;   in Loop: Header=BB6_8449 Depth=2
	v_bfe_u32 v5, v116, 2, 5
	s_mov_b32 s40, exec_lo
	s_delay_alu instid0(VALU_DEP_1)
	v_cmpx_eq_u32_e32 0, v5
	s_cbranch_execz .LBB6_11382
; %bb.11381:                            ;   in Loop: Header=BB6_8449 Depth=2
	v_clz_i32_u32_e32 v3, v3
	s_delay_alu instid0(VALU_DEP_1) | instskip(SKIP_1) | instid1(VALU_DEP_2)
	v_min_u32_e32 v5, 32, v3
	v_mov_b32_e32 v3, v1
	v_subrev_nc_u32_e32 v116, 29, v5
	v_sub_nc_u32_e32 v5, 30, v5
	s_delay_alu instid0(VALU_DEP_2) | instskip(NEXT) | instid1(VALU_DEP_1)
	v_lshlrev_b64_e32 v[2:3], v116, v[2:3]
	v_and_b32_e32 v3, 3, v2
.LBB6_11382:                            ;   in Loop: Header=BB6_8449 Depth=2
	s_or_b32 exec_lo, exec_lo, s40
	v_lshlrev_b32_e32 v2, 16, v119
                                        ; implicit-def: $vgpr119
	s_delay_alu instid0(VALU_DEP_1) | instskip(NEXT) | instid1(VALU_DEP_1)
	v_and_b32_e32 v2, 0x80000000, v2
	v_lshl_add_u32 v2, v5, 23, v2
	s_delay_alu instid0(VALU_DEP_1) | instskip(NEXT) | instid1(VALU_DEP_1)
	v_lshl_or_b32 v2, v3, 21, v2
                                        ; implicit-def: $vgpr3
	v_add_nc_u32_e32 v5, 0x38000000, v2
.LBB6_11383:                            ;   in Loop: Header=BB6_8449 Depth=2
	s_and_not1_saveexec_b32 s40, s7
; %bb.11384:                            ;   in Loop: Header=BB6_8449 Depth=2
	v_cmp_lt_i16_e64 s7, -1, v119
	v_mov_b32_e32 v2, 0x7f800000
	v_cmp_eq_u32_e32 vcc_lo, 0, v3
	s_delay_alu instid0(VALU_DEP_2) | instskip(NEXT) | instid1(VALU_DEP_1)
	v_cndmask_b32_e64 v2, 0xff800000, v2, s7
	v_cndmask_b32_e32 v5, 0x7f800001, v2, vcc_lo
; %bb.11385:                            ;   in Loop: Header=BB6_8449 Depth=2
	s_or_b32 exec_lo, exec_lo, s40
.LBB6_11386:                            ;   in Loop: Header=BB6_8449 Depth=2
	s_delay_alu instid0(SALU_CYCLE_1)
	s_or_b32 exec_lo, exec_lo, s29
.LBB6_11387:                            ;   in Loop: Header=BB6_8449 Depth=2
	s_delay_alu instid0(SALU_CYCLE_1) | instskip(SKIP_2) | instid1(VALU_DEP_1)
	s_or_b32 exec_lo, exec_lo, s28
	v_lshrrev_b16 v2, 8, v20
	s_mov_b32 s28, exec_lo
	v_cmpx_ne_u16_e32 0, v2
	s_cbranch_execz .LBB6_11397
; %bb.11388:                            ;   in Loop: Header=BB6_8449 Depth=2
	v_bfrev_b32_e32 v4, 1
	s_mov_b32 s29, exec_lo
	v_cmpx_ne_u16_e32 0x80, v2
	s_cbranch_execz .LBB6_11396
; %bb.11389:                            ;   in Loop: Header=BB6_8449 Depth=2
	v_and_b32_e32 v116, 0xffff, v2
	s_delay_alu instid0(VALU_DEP_1) | instskip(SKIP_1) | instid1(VALU_DEP_2)
	v_and_b32_e32 v4, 0x7c, v116
	v_and_b32_e32 v3, 3, v116
	v_cmp_ne_u32_e32 vcc_lo, 0x7c, v4
                                        ; implicit-def: $vgpr4
	s_and_saveexec_b32 s7, vcc_lo
	s_delay_alu instid0(SALU_CYCLE_1)
	s_xor_b32 s7, exec_lo, s7
	s_cbranch_execz .LBB6_11393
; %bb.11390:                            ;   in Loop: Header=BB6_8449 Depth=2
	v_bfe_u32 v4, v116, 2, 5
	s_mov_b32 s40, exec_lo
	s_delay_alu instid0(VALU_DEP_1)
	v_cmpx_eq_u32_e32 0, v4
	s_cbranch_execz .LBB6_11392
; %bb.11391:                            ;   in Loop: Header=BB6_8449 Depth=2
	v_clz_i32_u32_e32 v3, v3
	s_delay_alu instid0(VALU_DEP_1) | instskip(SKIP_1) | instid1(VALU_DEP_2)
	v_min_u32_e32 v4, 32, v3
	v_mov_b32_e32 v3, v1
	v_subrev_nc_u32_e32 v116, 29, v4
	v_sub_nc_u32_e32 v4, 30, v4
	s_delay_alu instid0(VALU_DEP_2) | instskip(NEXT) | instid1(VALU_DEP_1)
	v_lshlrev_b64_e32 v[2:3], v116, v[2:3]
	v_and_b32_e32 v3, 3, v2
.LBB6_11392:                            ;   in Loop: Header=BB6_8449 Depth=2
	s_or_b32 exec_lo, exec_lo, s40
	v_lshlrev_b32_e32 v2, 16, v20
	s_delay_alu instid0(VALU_DEP_1) | instskip(NEXT) | instid1(VALU_DEP_1)
	v_and_b32_e32 v2, 0x80000000, v2
	v_lshl_add_u32 v2, v4, 23, v2
	s_delay_alu instid0(VALU_DEP_1) | instskip(NEXT) | instid1(VALU_DEP_1)
	v_lshl_or_b32 v2, v3, 21, v2
                                        ; implicit-def: $vgpr3
	v_add_nc_u32_e32 v4, 0x38000000, v2
.LBB6_11393:                            ;   in Loop: Header=BB6_8449 Depth=2
	s_and_not1_saveexec_b32 s40, s7
; %bb.11394:                            ;   in Loop: Header=BB6_8449 Depth=2
	v_cmp_lt_i16_e64 s7, -1, v20
	v_mov_b32_e32 v2, 0x7f800000
	v_cmp_eq_u32_e32 vcc_lo, 0, v3
	s_delay_alu instid0(VALU_DEP_2) | instskip(NEXT) | instid1(VALU_DEP_1)
	v_cndmask_b32_e64 v2, 0xff800000, v2, s7
	v_cndmask_b32_e32 v4, 0x7f800001, v2, vcc_lo
; %bb.11395:                            ;   in Loop: Header=BB6_8449 Depth=2
	s_or_b32 exec_lo, exec_lo, s40
.LBB6_11396:                            ;   in Loop: Header=BB6_8449 Depth=2
	s_delay_alu instid0(SALU_CYCLE_1)
	s_or_b32 exec_lo, exec_lo, s29
.LBB6_11397:                            ;   in Loop: Header=BB6_8449 Depth=2
	s_delay_alu instid0(SALU_CYCLE_1) | instskip(NEXT) | instid1(VALU_DEP_1)
	s_or_b32 exec_lo, exec_lo, s28
	v_add_f32_e32 v4, v5, v4
	v_dual_mov_b32 v63, v1 :: v_dual_mov_b32 v3, v1
                                        ; implicit-def: $vgpr116
	s_mov_b32 s7, exec_lo
	s_delay_alu instid0(VALU_DEP_2) | instskip(SKIP_2) | instid1(VALU_DEP_3)
	v_and_b32_e32 v62, 0x7f800000, v4
	v_and_b32_e32 v2, 0x7fffff, v4
	v_lshrrev_b32_e32 v5, 24, v4
	v_cmpx_ne_u64_e32 0x7f800000, v[62:63]
	s_xor_b32 s28, exec_lo, s7
	s_cbranch_execz .LBB6_11411
; %bb.11398:                            ;   in Loop: Header=BB6_8449 Depth=2
	v_and_b32_e32 v62, 0x7fffffff, v4
	v_mov_b32_e32 v63, v1
	v_and_b32_e32 v119, 0x80, v5
                                        ; implicit-def: $vgpr116
	s_mov_b32 s7, exec_lo
	s_delay_alu instid0(VALU_DEP_2)
	v_cmpx_gt_u64_e32 0x47600001, v[62:63]
	s_xor_b32 s29, exec_lo, s7
	s_cbranch_execz .LBB6_11408
; %bb.11399:                            ;   in Loop: Header=BB6_8449 Depth=2
	v_mov_b32_e32 v116, 0
	s_mov_b32 s40, exec_lo
	v_cmpx_ne_u32_e32 0, v4
	s_cbranch_execz .LBB6_11407
; %bb.11400:                            ;   in Loop: Header=BB6_8449 Depth=2
	v_bfe_u32 v116, v4, 23, 8
	v_or_b32_e32 v5, 0x800000, v2
	s_delay_alu instid0(VALU_DEP_2) | instskip(SKIP_2) | instid1(VALU_DEP_2)
	v_cmp_gt_u32_e64 s7, 0x72, v116
	v_sub_nc_u32_e32 v4, 0x71, v116
	v_cmp_eq_u32_e32 vcc_lo, 0, v116
	v_dual_cndmask_b32 v4, 0, v4, s7 :: v_dual_cndmask_b32 v2, v5, v2, vcc_lo
	s_delay_alu instid0(VALU_DEP_1) | instskip(NEXT) | instid1(VALU_DEP_1)
	v_cndmask_b32_e64 v43, v4, 0x70, vcc_lo
	v_dual_add_nc_u32 v4, 21, v43 :: v_dual_add_nc_u32 v45, 20, v43
	s_delay_alu instid0(VALU_DEP_1) | instskip(NEXT) | instid1(VALU_DEP_2)
	v_lshlrev_b64_e64 v[4:5], v4, -1
	v_lshlrev_b64_e64 v[62:63], v45, 1
	s_delay_alu instid0(VALU_DEP_2) | instskip(SKIP_1) | instid1(VALU_DEP_4)
	v_bfi_b32 v4, v4, 0, v2
	v_lshrrev_b64 v[2:3], v43, v[2:3]
	v_bfi_b32 v5, v5, 0, 0
	s_delay_alu instid0(VALU_DEP_1) | instskip(NEXT) | instid1(VALU_DEP_3)
	v_cmp_eq_u64_e64 s7, v[4:5], v[62:63]
	v_mov_b64_e32 v[4:5], v[2:3]
	s_and_saveexec_b32 s41, s7
; %bb.11401:                            ;   in Loop: Header=BB6_8449 Depth=2
	v_bfe_u32 v4, v2, 21, 1
	v_mov_b32_e32 v5, v1
	s_delay_alu instid0(VALU_DEP_1) | instskip(NEXT) | instid1(VALU_DEP_1)
	v_add_nc_u64_e32 v[4:5], v[2:3], v[4:5]
	v_add_nc_u64_e32 v[4:5], -1, v[4:5]
; %bb.11402:                            ;   in Loop: Header=BB6_8449 Depth=2
	s_or_b32 exec_lo, exec_lo, s41
	v_add_nc_u32_e32 v3, 0xffffff81, v116
	v_lshrrev_b32_e32 v5, 23, v2
	s_mov_b32 s7, exec_lo
	s_delay_alu instid0(VALU_DEP_2) | instskip(NEXT) | instid1(VALU_DEP_1)
	v_cndmask_b32_e64 v3, v3, 0xffffff82, vcc_lo
	v_add3_u32 v116, v43, v3, v5
	v_and_b32_e32 v3, 0x1fffff, v4
                                        ; implicit-def: $vgpr4
	s_delay_alu instid0(VALU_DEP_1) | instskip(SKIP_1) | instid1(VALU_DEP_2)
	v_dual_add_nc_u32 v5, 14, v116 :: v_dual_add_nc_u32 v2, v3, v2
	v_mov_b32_e32 v3, v1
	v_cmpx_ne_u32_e32 0, v5
	s_xor_b32 s7, exec_lo, s7
; %bb.11403:                            ;   in Loop: Header=BB6_8449 Depth=2
	s_delay_alu instid0(VALU_DEP_2) | instskip(SKIP_1) | instid1(VALU_DEP_1)
	v_cmp_lt_u64_e32 vcc_lo, 0xffffff, v[2:3]
	v_add_nc_u32_e32 v4, 15, v116
	v_cndmask_b32_e32 v4, v5, v4, vcc_lo
	v_cndmask_b32_e64 v5, 0, 1, vcc_lo
	s_delay_alu instid0(VALU_DEP_1)
	v_lshrrev_b64 v[2:3], v5, v[2:3]
; %bb.11404:                            ;   in Loop: Header=BB6_8449 Depth=2
	s_and_not1_saveexec_b32 s7, s7
; %bb.11405:                            ;   in Loop: Header=BB6_8449 Depth=2
	s_delay_alu instid0(VALU_DEP_1)
	v_bfe_u32 v4, v2, 23, 1
; %bb.11406:                            ;   in Loop: Header=BB6_8449 Depth=2
	s_or_b32 exec_lo, exec_lo, s7
	s_delay_alu instid0(VALU_DEP_2) | instskip(NEXT) | instid1(VALU_DEP_2)
	v_lshrrev_b64 v[2:3], 21, v[2:3]
	v_cmp_gt_i32_e32 vcc_lo, 32, v4
	v_min_i32_e32 v5, 31, v4
	v_cmp_eq_u32_e64 s7, 0, v4
	s_delay_alu instid0(VALU_DEP_2) | instskip(SKIP_1) | instid1(VALU_DEP_2)
	v_dual_cndmask_b32 v3, 0, v3, vcc_lo :: v_dual_lshlrev_b32 v5, 2, v5
	v_cndmask_b32_e32 v2, 3, v2, vcc_lo
	v_and_b32_e32 v5, 0xfc, v5
	s_delay_alu instid0(VALU_DEP_2) | instskip(NEXT) | instid1(VALU_DEP_2)
	v_cmp_eq_u64_e32 vcc_lo, 0, v[2:3]
	v_and_or_b32 v2, v2, 3, v5
	s_and_b32 s7, s7, vcc_lo
	s_delay_alu instid0(VALU_DEP_1) | instid1(SALU_CYCLE_1)
	v_cndmask_b32_e64 v2, v2, 0, s7
	s_delay_alu instid0(VALU_DEP_1)
	v_or_b32_e32 v116, v2, v119
.LBB6_11407:                            ;   in Loop: Header=BB6_8449 Depth=2
	s_or_b32 exec_lo, exec_lo, s40
                                        ; implicit-def: $vgpr119
.LBB6_11408:                            ;   in Loop: Header=BB6_8449 Depth=2
	s_and_not1_saveexec_b32 s7, s29
; %bb.11409:                            ;   in Loop: Header=BB6_8449 Depth=2
	v_or_b32_e32 v116, 0x7b, v119
; %bb.11410:                            ;   in Loop: Header=BB6_8449 Depth=2
	s_or_b32 exec_lo, exec_lo, s7
                                        ; implicit-def: $vgpr4
                                        ; implicit-def: $vgpr2_vgpr3
                                        ; implicit-def: $vgpr5
.LBB6_11411:                            ;   in Loop: Header=BB6_8449 Depth=2
	s_and_not1_saveexec_b32 s7, s28
	s_cbranch_execz .LBB6_11417
; %bb.11412:                            ;   in Loop: Header=BB6_8449 Depth=2
	s_mov_b32 s28, exec_lo
                                        ; implicit-def: $vgpr116
	v_cmpx_ne_u64_e32 0, v[2:3]
	s_xor_b32 s28, exec_lo, s28
; %bb.11413:                            ;   in Loop: Header=BB6_8449 Depth=2
	v_or_b32_e32 v116, 0x7f, v5
                                        ; implicit-def: $vgpr4
; %bb.11414:                            ;   in Loop: Header=BB6_8449 Depth=2
	s_and_not1_saveexec_b32 s28, s28
; %bb.11415:                            ;   in Loop: Header=BB6_8449 Depth=2
	v_cmp_lt_i32_e32 vcc_lo, -1, v4
	v_mov_b32_e32 v2, 0x7c
	s_delay_alu instid0(VALU_DEP_1)
	v_cndmask_b32_e32 v116, 0xfc, v2, vcc_lo
; %bb.11416:                            ;   in Loop: Header=BB6_8449 Depth=2
	s_or_b32 exec_lo, exec_lo, s28
.LBB6_11417:                            ;   in Loop: Header=BB6_8449 Depth=2
	s_delay_alu instid0(SALU_CYCLE_1) | instskip(SKIP_3) | instid1(VALU_DEP_2)
	s_or_b32 exec_lo, exec_lo, s7
	v_dual_mov_b32 v3, 0 :: v_dual_lshrrev_b32 v2, 16, v0
	v_mov_b32_e32 v4, 0
	s_mov_b32 s28, exec_lo
	v_and_b32_e32 v5, 0xff, v2
	s_delay_alu instid0(VALU_DEP_1)
	v_cmpx_ne_u16_e32 0, v5
	s_cbranch_execz .LBB6_11427
; %bb.11418:                            ;   in Loop: Header=BB6_8449 Depth=2
	v_bfrev_b32_e32 v4, 1
	s_mov_b32 s29, exec_lo
	v_cmpx_ne_u16_e32 0x80, v5
	s_cbranch_execz .LBB6_11426
; %bb.11419:                            ;   in Loop: Header=BB6_8449 Depth=2
	v_and_b32_e32 v4, 0x7c0000, v0
	v_bfe_u32 v5, v0, 16, 2
	s_delay_alu instid0(VALU_DEP_2) | instskip(SKIP_1) | instid1(SALU_CYCLE_1)
	v_cmp_ne_u32_e32 vcc_lo, 0x7c0000, v4
                                        ; implicit-def: $vgpr4
	s_and_saveexec_b32 s7, vcc_lo
	s_xor_b32 s7, exec_lo, s7
	s_cbranch_execz .LBB6_11423
; %bb.11420:                            ;   in Loop: Header=BB6_8449 Depth=2
	v_bfe_u32 v4, v0, 18, 5
	s_mov_b32 s40, exec_lo
	s_delay_alu instid0(VALU_DEP_1)
	v_cmpx_eq_u32_e32 0, v4
; %bb.11421:                            ;   in Loop: Header=BB6_8449 Depth=2
	v_clz_i32_u32_e32 v4, v5
	s_delay_alu instid0(VALU_DEP_1) | instskip(NEXT) | instid1(VALU_DEP_1)
	v_min_u32_e32 v4, 32, v4
	v_subrev_nc_u32_e32 v5, 29, v4
	s_delay_alu instid0(VALU_DEP_1) | instskip(NEXT) | instid1(VALU_DEP_1)
	v_lshlrev_b64_e32 v[62:63], v5, v[2:3]
	v_dual_sub_nc_u32 v4, 30, v4 :: v_dual_bitop2_b32 v5, 3, v62 bitop3:0x40
; %bb.11422:                            ;   in Loop: Header=BB6_8449 Depth=2
	s_or_b32 exec_lo, exec_lo, s40
	v_lshlrev_b32_e32 v2, 24, v2
	s_delay_alu instid0(VALU_DEP_1) | instskip(NEXT) | instid1(VALU_DEP_1)
	v_and_b32_e32 v2, 0x80000000, v2
	v_lshl_add_u32 v2, v4, 23, v2
	s_delay_alu instid0(VALU_DEP_1) | instskip(NEXT) | instid1(VALU_DEP_1)
	v_lshl_or_b32 v2, v5, 21, v2
                                        ; implicit-def: $vgpr5
	v_add_nc_u32_e32 v4, 0x38000000, v2
                                        ; implicit-def: $vgpr2
.LBB6_11423:                            ;   in Loop: Header=BB6_8449 Depth=2
	s_and_not1_saveexec_b32 s40, s7
; %bb.11424:                            ;   in Loop: Header=BB6_8449 Depth=2
	v_bfe_i32 v2, v2, 0, 8
	v_cmp_eq_u32_e32 vcc_lo, 0, v5
	s_delay_alu instid0(VALU_DEP_2) | instskip(SKIP_1) | instid1(VALU_DEP_1)
	v_cmp_lt_i16_e64 s7, -1, v2
	v_mov_b32_e32 v2, 0x7f800000
	v_cndmask_b32_e64 v2, 0xff800000, v2, s7
	s_delay_alu instid0(VALU_DEP_1)
	v_cndmask_b32_e32 v4, 0x7f800001, v2, vcc_lo
; %bb.11425:                            ;   in Loop: Header=BB6_8449 Depth=2
	s_or_b32 exec_lo, exec_lo, s40
.LBB6_11426:                            ;   in Loop: Header=BB6_8449 Depth=2
	s_delay_alu instid0(SALU_CYCLE_1)
	s_or_b32 exec_lo, exec_lo, s29
.LBB6_11427:                            ;   in Loop: Header=BB6_8449 Depth=2
	s_delay_alu instid0(SALU_CYCLE_1) | instskip(SKIP_2) | instid1(VALU_DEP_1)
	s_or_b32 exec_lo, exec_lo, s28
	v_lshrrev_b32_e32 v2, 16, v20
	s_mov_b32 s28, exec_lo
	v_and_b32_e32 v5, 0xff, v2
	s_delay_alu instid0(VALU_DEP_1)
	v_cmpx_ne_u16_e32 0, v5
	s_cbranch_execz .LBB6_11437
; %bb.11428:                            ;   in Loop: Header=BB6_8449 Depth=2
	v_bfrev_b32_e32 v3, 1
	s_mov_b32 s29, exec_lo
	v_cmpx_ne_u16_e32 0x80, v5
	s_cbranch_execz .LBB6_11436
; %bb.11429:                            ;   in Loop: Header=BB6_8449 Depth=2
	v_and_b32_e32 v3, 0x7c0000, v20
	v_bfe_u32 v5, v20, 16, 2
	s_delay_alu instid0(VALU_DEP_2) | instskip(SKIP_1) | instid1(SALU_CYCLE_1)
	v_cmp_ne_u32_e32 vcc_lo, 0x7c0000, v3
                                        ; implicit-def: $vgpr3
	s_and_saveexec_b32 s7, vcc_lo
	s_xor_b32 s7, exec_lo, s7
	s_cbranch_execz .LBB6_11433
; %bb.11430:                            ;   in Loop: Header=BB6_8449 Depth=2
	v_bfe_u32 v3, v20, 18, 5
	s_mov_b32 s40, exec_lo
	s_delay_alu instid0(VALU_DEP_1)
	v_cmpx_eq_u32_e32 0, v3
; %bb.11431:                            ;   in Loop: Header=BB6_8449 Depth=2
	v_clz_i32_u32_e32 v3, v5
	s_delay_alu instid0(VALU_DEP_1) | instskip(NEXT) | instid1(VALU_DEP_1)
	v_min_u32_e32 v3, 32, v3
	v_subrev_nc_u32_e32 v5, 29, v3
	s_delay_alu instid0(VALU_DEP_1) | instskip(NEXT) | instid1(VALU_DEP_1)
	v_lshlrev_b64_e32 v[62:63], v5, v[2:3]
	v_dual_sub_nc_u32 v3, 30, v3 :: v_dual_bitop2_b32 v5, 3, v62 bitop3:0x40
; %bb.11432:                            ;   in Loop: Header=BB6_8449 Depth=2
	s_or_b32 exec_lo, exec_lo, s40
	v_lshlrev_b32_e32 v2, 24, v2
	s_delay_alu instid0(VALU_DEP_1) | instskip(NEXT) | instid1(VALU_DEP_1)
	v_and_b32_e32 v2, 0x80000000, v2
	v_lshl_add_u32 v2, v3, 23, v2
	s_delay_alu instid0(VALU_DEP_1) | instskip(NEXT) | instid1(VALU_DEP_1)
	v_lshl_or_b32 v2, v5, 21, v2
                                        ; implicit-def: $vgpr5
	v_add_nc_u32_e32 v3, 0x38000000, v2
                                        ; implicit-def: $vgpr2
.LBB6_11433:                            ;   in Loop: Header=BB6_8449 Depth=2
	s_and_not1_saveexec_b32 s40, s7
; %bb.11434:                            ;   in Loop: Header=BB6_8449 Depth=2
	v_bfe_i32 v2, v2, 0, 8
	v_cmp_eq_u32_e32 vcc_lo, 0, v5
	s_delay_alu instid0(VALU_DEP_2) | instskip(SKIP_1) | instid1(VALU_DEP_1)
	v_cmp_lt_i16_e64 s7, -1, v2
	v_mov_b32_e32 v2, 0x7f800000
	v_cndmask_b32_e64 v2, 0xff800000, v2, s7
	s_delay_alu instid0(VALU_DEP_1)
	v_cndmask_b32_e32 v3, 0x7f800001, v2, vcc_lo
; %bb.11435:                            ;   in Loop: Header=BB6_8449 Depth=2
	s_or_b32 exec_lo, exec_lo, s40
.LBB6_11436:                            ;   in Loop: Header=BB6_8449 Depth=2
	s_delay_alu instid0(SALU_CYCLE_1)
	s_or_b32 exec_lo, exec_lo, s29
.LBB6_11437:                            ;   in Loop: Header=BB6_8449 Depth=2
	s_delay_alu instid0(SALU_CYCLE_1) | instskip(NEXT) | instid1(VALU_DEP_1)
	s_or_b32 exec_lo, exec_lo, s28
	v_dual_add_f32 v4, v4, v3 :: v_dual_mov_b32 v63, v1
	v_mov_b32_e32 v3, v1
                                        ; implicit-def: $vgpr119
	s_mov_b32 s7, exec_lo
	s_delay_alu instid0(VALU_DEP_2) | instskip(SKIP_2) | instid1(VALU_DEP_3)
	v_and_b32_e32 v62, 0x7f800000, v4
	v_and_b32_e32 v2, 0x7fffff, v4
	v_lshrrev_b32_e32 v5, 24, v4
	v_cmpx_ne_u64_e32 0x7f800000, v[62:63]
	s_xor_b32 s28, exec_lo, s7
	s_cbranch_execz .LBB6_11451
; %bb.11438:                            ;   in Loop: Header=BB6_8449 Depth=2
	v_and_b32_e32 v62, 0x7fffffff, v4
	v_mov_b32_e32 v63, v1
	v_and_b32_e32 v43, 0x80, v5
                                        ; implicit-def: $vgpr119
	s_mov_b32 s7, exec_lo
	s_delay_alu instid0(VALU_DEP_2)
	v_cmpx_gt_u64_e32 0x47600001, v[62:63]
	s_xor_b32 s29, exec_lo, s7
	s_cbranch_execz .LBB6_11448
; %bb.11439:                            ;   in Loop: Header=BB6_8449 Depth=2
	v_mov_b32_e32 v119, 0
	s_mov_b32 s40, exec_lo
	v_cmpx_ne_u32_e32 0, v4
	s_cbranch_execz .LBB6_11447
; %bb.11440:                            ;   in Loop: Header=BB6_8449 Depth=2
	v_bfe_u32 v119, v4, 23, 8
	v_or_b32_e32 v5, 0x800000, v2
	s_delay_alu instid0(VALU_DEP_2) | instskip(SKIP_2) | instid1(VALU_DEP_2)
	v_cmp_gt_u32_e64 s7, 0x72, v119
	v_sub_nc_u32_e32 v4, 0x71, v119
	v_cmp_eq_u32_e32 vcc_lo, 0, v119
	v_dual_cndmask_b32 v4, 0, v4, s7 :: v_dual_cndmask_b32 v2, v5, v2, vcc_lo
	s_delay_alu instid0(VALU_DEP_1) | instskip(NEXT) | instid1(VALU_DEP_1)
	v_cndmask_b32_e64 v45, v4, 0x70, vcc_lo
	v_dual_add_nc_u32 v4, 21, v45 :: v_dual_add_nc_u32 v59, 20, v45
	s_delay_alu instid0(VALU_DEP_1) | instskip(NEXT) | instid1(VALU_DEP_2)
	v_lshlrev_b64_e64 v[4:5], v4, -1
	v_lshlrev_b64_e64 v[62:63], v59, 1
	s_delay_alu instid0(VALU_DEP_2) | instskip(SKIP_1) | instid1(VALU_DEP_4)
	v_bfi_b32 v4, v4, 0, v2
	v_lshrrev_b64 v[2:3], v45, v[2:3]
	v_bfi_b32 v5, v5, 0, 0
	s_delay_alu instid0(VALU_DEP_1) | instskip(NEXT) | instid1(VALU_DEP_3)
	v_cmp_eq_u64_e64 s7, v[4:5], v[62:63]
	v_mov_b64_e32 v[4:5], v[2:3]
	s_and_saveexec_b32 s41, s7
; %bb.11441:                            ;   in Loop: Header=BB6_8449 Depth=2
	v_bfe_u32 v4, v2, 21, 1
	v_mov_b32_e32 v5, v1
	s_delay_alu instid0(VALU_DEP_1) | instskip(NEXT) | instid1(VALU_DEP_1)
	v_add_nc_u64_e32 v[4:5], v[2:3], v[4:5]
	v_add_nc_u64_e32 v[4:5], -1, v[4:5]
; %bb.11442:                            ;   in Loop: Header=BB6_8449 Depth=2
	s_or_b32 exec_lo, exec_lo, s41
	v_add_nc_u32_e32 v3, 0xffffff81, v119
	v_lshrrev_b32_e32 v5, 23, v2
	s_mov_b32 s7, exec_lo
	s_delay_alu instid0(VALU_DEP_2) | instskip(NEXT) | instid1(VALU_DEP_1)
	v_cndmask_b32_e64 v3, v3, 0xffffff82, vcc_lo
	v_add3_u32 v119, v45, v3, v5
	v_and_b32_e32 v3, 0x1fffff, v4
                                        ; implicit-def: $vgpr4
	s_delay_alu instid0(VALU_DEP_1) | instskip(SKIP_1) | instid1(VALU_DEP_2)
	v_dual_add_nc_u32 v5, 14, v119 :: v_dual_add_nc_u32 v2, v3, v2
	v_mov_b32_e32 v3, v1
	v_cmpx_ne_u32_e32 0, v5
	s_xor_b32 s7, exec_lo, s7
; %bb.11443:                            ;   in Loop: Header=BB6_8449 Depth=2
	s_delay_alu instid0(VALU_DEP_2) | instskip(SKIP_1) | instid1(VALU_DEP_1)
	v_cmp_lt_u64_e32 vcc_lo, 0xffffff, v[2:3]
	v_add_nc_u32_e32 v4, 15, v119
	v_cndmask_b32_e32 v4, v5, v4, vcc_lo
	v_cndmask_b32_e64 v5, 0, 1, vcc_lo
	s_delay_alu instid0(VALU_DEP_1)
	v_lshrrev_b64 v[2:3], v5, v[2:3]
; %bb.11444:                            ;   in Loop: Header=BB6_8449 Depth=2
	s_and_not1_saveexec_b32 s7, s7
; %bb.11445:                            ;   in Loop: Header=BB6_8449 Depth=2
	s_delay_alu instid0(VALU_DEP_1)
	v_bfe_u32 v4, v2, 23, 1
; %bb.11446:                            ;   in Loop: Header=BB6_8449 Depth=2
	s_or_b32 exec_lo, exec_lo, s7
	s_delay_alu instid0(VALU_DEP_2) | instskip(NEXT) | instid1(VALU_DEP_2)
	v_lshrrev_b64 v[2:3], 21, v[2:3]
	v_cmp_gt_i32_e32 vcc_lo, 32, v4
	v_min_i32_e32 v5, 31, v4
	v_cmp_eq_u32_e64 s7, 0, v4
	s_delay_alu instid0(VALU_DEP_2) | instskip(SKIP_1) | instid1(VALU_DEP_2)
	v_dual_cndmask_b32 v3, 0, v3, vcc_lo :: v_dual_lshlrev_b32 v5, 2, v5
	v_cndmask_b32_e32 v2, 3, v2, vcc_lo
	v_and_b32_e32 v5, 0xfc, v5
	s_delay_alu instid0(VALU_DEP_2) | instskip(NEXT) | instid1(VALU_DEP_2)
	v_cmp_eq_u64_e32 vcc_lo, 0, v[2:3]
	v_and_or_b32 v2, v2, 3, v5
	s_and_b32 s7, s7, vcc_lo
	s_delay_alu instid0(VALU_DEP_1) | instid1(SALU_CYCLE_1)
	v_cndmask_b32_e64 v2, v2, 0, s7
	s_delay_alu instid0(VALU_DEP_1)
	v_or_b32_e32 v119, v2, v43
.LBB6_11447:                            ;   in Loop: Header=BB6_8449 Depth=2
	s_or_b32 exec_lo, exec_lo, s40
                                        ; implicit-def: $vgpr43
.LBB6_11448:                            ;   in Loop: Header=BB6_8449 Depth=2
	s_and_not1_saveexec_b32 s7, s29
; %bb.11449:                            ;   in Loop: Header=BB6_8449 Depth=2
	v_or_b32_e32 v119, 0x7b, v43
; %bb.11450:                            ;   in Loop: Header=BB6_8449 Depth=2
	s_or_b32 exec_lo, exec_lo, s7
                                        ; implicit-def: $vgpr4
                                        ; implicit-def: $vgpr2_vgpr3
                                        ; implicit-def: $vgpr5
.LBB6_11451:                            ;   in Loop: Header=BB6_8449 Depth=2
	s_and_not1_saveexec_b32 s7, s28
	s_cbranch_execz .LBB6_11457
; %bb.11452:                            ;   in Loop: Header=BB6_8449 Depth=2
	s_mov_b32 s28, exec_lo
                                        ; implicit-def: $vgpr119
	v_cmpx_ne_u64_e32 0, v[2:3]
	s_xor_b32 s28, exec_lo, s28
; %bb.11453:                            ;   in Loop: Header=BB6_8449 Depth=2
	v_or_b32_e32 v119, 0x7f, v5
                                        ; implicit-def: $vgpr4
; %bb.11454:                            ;   in Loop: Header=BB6_8449 Depth=2
	s_and_not1_saveexec_b32 s28, s28
; %bb.11455:                            ;   in Loop: Header=BB6_8449 Depth=2
	v_cmp_lt_i32_e32 vcc_lo, -1, v4
	v_mov_b32_e32 v2, 0x7c
	s_delay_alu instid0(VALU_DEP_1)
	v_cndmask_b32_e32 v119, 0xfc, v2, vcc_lo
; %bb.11456:                            ;   in Loop: Header=BB6_8449 Depth=2
	s_or_b32 exec_lo, exec_lo, s28
.LBB6_11457:                            ;   in Loop: Header=BB6_8449 Depth=2
	s_delay_alu instid0(SALU_CYCLE_1)
	s_or_b32 exec_lo, exec_lo, s7
	v_dual_mov_b32 v3, 0 :: v_dual_mov_b32 v4, 0
	s_mov_b32 s28, exec_lo
	v_cmpx_lt_u32_e32 0xffffff, v0
	s_cbranch_execz .LBB6_11467
; %bb.11458:                            ;   in Loop: Header=BB6_8449 Depth=2
	v_lshrrev_b32_e32 v2, 24, v0
	v_bfrev_b32_e32 v4, 1
	s_mov_b32 s29, exec_lo
	s_delay_alu instid0(VALU_DEP_2)
	v_cmpx_ne_u32_e32 0x80, v2
	s_cbranch_execz .LBB6_11466
; %bb.11459:                            ;   in Loop: Header=BB6_8449 Depth=2
	v_and_b32_e32 v4, 0x7c000000, v0
	v_bfe_u32 v5, v0, 24, 2
	s_delay_alu instid0(VALU_DEP_2) | instskip(SKIP_1) | instid1(SALU_CYCLE_1)
	v_cmp_ne_u32_e32 vcc_lo, 0x7c000000, v4
                                        ; implicit-def: $vgpr4
	s_and_saveexec_b32 s7, vcc_lo
	s_xor_b32 s7, exec_lo, s7
	s_cbranch_execz .LBB6_11463
; %bb.11460:                            ;   in Loop: Header=BB6_8449 Depth=2
	v_bfe_u32 v4, v0, 26, 5
	s_mov_b32 s40, exec_lo
	s_delay_alu instid0(VALU_DEP_1)
	v_cmpx_eq_u32_e32 0, v4
; %bb.11461:                            ;   in Loop: Header=BB6_8449 Depth=2
	v_clz_i32_u32_e32 v4, v5
	s_delay_alu instid0(VALU_DEP_1) | instskip(NEXT) | instid1(VALU_DEP_1)
	v_min_u32_e32 v4, 32, v4
	v_subrev_nc_u32_e32 v5, 29, v4
	s_delay_alu instid0(VALU_DEP_1) | instskip(NEXT) | instid1(VALU_DEP_1)
	v_lshlrev_b64_e32 v[62:63], v5, v[2:3]
	v_dual_sub_nc_u32 v4, 30, v4 :: v_dual_bitop2_b32 v5, 3, v62 bitop3:0x40
; %bb.11462:                            ;   in Loop: Header=BB6_8449 Depth=2
	s_or_b32 exec_lo, exec_lo, s40
	v_and_b32_e32 v0, 0x80000000, v0
	s_delay_alu instid0(VALU_DEP_1) | instskip(NEXT) | instid1(VALU_DEP_1)
	v_lshl_add_u32 v0, v4, 23, v0
	v_lshl_or_b32 v0, v5, 21, v0
                                        ; implicit-def: $vgpr5
	s_delay_alu instid0(VALU_DEP_1)
	v_add_nc_u32_e32 v4, 0x38000000, v0
.LBB6_11463:                            ;   in Loop: Header=BB6_8449 Depth=2
	s_and_not1_saveexec_b32 s40, s7
; %bb.11464:                            ;   in Loop: Header=BB6_8449 Depth=2
	v_cmp_lt_i32_e64 s7, -1, v0
	v_mov_b32_e32 v0, 0x7f800000
	v_cmp_eq_u32_e32 vcc_lo, 0, v5
	s_delay_alu instid0(VALU_DEP_2) | instskip(NEXT) | instid1(VALU_DEP_1)
	v_cndmask_b32_e64 v0, 0xff800000, v0, s7
	v_cndmask_b32_e32 v4, 0x7f800001, v0, vcc_lo
; %bb.11465:                            ;   in Loop: Header=BB6_8449 Depth=2
	s_or_b32 exec_lo, exec_lo, s40
.LBB6_11466:                            ;   in Loop: Header=BB6_8449 Depth=2
	s_delay_alu instid0(SALU_CYCLE_1)
	s_or_b32 exec_lo, exec_lo, s29
.LBB6_11467:                            ;   in Loop: Header=BB6_8449 Depth=2
	s_delay_alu instid0(SALU_CYCLE_1) | instskip(NEXT) | instid1(SALU_CYCLE_1)
	s_or_b32 exec_lo, exec_lo, s28
	s_mov_b32 s28, exec_lo
	v_cmpx_lt_u32_e32 0xffffff, v20
	s_cbranch_execz .LBB6_11477
; %bb.11468:                            ;   in Loop: Header=BB6_8449 Depth=2
	v_lshrrev_b32_e32 v0, 24, v20
	v_bfrev_b32_e32 v3, 1
	s_mov_b32 s29, exec_lo
	s_delay_alu instid0(VALU_DEP_2)
	v_cmpx_ne_u32_e32 0x80, v0
	s_cbranch_execz .LBB6_11476
; %bb.11469:                            ;   in Loop: Header=BB6_8449 Depth=2
	v_and_b32_e32 v3, 0x7c000000, v20
	v_bfe_u32 v2, v20, 24, 2
	s_delay_alu instid0(VALU_DEP_2) | instskip(SKIP_1) | instid1(SALU_CYCLE_1)
	v_cmp_ne_u32_e32 vcc_lo, 0x7c000000, v3
                                        ; implicit-def: $vgpr3
	s_and_saveexec_b32 s7, vcc_lo
	s_xor_b32 s7, exec_lo, s7
	s_cbranch_execz .LBB6_11473
; %bb.11470:                            ;   in Loop: Header=BB6_8449 Depth=2
	v_bfe_u32 v3, v20, 26, 5
	s_mov_b32 s40, exec_lo
	s_delay_alu instid0(VALU_DEP_1)
	v_cmpx_eq_u32_e32 0, v3
; %bb.11471:                            ;   in Loop: Header=BB6_8449 Depth=2
	v_clz_i32_u32_e32 v2, v2
	s_delay_alu instid0(VALU_DEP_1) | instskip(NEXT) | instid1(VALU_DEP_1)
	v_min_u32_e32 v5, 32, v2
	v_subrev_nc_u32_e32 v2, 29, v5
	s_delay_alu instid0(VALU_DEP_1) | instskip(NEXT) | instid1(VALU_DEP_1)
	v_lshlrev_b64_e32 v[2:3], v2, v[0:1]
	v_dual_sub_nc_u32 v3, 30, v5 :: v_dual_bitop2_b32 v2, 3, v2 bitop3:0x40
; %bb.11472:                            ;   in Loop: Header=BB6_8449 Depth=2
	s_or_b32 exec_lo, exec_lo, s40
	v_and_b32_e32 v0, 0x80000000, v20
	s_delay_alu instid0(VALU_DEP_1) | instskip(NEXT) | instid1(VALU_DEP_1)
	v_lshl_add_u32 v0, v3, 23, v0
	v_lshl_or_b32 v0, v2, 21, v0
                                        ; implicit-def: $vgpr2
	s_delay_alu instid0(VALU_DEP_1)
	v_add_nc_u32_e32 v3, 0x38000000, v0
.LBB6_11473:                            ;   in Loop: Header=BB6_8449 Depth=2
	s_and_not1_saveexec_b32 s40, s7
; %bb.11474:                            ;   in Loop: Header=BB6_8449 Depth=2
	v_cmp_lt_i32_e64 s7, -1, v20
	v_mov_b32_e32 v0, 0x7f800000
	v_cmp_eq_u32_e32 vcc_lo, 0, v2
	s_delay_alu instid0(VALU_DEP_2) | instskip(NEXT) | instid1(VALU_DEP_1)
	v_cndmask_b32_e64 v0, 0xff800000, v0, s7
	v_cndmask_b32_e32 v3, 0x7f800001, v0, vcc_lo
; %bb.11475:                            ;   in Loop: Header=BB6_8449 Depth=2
	s_or_b32 exec_lo, exec_lo, s40
.LBB6_11476:                            ;   in Loop: Header=BB6_8449 Depth=2
	s_delay_alu instid0(SALU_CYCLE_1)
	s_or_b32 exec_lo, exec_lo, s29
.LBB6_11477:                            ;   in Loop: Header=BB6_8449 Depth=2
	s_delay_alu instid0(SALU_CYCLE_1) | instskip(NEXT) | instid1(VALU_DEP_1)
	s_or_b32 exec_lo, exec_lo, s28
	v_dual_add_f32 v2, v4, v3 :: v_dual_mov_b32 v5, v1
                                        ; implicit-def: $vgpr43
	s_mov_b32 s7, exec_lo
	s_delay_alu instid0(VALU_DEP_1) | instskip(SKIP_2) | instid1(VALU_DEP_3)
	v_and_b32_e32 v4, 0x7f800000, v2
	v_and_b32_e32 v0, 0x7fffff, v2
	v_lshrrev_b32_e32 v3, 24, v2
	v_cmpx_ne_u64_e32 0x7f800000, v[4:5]
	s_xor_b32 s28, exec_lo, s7
	s_cbranch_execz .LBB6_11491
; %bb.11478:                            ;   in Loop: Header=BB6_8449 Depth=2
	v_and_b32_e32 v4, 0x7fffffff, v2
	v_mov_b32_e32 v5, v1
	v_and_b32_e32 v45, 0x80, v3
                                        ; implicit-def: $vgpr43
	s_mov_b32 s7, exec_lo
	s_delay_alu instid0(VALU_DEP_2)
	v_cmpx_gt_u64_e32 0x47600001, v[4:5]
	s_xor_b32 s29, exec_lo, s7
	s_cbranch_execz .LBB6_11488
; %bb.11479:                            ;   in Loop: Header=BB6_8449 Depth=2
	v_mov_b32_e32 v43, 0
	s_mov_b32 s40, exec_lo
	v_cmpx_ne_u32_e32 0, v2
	s_cbranch_execz .LBB6_11487
; %bb.11480:                            ;   in Loop: Header=BB6_8449 Depth=2
	v_bfe_u32 v43, v2, 23, 8
	v_or_b32_e32 v3, 0x800000, v0
	s_delay_alu instid0(VALU_DEP_2) | instskip(SKIP_2) | instid1(VALU_DEP_2)
	v_cmp_gt_u32_e64 s7, 0x72, v43
	v_sub_nc_u32_e32 v2, 0x71, v43
	v_cmp_eq_u32_e32 vcc_lo, 0, v43
	v_cndmask_b32_e64 v2, 0, v2, s7
	s_delay_alu instid0(VALU_DEP_1) | instskip(SKIP_1) | instid1(VALU_DEP_2)
	v_cndmask_b32_e64 v59, v2, 0x70, vcc_lo
	v_dual_cndmask_b32 v2, v3, v0 :: v_dual_mov_b32 v3, v1
	v_add_nc_u32_e32 v0, 21, v59
	s_delay_alu instid0(VALU_DEP_1) | instskip(SKIP_1) | instid1(VALU_DEP_1)
	v_lshlrev_b64_e64 v[4:5], v0, -1
	v_add_nc_u32_e32 v0, 20, v59
	v_lshlrev_b64_e64 v[62:63], v0, 1
	s_delay_alu instid0(VALU_DEP_3) | instskip(SKIP_2) | instid1(VALU_DEP_1)
	v_bfi_b32 v4, v4, 0, v2
	v_lshrrev_b64 v[2:3], v59, v[2:3]
	v_bfi_b32 v5, v5, 0, 0
	v_cmp_eq_u64_e64 s7, v[4:5], v[62:63]
	s_delay_alu instid0(VALU_DEP_3)
	v_mov_b64_e32 v[4:5], v[2:3]
	s_and_saveexec_b32 s41, s7
; %bb.11481:                            ;   in Loop: Header=BB6_8449 Depth=2
	v_bfe_u32 v4, v2, 21, 1
	v_mov_b32_e32 v5, v1
	s_delay_alu instid0(VALU_DEP_1) | instskip(NEXT) | instid1(VALU_DEP_1)
	v_add_nc_u64_e32 v[4:5], v[2:3], v[4:5]
	v_add_nc_u64_e32 v[4:5], -1, v[4:5]
; %bb.11482:                            ;   in Loop: Header=BB6_8449 Depth=2
	s_or_b32 exec_lo, exec_lo, s41
	v_add_nc_u32_e32 v0, 0xffffff81, v43
	s_delay_alu instid0(VALU_DEP_2) | instskip(SKIP_2) | instid1(VALU_DEP_3)
	v_and_b32_e32 v4, 0x1fffff, v4
	v_lshrrev_b32_e32 v3, 23, v2
	s_mov_b32 s7, exec_lo
	v_cndmask_b32_e64 v0, v0, 0xffffff82, vcc_lo
	s_delay_alu instid0(VALU_DEP_1) | instskip(SKIP_1) | instid1(VALU_DEP_2)
	v_add3_u32 v43, v59, v0, v3
	v_add_nc_u32_e32 v0, v4, v2
                                        ; implicit-def: $vgpr2_vgpr3
                                        ; implicit-def: $vgpr4
	v_add_nc_u32_e32 v5, 14, v43
	s_delay_alu instid0(VALU_DEP_1)
	v_cmpx_ne_u32_e32 0, v5
	s_xor_b32 s7, exec_lo, s7
; %bb.11483:                            ;   in Loop: Header=BB6_8449 Depth=2
	s_delay_alu instid0(VALU_DEP_3) | instskip(SKIP_1) | instid1(VALU_DEP_1)
	v_cmp_lt_u64_e32 vcc_lo, 0xffffff, v[0:1]
	v_add_nc_u32_e32 v2, 15, v43
	v_cndmask_b32_e32 v4, v5, v2, vcc_lo
	v_cndmask_b32_e64 v2, 0, 1, vcc_lo
	s_delay_alu instid0(VALU_DEP_1)
	v_lshrrev_b64 v[2:3], v2, v[0:1]
; %bb.11484:                            ;   in Loop: Header=BB6_8449 Depth=2
	s_and_not1_saveexec_b32 s7, s7
; %bb.11485:                            ;   in Loop: Header=BB6_8449 Depth=2
	v_mov_b64_e32 v[2:3], v[0:1]
	v_bfe_u32 v4, v0, 23, 1
; %bb.11486:                            ;   in Loop: Header=BB6_8449 Depth=2
	s_or_b32 exec_lo, exec_lo, s7
	s_delay_alu instid0(VALU_DEP_2) | instskip(NEXT) | instid1(VALU_DEP_2)
	v_lshrrev_b64 v[2:3], 21, v[2:3]
	v_cmp_gt_i32_e32 vcc_lo, 32, v4
	v_min_i32_e32 v0, 31, v4
	v_cmp_eq_u32_e64 s7, 0, v4
	s_delay_alu instid0(VALU_DEP_2) | instskip(SKIP_1) | instid1(VALU_DEP_2)
	v_dual_cndmask_b32 v3, 0, v3 :: v_dual_lshlrev_b32 v0, 2, v0
	v_cndmask_b32_e32 v2, 3, v2, vcc_lo
	v_and_b32_e32 v0, 0xfc, v0
	s_delay_alu instid0(VALU_DEP_2) | instskip(NEXT) | instid1(VALU_DEP_2)
	v_cmp_eq_u64_e32 vcc_lo, 0, v[2:3]
	v_and_or_b32 v0, v2, 3, v0
	s_and_b32 s7, s7, vcc_lo
	s_delay_alu instid0(VALU_DEP_1) | instid1(SALU_CYCLE_1)
	v_cndmask_b32_e64 v0, v0, 0, s7
	s_delay_alu instid0(VALU_DEP_1)
	v_or_b32_e32 v43, v0, v45
.LBB6_11487:                            ;   in Loop: Header=BB6_8449 Depth=2
	s_or_b32 exec_lo, exec_lo, s40
                                        ; implicit-def: $vgpr45
.LBB6_11488:                            ;   in Loop: Header=BB6_8449 Depth=2
	s_and_not1_saveexec_b32 s7, s29
; %bb.11489:                            ;   in Loop: Header=BB6_8449 Depth=2
	v_or_b32_e32 v43, 0x7b, v45
; %bb.11490:                            ;   in Loop: Header=BB6_8449 Depth=2
	s_or_b32 exec_lo, exec_lo, s7
                                        ; implicit-def: $vgpr2
                                        ; implicit-def: $vgpr3
.LBB6_11491:                            ;   in Loop: Header=BB6_8449 Depth=2
	s_and_not1_saveexec_b32 s7, s28
	s_cbranch_execz .LBB6_11497
; %bb.11492:                            ;   in Loop: Header=BB6_8449 Depth=2
	s_mov_b32 s28, exec_lo
                                        ; implicit-def: $vgpr43
	v_cmpx_ne_u64_e32 0, v[0:1]
	s_xor_b32 s28, exec_lo, s28
; %bb.11493:                            ;   in Loop: Header=BB6_8449 Depth=2
	v_or_b32_e32 v43, 0x7f, v3
                                        ; implicit-def: $vgpr2
; %bb.11494:                            ;   in Loop: Header=BB6_8449 Depth=2
	s_and_not1_saveexec_b32 s28, s28
; %bb.11495:                            ;   in Loop: Header=BB6_8449 Depth=2
	v_cmp_lt_i32_e32 vcc_lo, -1, v2
	v_mov_b32_e32 v0, 0x7c
	s_delay_alu instid0(VALU_DEP_1)
	v_cndmask_b32_e32 v43, 0xfc, v0, vcc_lo
; %bb.11496:                            ;   in Loop: Header=BB6_8449 Depth=2
	s_or_b32 exec_lo, exec_lo, s28
.LBB6_11497:                            ;   in Loop: Header=BB6_8449 Depth=2
	s_delay_alu instid0(SALU_CYCLE_1) | instskip(SKIP_4) | instid1(VALU_DEP_2)
	s_or_b32 exec_lo, exec_lo, s7
	v_dual_lshlrev_b32 v0, 24, v40 :: v_dual_lshlrev_b32 v2, 16, v117
	v_lshl_or_b32 v114, v114, 8, v85
	v_mov_b32_e32 v3, 0
	s_mov_b32 s28, exec_lo
	v_or3_b32 v0, v2, v0, v114
	v_mov_b32_e32 v2, 0
	v_cmpx_ne_u32_e32 0, v85
	s_cbranch_execz .LBB6_11507
; %bb.11498:                            ;   in Loop: Header=BB6_8449 Depth=2
	v_bfrev_b32_e32 v2, 1
	s_mov_b32 s29, exec_lo
	v_cmpx_ne_u32_e32 0x80, v85
	s_cbranch_execz .LBB6_11506
; %bb.11499:                            ;   in Loop: Header=BB6_8449 Depth=2
	v_and_b32_e32 v2, 0x7c, v85
	v_and_b32_e32 v4, 3, v85
	s_delay_alu instid0(VALU_DEP_2) | instskip(SKIP_1) | instid1(SALU_CYCLE_1)
	v_cmp_ne_u32_e32 vcc_lo, 0x7c, v2
                                        ; implicit-def: $vgpr2
	s_and_saveexec_b32 s7, vcc_lo
	s_xor_b32 s7, exec_lo, s7
	s_cbranch_execz .LBB6_11503
; %bb.11500:                            ;   in Loop: Header=BB6_8449 Depth=2
	v_bfe_u32 v2, v85, 2, 5
	s_mov_b32 s40, exec_lo
	s_delay_alu instid0(VALU_DEP_1)
	v_cmpx_eq_u32_e32 0, v2
; %bb.11501:                            ;   in Loop: Header=BB6_8449 Depth=2
	v_clz_i32_u32_e32 v2, v4
	s_delay_alu instid0(VALU_DEP_1) | instskip(NEXT) | instid1(VALU_DEP_1)
	v_min_u32_e32 v2, 32, v2
	v_subrev_nc_u32_e32 v4, 29, v2
	s_delay_alu instid0(VALU_DEP_1) | instskip(NEXT) | instid1(VALU_DEP_1)
	v_lshlrev_b64_e32 v[4:5], v4, v[0:1]
	v_dual_sub_nc_u32 v2, 30, v2 :: v_dual_bitop2_b32 v4, 3, v4 bitop3:0x40
; %bb.11502:                            ;   in Loop: Header=BB6_8449 Depth=2
	s_or_b32 exec_lo, exec_lo, s40
	v_lshlrev_b32_e32 v5, 24, v85
                                        ; implicit-def: $vgpr85
	s_delay_alu instid0(VALU_DEP_1) | instskip(NEXT) | instid1(VALU_DEP_1)
	v_and_b32_e32 v5, 0x80000000, v5
	v_lshl_add_u32 v2, v2, 23, v5
	s_delay_alu instid0(VALU_DEP_1) | instskip(NEXT) | instid1(VALU_DEP_1)
	v_lshl_or_b32 v2, v4, 21, v2
                                        ; implicit-def: $vgpr4
	v_add_nc_u32_e32 v2, 0x38000000, v2
.LBB6_11503:                            ;   in Loop: Header=BB6_8449 Depth=2
	s_and_not1_saveexec_b32 s40, s7
; %bb.11504:                            ;   in Loop: Header=BB6_8449 Depth=2
	v_and_b32_e32 v2, 0x80, v85
	v_cmp_eq_u32_e32 vcc_lo, 0, v4
	s_delay_alu instid0(VALU_DEP_2) | instskip(SKIP_1) | instid1(VALU_DEP_1)
	v_cmp_eq_u32_e64 s7, 0, v2
	v_mov_b32_e32 v2, 0x7f800000
	v_cndmask_b32_e64 v2, 0xff800000, v2, s7
	s_delay_alu instid0(VALU_DEP_1)
	v_cndmask_b32_e32 v2, 0x7f800001, v2, vcc_lo
; %bb.11505:                            ;   in Loop: Header=BB6_8449 Depth=2
	s_or_b32 exec_lo, exec_lo, s40
.LBB6_11506:                            ;   in Loop: Header=BB6_8449 Depth=2
	s_delay_alu instid0(SALU_CYCLE_1)
	s_or_b32 exec_lo, exec_lo, s29
.LBB6_11507:                            ;   in Loop: Header=BB6_8449 Depth=2
	s_delay_alu instid0(SALU_CYCLE_1) | instskip(SKIP_2) | instid1(VALU_DEP_1)
	s_or_b32 exec_lo, exec_lo, s28
	v_and_b32_e32 v4, 0xff, v21
	s_mov_b32 s28, exec_lo
	v_cmpx_ne_u16_e32 0, v4
	s_cbranch_execz .LBB6_11517
; %bb.11508:                            ;   in Loop: Header=BB6_8449 Depth=2
	v_bfrev_b32_e32 v3, 1
	s_mov_b32 s29, exec_lo
	v_cmpx_ne_u16_e32 0x80, v4
	s_cbranch_execz .LBB6_11516
; %bb.11509:                            ;   in Loop: Header=BB6_8449 Depth=2
	v_and_b32_e32 v3, 0x7c, v21
	v_and_b32_e32 v4, 3, v21
	s_delay_alu instid0(VALU_DEP_2) | instskip(SKIP_1) | instid1(SALU_CYCLE_1)
	v_cmp_ne_u32_e32 vcc_lo, 0x7c, v3
                                        ; implicit-def: $vgpr3
	s_and_saveexec_b32 s7, vcc_lo
	s_xor_b32 s7, exec_lo, s7
	s_cbranch_execz .LBB6_11513
; %bb.11510:                            ;   in Loop: Header=BB6_8449 Depth=2
	v_bfe_u32 v3, v21, 2, 5
	s_mov_b32 s40, exec_lo
	s_delay_alu instid0(VALU_DEP_1)
	v_cmpx_eq_u32_e32 0, v3
; %bb.11511:                            ;   in Loop: Header=BB6_8449 Depth=2
	v_clz_i32_u32_e32 v3, v4
	v_dual_mov_b32 v4, v21 :: v_dual_mov_b32 v5, v1
	s_delay_alu instid0(VALU_DEP_2) | instskip(NEXT) | instid1(VALU_DEP_1)
	v_min_u32_e32 v3, 32, v3
	v_subrev_nc_u32_e32 v85, 29, v3
	s_delay_alu instid0(VALU_DEP_1) | instskip(NEXT) | instid1(VALU_DEP_1)
	v_lshlrev_b64_e32 v[4:5], v85, v[4:5]
	v_dual_sub_nc_u32 v3, 30, v3 :: v_dual_bitop2_b32 v4, 3, v4 bitop3:0x40
; %bb.11512:                            ;   in Loop: Header=BB6_8449 Depth=2
	s_or_b32 exec_lo, exec_lo, s40
	v_lshlrev_b32_e32 v5, 24, v21
	s_delay_alu instid0(VALU_DEP_1) | instskip(NEXT) | instid1(VALU_DEP_1)
	v_and_b32_e32 v5, 0x80000000, v5
	v_lshl_add_u32 v3, v3, 23, v5
	s_delay_alu instid0(VALU_DEP_1) | instskip(NEXT) | instid1(VALU_DEP_1)
	v_lshl_or_b32 v3, v4, 21, v3
                                        ; implicit-def: $vgpr4
	v_add_nc_u32_e32 v3, 0x38000000, v3
.LBB6_11513:                            ;   in Loop: Header=BB6_8449 Depth=2
	s_and_not1_saveexec_b32 s40, s7
; %bb.11514:                            ;   in Loop: Header=BB6_8449 Depth=2
	v_bfe_i32 v3, v21, 0, 8
	v_cmp_eq_u32_e32 vcc_lo, 0, v4
	s_delay_alu instid0(VALU_DEP_2) | instskip(SKIP_1) | instid1(VALU_DEP_1)
	v_cmp_lt_i16_e64 s7, -1, v3
	v_mov_b32_e32 v3, 0x7f800000
	v_cndmask_b32_e64 v3, 0xff800000, v3, s7
	s_delay_alu instid0(VALU_DEP_1)
	v_cndmask_b32_e32 v3, 0x7f800001, v3, vcc_lo
; %bb.11515:                            ;   in Loop: Header=BB6_8449 Depth=2
	s_or_b32 exec_lo, exec_lo, s40
.LBB6_11516:                            ;   in Loop: Header=BB6_8449 Depth=2
	s_delay_alu instid0(SALU_CYCLE_1)
	s_or_b32 exec_lo, exec_lo, s29
.LBB6_11517:                            ;   in Loop: Header=BB6_8449 Depth=2
	s_delay_alu instid0(SALU_CYCLE_1) | instskip(NEXT) | instid1(VALU_DEP_1)
	s_or_b32 exec_lo, exec_lo, s28
	v_dual_add_f32 v4, v2, v3 :: v_dual_mov_b32 v63, v1
	v_mov_b32_e32 v3, v1
                                        ; implicit-def: $vgpr85
	s_mov_b32 s7, exec_lo
	s_delay_alu instid0(VALU_DEP_2) | instskip(SKIP_2) | instid1(VALU_DEP_3)
	v_and_b32_e32 v62, 0x7f800000, v4
	v_and_b32_e32 v2, 0x7fffff, v4
	v_lshrrev_b32_e32 v5, 24, v4
	v_cmpx_ne_u64_e32 0x7f800000, v[62:63]
	s_xor_b32 s28, exec_lo, s7
	s_cbranch_execz .LBB6_11531
; %bb.11518:                            ;   in Loop: Header=BB6_8449 Depth=2
	v_and_b32_e32 v62, 0x7fffffff, v4
	v_mov_b32_e32 v63, v1
	v_and_b32_e32 v117, 0x80, v5
                                        ; implicit-def: $vgpr85
	s_mov_b32 s7, exec_lo
	s_delay_alu instid0(VALU_DEP_2)
	v_cmpx_gt_u64_e32 0x47600001, v[62:63]
	s_xor_b32 s29, exec_lo, s7
	s_cbranch_execz .LBB6_11528
; %bb.11519:                            ;   in Loop: Header=BB6_8449 Depth=2
	v_mov_b32_e32 v85, 0
	s_mov_b32 s40, exec_lo
	v_cmpx_ne_u32_e32 0, v4
	s_cbranch_execz .LBB6_11527
; %bb.11520:                            ;   in Loop: Header=BB6_8449 Depth=2
	v_bfe_u32 v85, v4, 23, 8
	v_or_b32_e32 v5, 0x800000, v2
	s_delay_alu instid0(VALU_DEP_2) | instskip(SKIP_2) | instid1(VALU_DEP_2)
	v_cmp_gt_u32_e64 s7, 0x72, v85
	v_sub_nc_u32_e32 v4, 0x71, v85
	v_cmp_eq_u32_e32 vcc_lo, 0, v85
	v_dual_cndmask_b32 v4, 0, v4, s7 :: v_dual_cndmask_b32 v2, v5, v2, vcc_lo
	s_delay_alu instid0(VALU_DEP_1) | instskip(NEXT) | instid1(VALU_DEP_1)
	v_cndmask_b32_e64 v40, v4, 0x70, vcc_lo
	v_dual_add_nc_u32 v4, 21, v40 :: v_dual_add_nc_u32 v45, 20, v40
	s_delay_alu instid0(VALU_DEP_1) | instskip(NEXT) | instid1(VALU_DEP_2)
	v_lshlrev_b64_e64 v[4:5], v4, -1
	v_lshlrev_b64_e64 v[62:63], v45, 1
	s_delay_alu instid0(VALU_DEP_2) | instskip(SKIP_1) | instid1(VALU_DEP_4)
	v_bfi_b32 v4, v4, 0, v2
	v_lshrrev_b64 v[2:3], v40, v[2:3]
	v_bfi_b32 v5, v5, 0, 0
	s_delay_alu instid0(VALU_DEP_1) | instskip(NEXT) | instid1(VALU_DEP_3)
	v_cmp_eq_u64_e64 s7, v[4:5], v[62:63]
	v_mov_b64_e32 v[4:5], v[2:3]
	s_and_saveexec_b32 s41, s7
; %bb.11521:                            ;   in Loop: Header=BB6_8449 Depth=2
	v_bfe_u32 v4, v2, 21, 1
	v_mov_b32_e32 v5, v1
	s_delay_alu instid0(VALU_DEP_1) | instskip(NEXT) | instid1(VALU_DEP_1)
	v_add_nc_u64_e32 v[4:5], v[2:3], v[4:5]
	v_add_nc_u64_e32 v[4:5], -1, v[4:5]
; %bb.11522:                            ;   in Loop: Header=BB6_8449 Depth=2
	s_or_b32 exec_lo, exec_lo, s41
	v_add_nc_u32_e32 v3, 0xffffff81, v85
	v_lshrrev_b32_e32 v5, 23, v2
	s_mov_b32 s7, exec_lo
	s_delay_alu instid0(VALU_DEP_2) | instskip(NEXT) | instid1(VALU_DEP_1)
	v_cndmask_b32_e64 v3, v3, 0xffffff82, vcc_lo
	v_add3_u32 v85, v40, v3, v5
	v_and_b32_e32 v3, 0x1fffff, v4
                                        ; implicit-def: $vgpr4
	s_delay_alu instid0(VALU_DEP_1) | instskip(SKIP_1) | instid1(VALU_DEP_2)
	v_dual_add_nc_u32 v5, 14, v85 :: v_dual_add_nc_u32 v2, v3, v2
	v_mov_b32_e32 v3, v1
	v_cmpx_ne_u32_e32 0, v5
	s_xor_b32 s7, exec_lo, s7
; %bb.11523:                            ;   in Loop: Header=BB6_8449 Depth=2
	s_delay_alu instid0(VALU_DEP_2) | instskip(SKIP_1) | instid1(VALU_DEP_1)
	v_cmp_lt_u64_e32 vcc_lo, 0xffffff, v[2:3]
	v_add_nc_u32_e32 v4, 15, v85
	v_cndmask_b32_e32 v4, v5, v4, vcc_lo
	v_cndmask_b32_e64 v5, 0, 1, vcc_lo
	s_delay_alu instid0(VALU_DEP_1)
	v_lshrrev_b64 v[2:3], v5, v[2:3]
; %bb.11524:                            ;   in Loop: Header=BB6_8449 Depth=2
	s_and_not1_saveexec_b32 s7, s7
; %bb.11525:                            ;   in Loop: Header=BB6_8449 Depth=2
	s_delay_alu instid0(VALU_DEP_1)
	v_bfe_u32 v4, v2, 23, 1
; %bb.11526:                            ;   in Loop: Header=BB6_8449 Depth=2
	s_or_b32 exec_lo, exec_lo, s7
	s_delay_alu instid0(VALU_DEP_2) | instskip(NEXT) | instid1(VALU_DEP_2)
	v_lshrrev_b64 v[2:3], 21, v[2:3]
	v_cmp_gt_i32_e32 vcc_lo, 32, v4
	v_min_i32_e32 v5, 31, v4
	v_cmp_eq_u32_e64 s7, 0, v4
	s_delay_alu instid0(VALU_DEP_2) | instskip(SKIP_1) | instid1(VALU_DEP_2)
	v_dual_cndmask_b32 v3, 0, v3, vcc_lo :: v_dual_lshlrev_b32 v5, 2, v5
	v_cndmask_b32_e32 v2, 3, v2, vcc_lo
	v_and_b32_e32 v5, 0xfc, v5
	s_delay_alu instid0(VALU_DEP_2) | instskip(NEXT) | instid1(VALU_DEP_2)
	v_cmp_eq_u64_e32 vcc_lo, 0, v[2:3]
	v_and_or_b32 v2, v2, 3, v5
	s_and_b32 s7, s7, vcc_lo
	s_delay_alu instid0(VALU_DEP_1) | instid1(SALU_CYCLE_1)
	v_cndmask_b32_e64 v2, v2, 0, s7
	s_delay_alu instid0(VALU_DEP_1)
	v_or_b32_e32 v85, v2, v117
.LBB6_11527:                            ;   in Loop: Header=BB6_8449 Depth=2
	s_or_b32 exec_lo, exec_lo, s40
                                        ; implicit-def: $vgpr117
.LBB6_11528:                            ;   in Loop: Header=BB6_8449 Depth=2
	s_and_not1_saveexec_b32 s7, s29
; %bb.11529:                            ;   in Loop: Header=BB6_8449 Depth=2
	v_or_b32_e32 v85, 0x7b, v117
; %bb.11530:                            ;   in Loop: Header=BB6_8449 Depth=2
	s_or_b32 exec_lo, exec_lo, s7
                                        ; implicit-def: $vgpr4
                                        ; implicit-def: $vgpr2_vgpr3
                                        ; implicit-def: $vgpr5
.LBB6_11531:                            ;   in Loop: Header=BB6_8449 Depth=2
	s_and_not1_saveexec_b32 s7, s28
	s_cbranch_execz .LBB6_11537
; %bb.11532:                            ;   in Loop: Header=BB6_8449 Depth=2
	s_mov_b32 s28, exec_lo
                                        ; implicit-def: $vgpr85
	v_cmpx_ne_u64_e32 0, v[2:3]
	s_xor_b32 s28, exec_lo, s28
; %bb.11533:                            ;   in Loop: Header=BB6_8449 Depth=2
	v_or_b32_e32 v85, 0x7f, v5
                                        ; implicit-def: $vgpr4
; %bb.11534:                            ;   in Loop: Header=BB6_8449 Depth=2
	s_and_not1_saveexec_b32 s28, s28
; %bb.11535:                            ;   in Loop: Header=BB6_8449 Depth=2
	v_cmp_lt_i32_e32 vcc_lo, -1, v4
	v_mov_b32_e32 v2, 0x7c
	s_delay_alu instid0(VALU_DEP_1)
	v_cndmask_b32_e32 v85, 0xfc, v2, vcc_lo
; %bb.11536:                            ;   in Loop: Header=BB6_8449 Depth=2
	s_or_b32 exec_lo, exec_lo, s28
.LBB6_11537:                            ;   in Loop: Header=BB6_8449 Depth=2
	s_delay_alu instid0(SALU_CYCLE_1) | instskip(SKIP_3) | instid1(VALU_DEP_2)
	s_or_b32 exec_lo, exec_lo, s7
	v_lshrrev_b16 v2, 8, v114
	v_dual_mov_b32 v4, 0 :: v_dual_mov_b32 v5, 0
	s_mov_b32 s28, exec_lo
	v_cmpx_ne_u16_e32 0, v2
	s_cbranch_execz .LBB6_11547
; %bb.11538:                            ;   in Loop: Header=BB6_8449 Depth=2
	v_bfrev_b32_e32 v5, 1
	s_mov_b32 s29, exec_lo
	v_cmpx_ne_u16_e32 0x80, v2
	s_cbranch_execz .LBB6_11546
; %bb.11539:                            ;   in Loop: Header=BB6_8449 Depth=2
	v_and_b32_e32 v117, 0xffff, v2
	s_delay_alu instid0(VALU_DEP_1) | instskip(SKIP_1) | instid1(VALU_DEP_2)
	v_and_b32_e32 v5, 0x7c, v117
	v_and_b32_e32 v3, 3, v117
	v_cmp_ne_u32_e32 vcc_lo, 0x7c, v5
                                        ; implicit-def: $vgpr5
	s_and_saveexec_b32 s7, vcc_lo
	s_delay_alu instid0(SALU_CYCLE_1)
	s_xor_b32 s7, exec_lo, s7
	s_cbranch_execz .LBB6_11543
; %bb.11540:                            ;   in Loop: Header=BB6_8449 Depth=2
	v_bfe_u32 v5, v117, 2, 5
	s_mov_b32 s40, exec_lo
	s_delay_alu instid0(VALU_DEP_1)
	v_cmpx_eq_u32_e32 0, v5
	s_cbranch_execz .LBB6_11542
; %bb.11541:                            ;   in Loop: Header=BB6_8449 Depth=2
	v_clz_i32_u32_e32 v3, v3
	s_delay_alu instid0(VALU_DEP_1) | instskip(SKIP_1) | instid1(VALU_DEP_2)
	v_min_u32_e32 v5, 32, v3
	v_mov_b32_e32 v3, v1
	v_subrev_nc_u32_e32 v117, 29, v5
	v_sub_nc_u32_e32 v5, 30, v5
	s_delay_alu instid0(VALU_DEP_2) | instskip(NEXT) | instid1(VALU_DEP_1)
	v_lshlrev_b64_e32 v[2:3], v117, v[2:3]
	v_and_b32_e32 v3, 3, v2
.LBB6_11542:                            ;   in Loop: Header=BB6_8449 Depth=2
	s_or_b32 exec_lo, exec_lo, s40
	v_lshlrev_b32_e32 v2, 16, v114
                                        ; implicit-def: $vgpr114
	s_delay_alu instid0(VALU_DEP_1) | instskip(NEXT) | instid1(VALU_DEP_1)
	v_and_b32_e32 v2, 0x80000000, v2
	v_lshl_add_u32 v2, v5, 23, v2
	s_delay_alu instid0(VALU_DEP_1) | instskip(NEXT) | instid1(VALU_DEP_1)
	v_lshl_or_b32 v2, v3, 21, v2
                                        ; implicit-def: $vgpr3
	v_add_nc_u32_e32 v5, 0x38000000, v2
.LBB6_11543:                            ;   in Loop: Header=BB6_8449 Depth=2
	s_and_not1_saveexec_b32 s40, s7
; %bb.11544:                            ;   in Loop: Header=BB6_8449 Depth=2
	v_cmp_lt_i16_e64 s7, -1, v114
	v_mov_b32_e32 v2, 0x7f800000
	v_cmp_eq_u32_e32 vcc_lo, 0, v3
	s_delay_alu instid0(VALU_DEP_2) | instskip(NEXT) | instid1(VALU_DEP_1)
	v_cndmask_b32_e64 v2, 0xff800000, v2, s7
	v_cndmask_b32_e32 v5, 0x7f800001, v2, vcc_lo
; %bb.11545:                            ;   in Loop: Header=BB6_8449 Depth=2
	s_or_b32 exec_lo, exec_lo, s40
.LBB6_11546:                            ;   in Loop: Header=BB6_8449 Depth=2
	s_delay_alu instid0(SALU_CYCLE_1)
	s_or_b32 exec_lo, exec_lo, s29
.LBB6_11547:                            ;   in Loop: Header=BB6_8449 Depth=2
	s_delay_alu instid0(SALU_CYCLE_1) | instskip(SKIP_2) | instid1(VALU_DEP_1)
	s_or_b32 exec_lo, exec_lo, s28
	v_lshrrev_b16 v2, 8, v21
	s_mov_b32 s28, exec_lo
	v_cmpx_ne_u16_e32 0, v2
	s_cbranch_execz .LBB6_11557
; %bb.11548:                            ;   in Loop: Header=BB6_8449 Depth=2
	v_bfrev_b32_e32 v4, 1
	s_mov_b32 s29, exec_lo
	v_cmpx_ne_u16_e32 0x80, v2
	s_cbranch_execz .LBB6_11556
; %bb.11549:                            ;   in Loop: Header=BB6_8449 Depth=2
	v_and_b32_e32 v114, 0xffff, v2
	s_delay_alu instid0(VALU_DEP_1) | instskip(SKIP_1) | instid1(VALU_DEP_2)
	v_and_b32_e32 v4, 0x7c, v114
	v_and_b32_e32 v3, 3, v114
	v_cmp_ne_u32_e32 vcc_lo, 0x7c, v4
                                        ; implicit-def: $vgpr4
	s_and_saveexec_b32 s7, vcc_lo
	s_delay_alu instid0(SALU_CYCLE_1)
	s_xor_b32 s7, exec_lo, s7
	s_cbranch_execz .LBB6_11553
; %bb.11550:                            ;   in Loop: Header=BB6_8449 Depth=2
	v_bfe_u32 v4, v114, 2, 5
	s_mov_b32 s40, exec_lo
	s_delay_alu instid0(VALU_DEP_1)
	v_cmpx_eq_u32_e32 0, v4
	s_cbranch_execz .LBB6_11552
; %bb.11551:                            ;   in Loop: Header=BB6_8449 Depth=2
	v_clz_i32_u32_e32 v3, v3
	s_delay_alu instid0(VALU_DEP_1) | instskip(SKIP_1) | instid1(VALU_DEP_2)
	v_min_u32_e32 v4, 32, v3
	v_mov_b32_e32 v3, v1
	v_subrev_nc_u32_e32 v114, 29, v4
	v_sub_nc_u32_e32 v4, 30, v4
	s_delay_alu instid0(VALU_DEP_2) | instskip(NEXT) | instid1(VALU_DEP_1)
	v_lshlrev_b64_e32 v[2:3], v114, v[2:3]
	v_and_b32_e32 v3, 3, v2
.LBB6_11552:                            ;   in Loop: Header=BB6_8449 Depth=2
	s_or_b32 exec_lo, exec_lo, s40
	v_lshlrev_b32_e32 v2, 16, v21
	s_delay_alu instid0(VALU_DEP_1) | instskip(NEXT) | instid1(VALU_DEP_1)
	v_and_b32_e32 v2, 0x80000000, v2
	v_lshl_add_u32 v2, v4, 23, v2
	s_delay_alu instid0(VALU_DEP_1) | instskip(NEXT) | instid1(VALU_DEP_1)
	v_lshl_or_b32 v2, v3, 21, v2
                                        ; implicit-def: $vgpr3
	v_add_nc_u32_e32 v4, 0x38000000, v2
.LBB6_11553:                            ;   in Loop: Header=BB6_8449 Depth=2
	s_and_not1_saveexec_b32 s40, s7
; %bb.11554:                            ;   in Loop: Header=BB6_8449 Depth=2
	v_cmp_lt_i16_e64 s7, -1, v21
	v_mov_b32_e32 v2, 0x7f800000
	v_cmp_eq_u32_e32 vcc_lo, 0, v3
	s_delay_alu instid0(VALU_DEP_2) | instskip(NEXT) | instid1(VALU_DEP_1)
	v_cndmask_b32_e64 v2, 0xff800000, v2, s7
	v_cndmask_b32_e32 v4, 0x7f800001, v2, vcc_lo
; %bb.11555:                            ;   in Loop: Header=BB6_8449 Depth=2
	s_or_b32 exec_lo, exec_lo, s40
.LBB6_11556:                            ;   in Loop: Header=BB6_8449 Depth=2
	s_delay_alu instid0(SALU_CYCLE_1)
	s_or_b32 exec_lo, exec_lo, s29
.LBB6_11557:                            ;   in Loop: Header=BB6_8449 Depth=2
	s_delay_alu instid0(SALU_CYCLE_1) | instskip(NEXT) | instid1(VALU_DEP_1)
	s_or_b32 exec_lo, exec_lo, s28
	v_add_f32_e32 v4, v5, v4
	v_dual_mov_b32 v63, v1 :: v_dual_mov_b32 v3, v1
                                        ; implicit-def: $vgpr114
	s_mov_b32 s7, exec_lo
	s_delay_alu instid0(VALU_DEP_2) | instskip(SKIP_2) | instid1(VALU_DEP_3)
	v_and_b32_e32 v62, 0x7f800000, v4
	v_and_b32_e32 v2, 0x7fffff, v4
	v_lshrrev_b32_e32 v5, 24, v4
	v_cmpx_ne_u64_e32 0x7f800000, v[62:63]
	s_xor_b32 s28, exec_lo, s7
	s_cbranch_execz .LBB6_11571
; %bb.11558:                            ;   in Loop: Header=BB6_8449 Depth=2
	v_and_b32_e32 v62, 0x7fffffff, v4
	v_mov_b32_e32 v63, v1
	v_and_b32_e32 v117, 0x80, v5
                                        ; implicit-def: $vgpr114
	s_mov_b32 s7, exec_lo
	s_delay_alu instid0(VALU_DEP_2)
	v_cmpx_gt_u64_e32 0x47600001, v[62:63]
	s_xor_b32 s29, exec_lo, s7
	s_cbranch_execz .LBB6_11568
; %bb.11559:                            ;   in Loop: Header=BB6_8449 Depth=2
	v_mov_b32_e32 v114, 0
	s_mov_b32 s40, exec_lo
	v_cmpx_ne_u32_e32 0, v4
	s_cbranch_execz .LBB6_11567
; %bb.11560:                            ;   in Loop: Header=BB6_8449 Depth=2
	v_bfe_u32 v114, v4, 23, 8
	v_or_b32_e32 v5, 0x800000, v2
	s_delay_alu instid0(VALU_DEP_2) | instskip(SKIP_2) | instid1(VALU_DEP_2)
	v_cmp_gt_u32_e64 s7, 0x72, v114
	v_sub_nc_u32_e32 v4, 0x71, v114
	v_cmp_eq_u32_e32 vcc_lo, 0, v114
	v_dual_cndmask_b32 v4, 0, v4, s7 :: v_dual_cndmask_b32 v2, v5, v2, vcc_lo
	s_delay_alu instid0(VALU_DEP_1) | instskip(NEXT) | instid1(VALU_DEP_1)
	v_cndmask_b32_e64 v40, v4, 0x70, vcc_lo
	v_dual_add_nc_u32 v4, 21, v40 :: v_dual_add_nc_u32 v45, 20, v40
	s_delay_alu instid0(VALU_DEP_1) | instskip(NEXT) | instid1(VALU_DEP_2)
	v_lshlrev_b64_e64 v[4:5], v4, -1
	v_lshlrev_b64_e64 v[62:63], v45, 1
	s_delay_alu instid0(VALU_DEP_2) | instskip(SKIP_1) | instid1(VALU_DEP_4)
	v_bfi_b32 v4, v4, 0, v2
	v_lshrrev_b64 v[2:3], v40, v[2:3]
	v_bfi_b32 v5, v5, 0, 0
	s_delay_alu instid0(VALU_DEP_1) | instskip(NEXT) | instid1(VALU_DEP_3)
	v_cmp_eq_u64_e64 s7, v[4:5], v[62:63]
	v_mov_b64_e32 v[4:5], v[2:3]
	s_and_saveexec_b32 s41, s7
; %bb.11561:                            ;   in Loop: Header=BB6_8449 Depth=2
	v_bfe_u32 v4, v2, 21, 1
	v_mov_b32_e32 v5, v1
	s_delay_alu instid0(VALU_DEP_1) | instskip(NEXT) | instid1(VALU_DEP_1)
	v_add_nc_u64_e32 v[4:5], v[2:3], v[4:5]
	v_add_nc_u64_e32 v[4:5], -1, v[4:5]
; %bb.11562:                            ;   in Loop: Header=BB6_8449 Depth=2
	s_or_b32 exec_lo, exec_lo, s41
	v_add_nc_u32_e32 v3, 0xffffff81, v114
	v_lshrrev_b32_e32 v5, 23, v2
	s_mov_b32 s7, exec_lo
	s_delay_alu instid0(VALU_DEP_2) | instskip(NEXT) | instid1(VALU_DEP_1)
	v_cndmask_b32_e64 v3, v3, 0xffffff82, vcc_lo
	v_add3_u32 v114, v40, v3, v5
	v_and_b32_e32 v3, 0x1fffff, v4
                                        ; implicit-def: $vgpr4
	s_delay_alu instid0(VALU_DEP_2) | instskip(NEXT) | instid1(VALU_DEP_2)
	v_add_nc_u32_e32 v5, 14, v114
	v_dual_mov_b32 v3, v1 :: v_dual_add_nc_u32 v2, v3, v2
	s_delay_alu instid0(VALU_DEP_2)
	v_cmpx_ne_u32_e32 0, v5
	s_xor_b32 s7, exec_lo, s7
; %bb.11563:                            ;   in Loop: Header=BB6_8449 Depth=2
	s_delay_alu instid0(VALU_DEP_2) | instskip(SKIP_1) | instid1(VALU_DEP_1)
	v_cmp_lt_u64_e32 vcc_lo, 0xffffff, v[2:3]
	v_add_nc_u32_e32 v4, 15, v114
	v_cndmask_b32_e32 v4, v5, v4, vcc_lo
	v_cndmask_b32_e64 v5, 0, 1, vcc_lo
	s_delay_alu instid0(VALU_DEP_1)
	v_lshrrev_b64 v[2:3], v5, v[2:3]
; %bb.11564:                            ;   in Loop: Header=BB6_8449 Depth=2
	s_and_not1_saveexec_b32 s7, s7
; %bb.11565:                            ;   in Loop: Header=BB6_8449 Depth=2
	s_delay_alu instid0(VALU_DEP_1)
	v_bfe_u32 v4, v2, 23, 1
; %bb.11566:                            ;   in Loop: Header=BB6_8449 Depth=2
	s_or_b32 exec_lo, exec_lo, s7
	s_delay_alu instid0(VALU_DEP_2) | instskip(NEXT) | instid1(VALU_DEP_2)
	v_lshrrev_b64 v[2:3], 21, v[2:3]
	v_cmp_gt_i32_e32 vcc_lo, 32, v4
	v_min_i32_e32 v5, 31, v4
	v_cmp_eq_u32_e64 s7, 0, v4
	s_delay_alu instid0(VALU_DEP_2) | instskip(SKIP_1) | instid1(VALU_DEP_2)
	v_dual_cndmask_b32 v3, 0, v3, vcc_lo :: v_dual_lshlrev_b32 v5, 2, v5
	v_cndmask_b32_e32 v2, 3, v2, vcc_lo
	v_and_b32_e32 v5, 0xfc, v5
	s_delay_alu instid0(VALU_DEP_2) | instskip(NEXT) | instid1(VALU_DEP_2)
	v_cmp_eq_u64_e32 vcc_lo, 0, v[2:3]
	v_and_or_b32 v2, v2, 3, v5
	s_and_b32 s7, s7, vcc_lo
	s_delay_alu instid0(VALU_DEP_1) | instid1(SALU_CYCLE_1)
	v_cndmask_b32_e64 v2, v2, 0, s7
	s_delay_alu instid0(VALU_DEP_1)
	v_or_b32_e32 v114, v2, v117
.LBB6_11567:                            ;   in Loop: Header=BB6_8449 Depth=2
	s_or_b32 exec_lo, exec_lo, s40
                                        ; implicit-def: $vgpr117
.LBB6_11568:                            ;   in Loop: Header=BB6_8449 Depth=2
	s_and_not1_saveexec_b32 s7, s29
; %bb.11569:                            ;   in Loop: Header=BB6_8449 Depth=2
	v_or_b32_e32 v114, 0x7b, v117
; %bb.11570:                            ;   in Loop: Header=BB6_8449 Depth=2
	s_or_b32 exec_lo, exec_lo, s7
                                        ; implicit-def: $vgpr4
                                        ; implicit-def: $vgpr2_vgpr3
                                        ; implicit-def: $vgpr5
.LBB6_11571:                            ;   in Loop: Header=BB6_8449 Depth=2
	s_and_not1_saveexec_b32 s7, s28
	s_cbranch_execz .LBB6_11577
; %bb.11572:                            ;   in Loop: Header=BB6_8449 Depth=2
	s_mov_b32 s28, exec_lo
                                        ; implicit-def: $vgpr114
	v_cmpx_ne_u64_e32 0, v[2:3]
	s_xor_b32 s28, exec_lo, s28
; %bb.11573:                            ;   in Loop: Header=BB6_8449 Depth=2
	v_or_b32_e32 v114, 0x7f, v5
                                        ; implicit-def: $vgpr4
; %bb.11574:                            ;   in Loop: Header=BB6_8449 Depth=2
	s_and_not1_saveexec_b32 s28, s28
; %bb.11575:                            ;   in Loop: Header=BB6_8449 Depth=2
	v_cmp_lt_i32_e32 vcc_lo, -1, v4
	v_mov_b32_e32 v2, 0x7c
	s_delay_alu instid0(VALU_DEP_1)
	v_cndmask_b32_e32 v114, 0xfc, v2, vcc_lo
; %bb.11576:                            ;   in Loop: Header=BB6_8449 Depth=2
	s_or_b32 exec_lo, exec_lo, s28
.LBB6_11577:                            ;   in Loop: Header=BB6_8449 Depth=2
	s_delay_alu instid0(SALU_CYCLE_1) | instskip(SKIP_3) | instid1(VALU_DEP_2)
	s_or_b32 exec_lo, exec_lo, s7
	v_dual_mov_b32 v3, 0 :: v_dual_lshrrev_b32 v2, 16, v0
	v_mov_b32_e32 v4, 0
	s_mov_b32 s28, exec_lo
	v_and_b32_e32 v5, 0xff, v2
	s_delay_alu instid0(VALU_DEP_1)
	v_cmpx_ne_u16_e32 0, v5
	s_cbranch_execz .LBB6_11587
; %bb.11578:                            ;   in Loop: Header=BB6_8449 Depth=2
	v_bfrev_b32_e32 v4, 1
	s_mov_b32 s29, exec_lo
	v_cmpx_ne_u16_e32 0x80, v5
	s_cbranch_execz .LBB6_11586
; %bb.11579:                            ;   in Loop: Header=BB6_8449 Depth=2
	v_and_b32_e32 v4, 0x7c0000, v0
	v_bfe_u32 v5, v0, 16, 2
	s_delay_alu instid0(VALU_DEP_2) | instskip(SKIP_1) | instid1(SALU_CYCLE_1)
	v_cmp_ne_u32_e32 vcc_lo, 0x7c0000, v4
                                        ; implicit-def: $vgpr4
	s_and_saveexec_b32 s7, vcc_lo
	s_xor_b32 s7, exec_lo, s7
	s_cbranch_execz .LBB6_11583
; %bb.11580:                            ;   in Loop: Header=BB6_8449 Depth=2
	v_bfe_u32 v4, v0, 18, 5
	s_mov_b32 s40, exec_lo
	s_delay_alu instid0(VALU_DEP_1)
	v_cmpx_eq_u32_e32 0, v4
; %bb.11581:                            ;   in Loop: Header=BB6_8449 Depth=2
	v_clz_i32_u32_e32 v4, v5
	s_delay_alu instid0(VALU_DEP_1) | instskip(NEXT) | instid1(VALU_DEP_1)
	v_min_u32_e32 v4, 32, v4
	v_subrev_nc_u32_e32 v5, 29, v4
	s_delay_alu instid0(VALU_DEP_1) | instskip(NEXT) | instid1(VALU_DEP_1)
	v_lshlrev_b64_e32 v[62:63], v5, v[2:3]
	v_dual_sub_nc_u32 v4, 30, v4 :: v_dual_bitop2_b32 v5, 3, v62 bitop3:0x40
; %bb.11582:                            ;   in Loop: Header=BB6_8449 Depth=2
	s_or_b32 exec_lo, exec_lo, s40
	v_lshlrev_b32_e32 v2, 24, v2
	s_delay_alu instid0(VALU_DEP_1) | instskip(NEXT) | instid1(VALU_DEP_1)
	v_and_b32_e32 v2, 0x80000000, v2
	v_lshl_add_u32 v2, v4, 23, v2
	s_delay_alu instid0(VALU_DEP_1) | instskip(NEXT) | instid1(VALU_DEP_1)
	v_lshl_or_b32 v2, v5, 21, v2
                                        ; implicit-def: $vgpr5
	v_add_nc_u32_e32 v4, 0x38000000, v2
                                        ; implicit-def: $vgpr2
.LBB6_11583:                            ;   in Loop: Header=BB6_8449 Depth=2
	s_and_not1_saveexec_b32 s40, s7
; %bb.11584:                            ;   in Loop: Header=BB6_8449 Depth=2
	v_bfe_i32 v2, v2, 0, 8
	v_cmp_eq_u32_e32 vcc_lo, 0, v5
	s_delay_alu instid0(VALU_DEP_2) | instskip(SKIP_1) | instid1(VALU_DEP_1)
	v_cmp_lt_i16_e64 s7, -1, v2
	v_mov_b32_e32 v2, 0x7f800000
	v_cndmask_b32_e64 v2, 0xff800000, v2, s7
	s_delay_alu instid0(VALU_DEP_1)
	v_cndmask_b32_e32 v4, 0x7f800001, v2, vcc_lo
; %bb.11585:                            ;   in Loop: Header=BB6_8449 Depth=2
	s_or_b32 exec_lo, exec_lo, s40
.LBB6_11586:                            ;   in Loop: Header=BB6_8449 Depth=2
	s_delay_alu instid0(SALU_CYCLE_1)
	s_or_b32 exec_lo, exec_lo, s29
.LBB6_11587:                            ;   in Loop: Header=BB6_8449 Depth=2
	s_delay_alu instid0(SALU_CYCLE_1) | instskip(SKIP_2) | instid1(VALU_DEP_1)
	s_or_b32 exec_lo, exec_lo, s28
	v_lshrrev_b32_e32 v2, 16, v21
	s_mov_b32 s28, exec_lo
	v_and_b32_e32 v5, 0xff, v2
	s_delay_alu instid0(VALU_DEP_1)
	v_cmpx_ne_u16_e32 0, v5
	s_cbranch_execz .LBB6_11597
; %bb.11588:                            ;   in Loop: Header=BB6_8449 Depth=2
	v_bfrev_b32_e32 v3, 1
	s_mov_b32 s29, exec_lo
	v_cmpx_ne_u16_e32 0x80, v5
	s_cbranch_execz .LBB6_11596
; %bb.11589:                            ;   in Loop: Header=BB6_8449 Depth=2
	v_and_b32_e32 v3, 0x7c0000, v21
	v_bfe_u32 v5, v21, 16, 2
	s_delay_alu instid0(VALU_DEP_2) | instskip(SKIP_1) | instid1(SALU_CYCLE_1)
	v_cmp_ne_u32_e32 vcc_lo, 0x7c0000, v3
                                        ; implicit-def: $vgpr3
	s_and_saveexec_b32 s7, vcc_lo
	s_xor_b32 s7, exec_lo, s7
	s_cbranch_execz .LBB6_11593
; %bb.11590:                            ;   in Loop: Header=BB6_8449 Depth=2
	v_bfe_u32 v3, v21, 18, 5
	s_mov_b32 s40, exec_lo
	s_delay_alu instid0(VALU_DEP_1)
	v_cmpx_eq_u32_e32 0, v3
; %bb.11591:                            ;   in Loop: Header=BB6_8449 Depth=2
	v_clz_i32_u32_e32 v3, v5
	s_delay_alu instid0(VALU_DEP_1) | instskip(NEXT) | instid1(VALU_DEP_1)
	v_min_u32_e32 v3, 32, v3
	v_subrev_nc_u32_e32 v5, 29, v3
	s_delay_alu instid0(VALU_DEP_1) | instskip(NEXT) | instid1(VALU_DEP_1)
	v_lshlrev_b64_e32 v[62:63], v5, v[2:3]
	v_dual_sub_nc_u32 v3, 30, v3 :: v_dual_bitop2_b32 v5, 3, v62 bitop3:0x40
; %bb.11592:                            ;   in Loop: Header=BB6_8449 Depth=2
	s_or_b32 exec_lo, exec_lo, s40
	v_lshlrev_b32_e32 v2, 24, v2
	s_delay_alu instid0(VALU_DEP_1) | instskip(NEXT) | instid1(VALU_DEP_1)
	v_and_b32_e32 v2, 0x80000000, v2
	v_lshl_add_u32 v2, v3, 23, v2
	s_delay_alu instid0(VALU_DEP_1) | instskip(NEXT) | instid1(VALU_DEP_1)
	v_lshl_or_b32 v2, v5, 21, v2
                                        ; implicit-def: $vgpr5
	v_add_nc_u32_e32 v3, 0x38000000, v2
                                        ; implicit-def: $vgpr2
.LBB6_11593:                            ;   in Loop: Header=BB6_8449 Depth=2
	s_and_not1_saveexec_b32 s40, s7
; %bb.11594:                            ;   in Loop: Header=BB6_8449 Depth=2
	v_bfe_i32 v2, v2, 0, 8
	v_cmp_eq_u32_e32 vcc_lo, 0, v5
	s_delay_alu instid0(VALU_DEP_2) | instskip(SKIP_1) | instid1(VALU_DEP_1)
	v_cmp_lt_i16_e64 s7, -1, v2
	v_mov_b32_e32 v2, 0x7f800000
	v_cndmask_b32_e64 v2, 0xff800000, v2, s7
	s_delay_alu instid0(VALU_DEP_1)
	v_cndmask_b32_e32 v3, 0x7f800001, v2, vcc_lo
; %bb.11595:                            ;   in Loop: Header=BB6_8449 Depth=2
	s_or_b32 exec_lo, exec_lo, s40
.LBB6_11596:                            ;   in Loop: Header=BB6_8449 Depth=2
	s_delay_alu instid0(SALU_CYCLE_1)
	s_or_b32 exec_lo, exec_lo, s29
.LBB6_11597:                            ;   in Loop: Header=BB6_8449 Depth=2
	s_delay_alu instid0(SALU_CYCLE_1) | instskip(NEXT) | instid1(VALU_DEP_1)
	s_or_b32 exec_lo, exec_lo, s28
	v_dual_add_f32 v4, v4, v3 :: v_dual_mov_b32 v63, v1
	v_mov_b32_e32 v3, v1
                                        ; implicit-def: $vgpr117
	s_mov_b32 s7, exec_lo
	s_delay_alu instid0(VALU_DEP_2) | instskip(SKIP_2) | instid1(VALU_DEP_3)
	v_and_b32_e32 v62, 0x7f800000, v4
	v_and_b32_e32 v2, 0x7fffff, v4
	v_lshrrev_b32_e32 v5, 24, v4
	v_cmpx_ne_u64_e32 0x7f800000, v[62:63]
	s_xor_b32 s28, exec_lo, s7
	s_cbranch_execz .LBB6_11611
; %bb.11598:                            ;   in Loop: Header=BB6_8449 Depth=2
	v_and_b32_e32 v62, 0x7fffffff, v4
	v_mov_b32_e32 v63, v1
	v_and_b32_e32 v40, 0x80, v5
                                        ; implicit-def: $vgpr117
	s_mov_b32 s7, exec_lo
	s_delay_alu instid0(VALU_DEP_2)
	v_cmpx_gt_u64_e32 0x47600001, v[62:63]
	s_xor_b32 s29, exec_lo, s7
	s_cbranch_execz .LBB6_11608
; %bb.11599:                            ;   in Loop: Header=BB6_8449 Depth=2
	v_mov_b32_e32 v117, 0
	s_mov_b32 s40, exec_lo
	v_cmpx_ne_u32_e32 0, v4
	s_cbranch_execz .LBB6_11607
; %bb.11600:                            ;   in Loop: Header=BB6_8449 Depth=2
	v_bfe_u32 v117, v4, 23, 8
	v_or_b32_e32 v5, 0x800000, v2
	s_delay_alu instid0(VALU_DEP_2) | instskip(SKIP_2) | instid1(VALU_DEP_2)
	v_cmp_gt_u32_e64 s7, 0x72, v117
	v_sub_nc_u32_e32 v4, 0x71, v117
	v_cmp_eq_u32_e32 vcc_lo, 0, v117
	v_dual_cndmask_b32 v4, 0, v4, s7 :: v_dual_cndmask_b32 v2, v5, v2, vcc_lo
	s_delay_alu instid0(VALU_DEP_1) | instskip(NEXT) | instid1(VALU_DEP_1)
	v_cndmask_b32_e64 v45, v4, 0x70, vcc_lo
	v_dual_add_nc_u32 v4, 21, v45 :: v_dual_add_nc_u32 v59, 20, v45
	s_delay_alu instid0(VALU_DEP_1) | instskip(NEXT) | instid1(VALU_DEP_2)
	v_lshlrev_b64_e64 v[4:5], v4, -1
	v_lshlrev_b64_e64 v[62:63], v59, 1
	s_delay_alu instid0(VALU_DEP_2) | instskip(SKIP_1) | instid1(VALU_DEP_4)
	v_bfi_b32 v4, v4, 0, v2
	v_lshrrev_b64 v[2:3], v45, v[2:3]
	v_bfi_b32 v5, v5, 0, 0
	s_delay_alu instid0(VALU_DEP_1) | instskip(NEXT) | instid1(VALU_DEP_3)
	v_cmp_eq_u64_e64 s7, v[4:5], v[62:63]
	v_mov_b64_e32 v[4:5], v[2:3]
	s_and_saveexec_b32 s41, s7
; %bb.11601:                            ;   in Loop: Header=BB6_8449 Depth=2
	v_bfe_u32 v4, v2, 21, 1
	v_mov_b32_e32 v5, v1
	s_delay_alu instid0(VALU_DEP_1) | instskip(NEXT) | instid1(VALU_DEP_1)
	v_add_nc_u64_e32 v[4:5], v[2:3], v[4:5]
	v_add_nc_u64_e32 v[4:5], -1, v[4:5]
; %bb.11602:                            ;   in Loop: Header=BB6_8449 Depth=2
	s_or_b32 exec_lo, exec_lo, s41
	v_add_nc_u32_e32 v3, 0xffffff81, v117
	v_lshrrev_b32_e32 v5, 23, v2
	s_mov_b32 s7, exec_lo
	s_delay_alu instid0(VALU_DEP_2) | instskip(NEXT) | instid1(VALU_DEP_1)
	v_cndmask_b32_e64 v3, v3, 0xffffff82, vcc_lo
	v_add3_u32 v117, v45, v3, v5
	v_and_b32_e32 v3, 0x1fffff, v4
                                        ; implicit-def: $vgpr4
	s_delay_alu instid0(VALU_DEP_1) | instskip(SKIP_1) | instid1(VALU_DEP_2)
	v_dual_add_nc_u32 v5, 14, v117 :: v_dual_add_nc_u32 v2, v3, v2
	v_mov_b32_e32 v3, v1
	v_cmpx_ne_u32_e32 0, v5
	s_xor_b32 s7, exec_lo, s7
; %bb.11603:                            ;   in Loop: Header=BB6_8449 Depth=2
	s_delay_alu instid0(VALU_DEP_2) | instskip(SKIP_1) | instid1(VALU_DEP_1)
	v_cmp_lt_u64_e32 vcc_lo, 0xffffff, v[2:3]
	v_add_nc_u32_e32 v4, 15, v117
	v_cndmask_b32_e32 v4, v5, v4, vcc_lo
	v_cndmask_b32_e64 v5, 0, 1, vcc_lo
	s_delay_alu instid0(VALU_DEP_1)
	v_lshrrev_b64 v[2:3], v5, v[2:3]
; %bb.11604:                            ;   in Loop: Header=BB6_8449 Depth=2
	s_and_not1_saveexec_b32 s7, s7
; %bb.11605:                            ;   in Loop: Header=BB6_8449 Depth=2
	s_delay_alu instid0(VALU_DEP_1)
	v_bfe_u32 v4, v2, 23, 1
; %bb.11606:                            ;   in Loop: Header=BB6_8449 Depth=2
	s_or_b32 exec_lo, exec_lo, s7
	s_delay_alu instid0(VALU_DEP_2) | instskip(NEXT) | instid1(VALU_DEP_2)
	v_lshrrev_b64 v[2:3], 21, v[2:3]
	v_cmp_gt_i32_e32 vcc_lo, 32, v4
	v_min_i32_e32 v5, 31, v4
	v_cmp_eq_u32_e64 s7, 0, v4
	s_delay_alu instid0(VALU_DEP_2) | instskip(SKIP_1) | instid1(VALU_DEP_2)
	v_dual_cndmask_b32 v3, 0, v3, vcc_lo :: v_dual_lshlrev_b32 v5, 2, v5
	v_cndmask_b32_e32 v2, 3, v2, vcc_lo
	v_and_b32_e32 v5, 0xfc, v5
	s_delay_alu instid0(VALU_DEP_2) | instskip(NEXT) | instid1(VALU_DEP_2)
	v_cmp_eq_u64_e32 vcc_lo, 0, v[2:3]
	v_and_or_b32 v2, v2, 3, v5
	s_and_b32 s7, s7, vcc_lo
	s_delay_alu instid0(VALU_DEP_1) | instid1(SALU_CYCLE_1)
	v_cndmask_b32_e64 v2, v2, 0, s7
	s_delay_alu instid0(VALU_DEP_1)
	v_or_b32_e32 v117, v2, v40
.LBB6_11607:                            ;   in Loop: Header=BB6_8449 Depth=2
	s_or_b32 exec_lo, exec_lo, s40
                                        ; implicit-def: $vgpr40
.LBB6_11608:                            ;   in Loop: Header=BB6_8449 Depth=2
	s_and_not1_saveexec_b32 s7, s29
; %bb.11609:                            ;   in Loop: Header=BB6_8449 Depth=2
	v_or_b32_e32 v117, 0x7b, v40
; %bb.11610:                            ;   in Loop: Header=BB6_8449 Depth=2
	s_or_b32 exec_lo, exec_lo, s7
                                        ; implicit-def: $vgpr4
                                        ; implicit-def: $vgpr2_vgpr3
                                        ; implicit-def: $vgpr5
.LBB6_11611:                            ;   in Loop: Header=BB6_8449 Depth=2
	s_and_not1_saveexec_b32 s7, s28
	s_cbranch_execz .LBB6_11617
; %bb.11612:                            ;   in Loop: Header=BB6_8449 Depth=2
	s_mov_b32 s28, exec_lo
                                        ; implicit-def: $vgpr117
	v_cmpx_ne_u64_e32 0, v[2:3]
	s_xor_b32 s28, exec_lo, s28
; %bb.11613:                            ;   in Loop: Header=BB6_8449 Depth=2
	v_or_b32_e32 v117, 0x7f, v5
                                        ; implicit-def: $vgpr4
; %bb.11614:                            ;   in Loop: Header=BB6_8449 Depth=2
	s_and_not1_saveexec_b32 s28, s28
; %bb.11615:                            ;   in Loop: Header=BB6_8449 Depth=2
	v_cmp_lt_i32_e32 vcc_lo, -1, v4
	v_mov_b32_e32 v2, 0x7c
	s_delay_alu instid0(VALU_DEP_1)
	v_cndmask_b32_e32 v117, 0xfc, v2, vcc_lo
; %bb.11616:                            ;   in Loop: Header=BB6_8449 Depth=2
	s_or_b32 exec_lo, exec_lo, s28
.LBB6_11617:                            ;   in Loop: Header=BB6_8449 Depth=2
	s_delay_alu instid0(SALU_CYCLE_1)
	s_or_b32 exec_lo, exec_lo, s7
	v_dual_mov_b32 v3, 0 :: v_dual_mov_b32 v4, 0
	s_mov_b32 s28, exec_lo
	v_cmpx_lt_u32_e32 0xffffff, v0
	s_cbranch_execz .LBB6_11627
; %bb.11618:                            ;   in Loop: Header=BB6_8449 Depth=2
	v_lshrrev_b32_e32 v2, 24, v0
	v_bfrev_b32_e32 v4, 1
	s_mov_b32 s29, exec_lo
	s_delay_alu instid0(VALU_DEP_2)
	v_cmpx_ne_u32_e32 0x80, v2
	s_cbranch_execz .LBB6_11626
; %bb.11619:                            ;   in Loop: Header=BB6_8449 Depth=2
	v_and_b32_e32 v4, 0x7c000000, v0
	v_bfe_u32 v5, v0, 24, 2
	s_delay_alu instid0(VALU_DEP_2) | instskip(SKIP_1) | instid1(SALU_CYCLE_1)
	v_cmp_ne_u32_e32 vcc_lo, 0x7c000000, v4
                                        ; implicit-def: $vgpr4
	s_and_saveexec_b32 s7, vcc_lo
	s_xor_b32 s7, exec_lo, s7
	s_cbranch_execz .LBB6_11623
; %bb.11620:                            ;   in Loop: Header=BB6_8449 Depth=2
	v_bfe_u32 v4, v0, 26, 5
	s_mov_b32 s40, exec_lo
	s_delay_alu instid0(VALU_DEP_1)
	v_cmpx_eq_u32_e32 0, v4
; %bb.11621:                            ;   in Loop: Header=BB6_8449 Depth=2
	v_clz_i32_u32_e32 v4, v5
	s_delay_alu instid0(VALU_DEP_1) | instskip(NEXT) | instid1(VALU_DEP_1)
	v_min_u32_e32 v4, 32, v4
	v_subrev_nc_u32_e32 v5, 29, v4
	s_delay_alu instid0(VALU_DEP_1) | instskip(NEXT) | instid1(VALU_DEP_1)
	v_lshlrev_b64_e32 v[62:63], v5, v[2:3]
	v_dual_sub_nc_u32 v4, 30, v4 :: v_dual_bitop2_b32 v5, 3, v62 bitop3:0x40
; %bb.11622:                            ;   in Loop: Header=BB6_8449 Depth=2
	s_or_b32 exec_lo, exec_lo, s40
	v_and_b32_e32 v0, 0x80000000, v0
	s_delay_alu instid0(VALU_DEP_1) | instskip(NEXT) | instid1(VALU_DEP_1)
	v_lshl_add_u32 v0, v4, 23, v0
	v_lshl_or_b32 v0, v5, 21, v0
                                        ; implicit-def: $vgpr5
	s_delay_alu instid0(VALU_DEP_1)
	v_add_nc_u32_e32 v4, 0x38000000, v0
.LBB6_11623:                            ;   in Loop: Header=BB6_8449 Depth=2
	s_and_not1_saveexec_b32 s40, s7
; %bb.11624:                            ;   in Loop: Header=BB6_8449 Depth=2
	v_cmp_lt_i32_e64 s7, -1, v0
	v_mov_b32_e32 v0, 0x7f800000
	v_cmp_eq_u32_e32 vcc_lo, 0, v5
	s_delay_alu instid0(VALU_DEP_2) | instskip(NEXT) | instid1(VALU_DEP_1)
	v_cndmask_b32_e64 v0, 0xff800000, v0, s7
	v_cndmask_b32_e32 v4, 0x7f800001, v0, vcc_lo
; %bb.11625:                            ;   in Loop: Header=BB6_8449 Depth=2
	s_or_b32 exec_lo, exec_lo, s40
.LBB6_11626:                            ;   in Loop: Header=BB6_8449 Depth=2
	s_delay_alu instid0(SALU_CYCLE_1)
	s_or_b32 exec_lo, exec_lo, s29
.LBB6_11627:                            ;   in Loop: Header=BB6_8449 Depth=2
	s_delay_alu instid0(SALU_CYCLE_1) | instskip(NEXT) | instid1(SALU_CYCLE_1)
	s_or_b32 exec_lo, exec_lo, s28
	s_mov_b32 s28, exec_lo
	v_cmpx_lt_u64_e64 s[12:13], v[20:21]
	s_cbranch_execz .LBB6_11637
; %bb.11628:                            ;   in Loop: Header=BB6_8449 Depth=2
	v_lshrrev_b32_e32 v0, 24, v21
	v_bfrev_b32_e32 v3, 1
	s_mov_b32 s29, exec_lo
	s_delay_alu instid0(VALU_DEP_2)
	v_cmpx_ne_u32_e32 0x80, v0
	s_cbranch_execz .LBB6_11636
; %bb.11629:                            ;   in Loop: Header=BB6_8449 Depth=2
	v_and_b32_e32 v3, 0x7c000000, v21
	v_bfe_u32 v2, v21, 24, 2
	s_delay_alu instid0(VALU_DEP_2) | instskip(SKIP_1) | instid1(SALU_CYCLE_1)
	v_cmp_ne_u32_e32 vcc_lo, 0x7c000000, v3
                                        ; implicit-def: $vgpr3
	s_and_saveexec_b32 s7, vcc_lo
	s_xor_b32 s7, exec_lo, s7
	s_cbranch_execz .LBB6_11633
; %bb.11630:                            ;   in Loop: Header=BB6_8449 Depth=2
	v_bfe_u32 v3, v21, 26, 5
	s_mov_b32 s40, exec_lo
	s_delay_alu instid0(VALU_DEP_1)
	v_cmpx_eq_u32_e32 0, v3
; %bb.11631:                            ;   in Loop: Header=BB6_8449 Depth=2
	v_clz_i32_u32_e32 v2, v2
	s_delay_alu instid0(VALU_DEP_1) | instskip(NEXT) | instid1(VALU_DEP_1)
	v_min_u32_e32 v5, 32, v2
	v_subrev_nc_u32_e32 v2, 29, v5
	s_delay_alu instid0(VALU_DEP_1) | instskip(NEXT) | instid1(VALU_DEP_1)
	v_lshlrev_b64_e32 v[2:3], v2, v[0:1]
	v_dual_sub_nc_u32 v3, 30, v5 :: v_dual_bitop2_b32 v2, 3, v2 bitop3:0x40
; %bb.11632:                            ;   in Loop: Header=BB6_8449 Depth=2
	s_or_b32 exec_lo, exec_lo, s40
	v_and_b32_e32 v0, 0x80000000, v21
                                        ; implicit-def: $vgpr20_vgpr21
	s_delay_alu instid0(VALU_DEP_1) | instskip(NEXT) | instid1(VALU_DEP_1)
	v_lshl_add_u32 v0, v3, 23, v0
	v_lshl_or_b32 v0, v2, 21, v0
                                        ; implicit-def: $vgpr2
	s_delay_alu instid0(VALU_DEP_1)
	v_add_nc_u32_e32 v3, 0x38000000, v0
.LBB6_11633:                            ;   in Loop: Header=BB6_8449 Depth=2
	s_and_not1_saveexec_b32 s40, s7
; %bb.11634:                            ;   in Loop: Header=BB6_8449 Depth=2
	v_cmp_lt_i64_e64 s7, -1, v[20:21]
	v_mov_b32_e32 v0, 0x7f800000
	v_cmp_eq_u32_e32 vcc_lo, 0, v2
	s_delay_alu instid0(VALU_DEP_2) | instskip(NEXT) | instid1(VALU_DEP_1)
	v_cndmask_b32_e64 v0, 0xff800000, v0, s7
	v_cndmask_b32_e32 v3, 0x7f800001, v0, vcc_lo
; %bb.11635:                            ;   in Loop: Header=BB6_8449 Depth=2
	s_or_b32 exec_lo, exec_lo, s40
.LBB6_11636:                            ;   in Loop: Header=BB6_8449 Depth=2
	s_delay_alu instid0(SALU_CYCLE_1)
	s_or_b32 exec_lo, exec_lo, s29
.LBB6_11637:                            ;   in Loop: Header=BB6_8449 Depth=2
	s_delay_alu instid0(SALU_CYCLE_1) | instskip(NEXT) | instid1(VALU_DEP_1)
	s_or_b32 exec_lo, exec_lo, s28
	v_dual_add_f32 v2, v4, v3 :: v_dual_mov_b32 v5, v1
                                        ; implicit-def: $vgpr20
	s_mov_b32 s7, exec_lo
	s_delay_alu instid0(VALU_DEP_1) | instskip(SKIP_2) | instid1(VALU_DEP_3)
	v_and_b32_e32 v4, 0x7f800000, v2
	v_and_b32_e32 v0, 0x7fffff, v2
	v_lshrrev_b32_e32 v3, 24, v2
	v_cmpx_ne_u64_e32 0x7f800000, v[4:5]
	s_xor_b32 s28, exec_lo, s7
	s_cbranch_execz .LBB6_11651
; %bb.11638:                            ;   in Loop: Header=BB6_8449 Depth=2
	v_and_b32_e32 v4, 0x7fffffff, v2
	v_mov_b32_e32 v5, v1
	v_and_b32_e32 v21, 0x80, v3
                                        ; implicit-def: $vgpr20
	s_mov_b32 s7, exec_lo
	s_delay_alu instid0(VALU_DEP_2)
	v_cmpx_gt_u64_e32 0x47600001, v[4:5]
	s_xor_b32 s29, exec_lo, s7
	s_cbranch_execz .LBB6_11648
; %bb.11639:                            ;   in Loop: Header=BB6_8449 Depth=2
	v_mov_b32_e32 v20, 0
	s_mov_b32 s40, exec_lo
	v_cmpx_ne_u32_e32 0, v2
	s_cbranch_execz .LBB6_11647
; %bb.11640:                            ;   in Loop: Header=BB6_8449 Depth=2
	v_bfe_u32 v20, v2, 23, 8
	v_or_b32_e32 v3, 0x800000, v0
	s_delay_alu instid0(VALU_DEP_2) | instskip(SKIP_2) | instid1(VALU_DEP_2)
	v_cmp_gt_u32_e64 s7, 0x72, v20
	v_sub_nc_u32_e32 v2, 0x71, v20
	v_cmp_eq_u32_e32 vcc_lo, 0, v20
	v_cndmask_b32_e64 v2, 0, v2, s7
	s_delay_alu instid0(VALU_DEP_1) | instskip(SKIP_1) | instid1(VALU_DEP_2)
	v_cndmask_b32_e64 v40, v2, 0x70, vcc_lo
	v_dual_cndmask_b32 v2, v3, v0 :: v_dual_mov_b32 v3, v1
	v_add_nc_u32_e32 v0, 21, v40
	s_delay_alu instid0(VALU_DEP_1) | instskip(SKIP_1) | instid1(VALU_DEP_1)
	v_lshlrev_b64_e64 v[4:5], v0, -1
	v_add_nc_u32_e32 v0, 20, v40
	v_lshlrev_b64_e64 v[62:63], v0, 1
	s_delay_alu instid0(VALU_DEP_3) | instskip(SKIP_2) | instid1(VALU_DEP_1)
	v_bfi_b32 v4, v4, 0, v2
	v_lshrrev_b64 v[2:3], v40, v[2:3]
	v_bfi_b32 v5, v5, 0, 0
	v_cmp_eq_u64_e64 s7, v[4:5], v[62:63]
	s_delay_alu instid0(VALU_DEP_3)
	v_mov_b64_e32 v[4:5], v[2:3]
	s_and_saveexec_b32 s41, s7
; %bb.11641:                            ;   in Loop: Header=BB6_8449 Depth=2
	v_bfe_u32 v4, v2, 21, 1
	v_mov_b32_e32 v5, v1
	s_delay_alu instid0(VALU_DEP_1) | instskip(NEXT) | instid1(VALU_DEP_1)
	v_add_nc_u64_e32 v[4:5], v[2:3], v[4:5]
	v_add_nc_u64_e32 v[4:5], -1, v[4:5]
; %bb.11642:                            ;   in Loop: Header=BB6_8449 Depth=2
	s_or_b32 exec_lo, exec_lo, s41
	v_add_nc_u32_e32 v0, 0xffffff81, v20
	s_delay_alu instid0(VALU_DEP_2) | instskip(SKIP_2) | instid1(VALU_DEP_3)
	v_and_b32_e32 v4, 0x1fffff, v4
	v_lshrrev_b32_e32 v3, 23, v2
	s_mov_b32 s7, exec_lo
	v_cndmask_b32_e64 v0, v0, 0xffffff82, vcc_lo
	s_delay_alu instid0(VALU_DEP_1) | instskip(SKIP_1) | instid1(VALU_DEP_2)
	v_add3_u32 v20, v40, v0, v3
	v_add_nc_u32_e32 v0, v4, v2
                                        ; implicit-def: $vgpr2_vgpr3
                                        ; implicit-def: $vgpr4
	v_add_nc_u32_e32 v5, 14, v20
	s_delay_alu instid0(VALU_DEP_1)
	v_cmpx_ne_u32_e32 0, v5
	s_xor_b32 s7, exec_lo, s7
; %bb.11643:                            ;   in Loop: Header=BB6_8449 Depth=2
	s_delay_alu instid0(VALU_DEP_3) | instskip(SKIP_1) | instid1(VALU_DEP_1)
	v_cmp_lt_u64_e32 vcc_lo, 0xffffff, v[0:1]
	v_add_nc_u32_e32 v2, 15, v20
	v_cndmask_b32_e32 v4, v5, v2, vcc_lo
	v_cndmask_b32_e64 v2, 0, 1, vcc_lo
	s_delay_alu instid0(VALU_DEP_1)
	v_lshrrev_b64 v[2:3], v2, v[0:1]
; %bb.11644:                            ;   in Loop: Header=BB6_8449 Depth=2
	s_and_not1_saveexec_b32 s7, s7
; %bb.11645:                            ;   in Loop: Header=BB6_8449 Depth=2
	v_mov_b64_e32 v[2:3], v[0:1]
	v_bfe_u32 v4, v0, 23, 1
; %bb.11646:                            ;   in Loop: Header=BB6_8449 Depth=2
	s_or_b32 exec_lo, exec_lo, s7
	s_delay_alu instid0(VALU_DEP_2) | instskip(NEXT) | instid1(VALU_DEP_2)
	v_lshrrev_b64 v[2:3], 21, v[2:3]
	v_cmp_gt_i32_e32 vcc_lo, 32, v4
	v_min_i32_e32 v0, 31, v4
	v_cmp_eq_u32_e64 s7, 0, v4
	s_delay_alu instid0(VALU_DEP_2) | instskip(SKIP_1) | instid1(VALU_DEP_2)
	v_dual_cndmask_b32 v3, 0, v3 :: v_dual_lshlrev_b32 v0, 2, v0
	v_cndmask_b32_e32 v2, 3, v2, vcc_lo
	v_and_b32_e32 v0, 0xfc, v0
	s_delay_alu instid0(VALU_DEP_2) | instskip(NEXT) | instid1(VALU_DEP_2)
	v_cmp_eq_u64_e32 vcc_lo, 0, v[2:3]
	v_and_or_b32 v0, v2, 3, v0
	s_and_b32 s7, s7, vcc_lo
	s_delay_alu instid0(VALU_DEP_1) | instid1(SALU_CYCLE_1)
	v_cndmask_b32_e64 v0, v0, 0, s7
	s_delay_alu instid0(VALU_DEP_1)
	v_or_b32_e32 v20, v0, v21
.LBB6_11647:                            ;   in Loop: Header=BB6_8449 Depth=2
	s_or_b32 exec_lo, exec_lo, s40
                                        ; implicit-def: $vgpr21
.LBB6_11648:                            ;   in Loop: Header=BB6_8449 Depth=2
	s_and_not1_saveexec_b32 s7, s29
; %bb.11649:                            ;   in Loop: Header=BB6_8449 Depth=2
	v_or_b32_e32 v20, 0x7b, v21
; %bb.11650:                            ;   in Loop: Header=BB6_8449 Depth=2
	s_or_b32 exec_lo, exec_lo, s7
                                        ; implicit-def: $vgpr2
                                        ; implicit-def: $vgpr3
.LBB6_11651:                            ;   in Loop: Header=BB6_8449 Depth=2
	s_and_not1_saveexec_b32 s7, s28
	s_cbranch_execz .LBB6_11657
; %bb.11652:                            ;   in Loop: Header=BB6_8449 Depth=2
	s_mov_b32 s28, exec_lo
                                        ; implicit-def: $vgpr20
	v_cmpx_ne_u64_e32 0, v[0:1]
	s_xor_b32 s28, exec_lo, s28
; %bb.11653:                            ;   in Loop: Header=BB6_8449 Depth=2
	v_or_b32_e32 v20, 0x7f, v3
                                        ; implicit-def: $vgpr2
; %bb.11654:                            ;   in Loop: Header=BB6_8449 Depth=2
	s_and_not1_saveexec_b32 s28, s28
; %bb.11655:                            ;   in Loop: Header=BB6_8449 Depth=2
	v_cmp_lt_i32_e32 vcc_lo, -1, v2
	v_mov_b32_e32 v0, 0x7c
	s_delay_alu instid0(VALU_DEP_1)
	v_cndmask_b32_e32 v20, 0xfc, v0, vcc_lo
; %bb.11656:                            ;   in Loop: Header=BB6_8449 Depth=2
	s_or_b32 exec_lo, exec_lo, s28
.LBB6_11657:                            ;   in Loop: Header=BB6_8449 Depth=2
	s_delay_alu instid0(SALU_CYCLE_1) | instskip(SKIP_4) | instid1(VALU_DEP_2)
	s_or_b32 exec_lo, exec_lo, s7
	v_lshl_or_b32 v82, v82, 8, v80
	v_dual_lshlrev_b32 v0, 16, v112 :: v_dual_lshlrev_b32 v2, 24, v115
	s_mov_b32 s28, exec_lo
	v_mov_b32_e32 v3, 0
	v_or3_b32 v0, v0, v2, v82
	v_mov_b32_e32 v2, 0
	v_cmpx_ne_u32_e32 0, v80
	s_cbranch_execz .LBB6_11667
; %bb.11658:                            ;   in Loop: Header=BB6_8449 Depth=2
	v_bfrev_b32_e32 v3, 1
	s_mov_b32 s29, exec_lo
	v_cmpx_ne_u32_e32 0x80, v80
	s_cbranch_execz .LBB6_11666
; %bb.11659:                            ;   in Loop: Header=BB6_8449 Depth=2
	v_and_b32_e32 v3, 0x7c, v80
	v_and_b32_e32 v4, 3, v80
	s_delay_alu instid0(VALU_DEP_2) | instskip(SKIP_1) | instid1(SALU_CYCLE_1)
	v_cmp_ne_u32_e32 vcc_lo, 0x7c, v3
                                        ; implicit-def: $vgpr3
	s_and_saveexec_b32 s7, vcc_lo
	s_xor_b32 s7, exec_lo, s7
	s_cbranch_execz .LBB6_11663
; %bb.11660:                            ;   in Loop: Header=BB6_8449 Depth=2
	v_bfe_u32 v3, v80, 2, 5
	s_mov_b32 s40, exec_lo
	s_delay_alu instid0(VALU_DEP_1)
	v_cmpx_eq_u32_e32 0, v3
; %bb.11661:                            ;   in Loop: Header=BB6_8449 Depth=2
	v_clz_i32_u32_e32 v3, v4
	s_delay_alu instid0(VALU_DEP_1) | instskip(NEXT) | instid1(VALU_DEP_1)
	v_min_u32_e32 v3, 32, v3
	v_subrev_nc_u32_e32 v4, 29, v3
	s_delay_alu instid0(VALU_DEP_1) | instskip(NEXT) | instid1(VALU_DEP_1)
	v_lshlrev_b64_e32 v[4:5], v4, v[0:1]
	v_dual_sub_nc_u32 v3, 30, v3 :: v_dual_bitop2_b32 v4, 3, v4 bitop3:0x40
; %bb.11662:                            ;   in Loop: Header=BB6_8449 Depth=2
	s_or_b32 exec_lo, exec_lo, s40
	v_lshlrev_b32_e32 v5, 24, v80
                                        ; implicit-def: $vgpr80
	s_delay_alu instid0(VALU_DEP_1) | instskip(NEXT) | instid1(VALU_DEP_1)
	v_and_b32_e32 v5, 0x80000000, v5
	v_lshl_add_u32 v3, v3, 23, v5
	s_delay_alu instid0(VALU_DEP_1) | instskip(NEXT) | instid1(VALU_DEP_1)
	v_lshl_or_b32 v3, v4, 21, v3
                                        ; implicit-def: $vgpr4
	v_add_nc_u32_e32 v3, 0x38000000, v3
.LBB6_11663:                            ;   in Loop: Header=BB6_8449 Depth=2
	s_and_not1_saveexec_b32 s40, s7
; %bb.11664:                            ;   in Loop: Header=BB6_8449 Depth=2
	v_and_b32_e32 v3, 0x80, v80
	v_cmp_eq_u32_e32 vcc_lo, 0, v4
	s_delay_alu instid0(VALU_DEP_2) | instskip(SKIP_1) | instid1(VALU_DEP_1)
	v_cmp_eq_u32_e64 s7, 0, v3
	v_mov_b32_e32 v3, 0x7f800000
	v_cndmask_b32_e64 v3, 0xff800000, v3, s7
	s_delay_alu instid0(VALU_DEP_1)
	v_cndmask_b32_e32 v3, 0x7f800001, v3, vcc_lo
; %bb.11665:                            ;   in Loop: Header=BB6_8449 Depth=2
	s_or_b32 exec_lo, exec_lo, s40
.LBB6_11666:                            ;   in Loop: Header=BB6_8449 Depth=2
	s_delay_alu instid0(SALU_CYCLE_1)
	s_or_b32 exec_lo, exec_lo, s29
.LBB6_11667:                            ;   in Loop: Header=BB6_8449 Depth=2
	s_delay_alu instid0(SALU_CYCLE_1) | instskip(SKIP_3) | instid1(VALU_DEP_1)
	s_or_b32 exec_lo, exec_lo, s28
	s_wait_loadcnt 0x1
	v_and_b32_e32 v4, 0xff, v14
	s_mov_b32 s28, exec_lo
	v_cmpx_ne_u16_e32 0, v4
	s_cbranch_execz .LBB6_11677
; %bb.11668:                            ;   in Loop: Header=BB6_8449 Depth=2
	v_bfe_i32 v5, v14, 0, 8
	v_bfrev_b32_e32 v2, 1
	s_mov_b32 s29, exec_lo
	s_delay_alu instid0(VALU_DEP_2)
	v_cmpx_ne_u16_e32 0xff80, v5
	s_cbranch_execz .LBB6_11676
; %bb.11669:                            ;   in Loop: Header=BB6_8449 Depth=2
	v_and_b32_e32 v2, 0x7c, v14
	v_and_b32_e32 v4, 3, v14
	s_delay_alu instid0(VALU_DEP_2) | instskip(SKIP_1) | instid1(SALU_CYCLE_1)
	v_cmp_ne_u32_e32 vcc_lo, 0x7c, v2
                                        ; implicit-def: $vgpr2
	s_and_saveexec_b32 s7, vcc_lo
	s_xor_b32 s7, exec_lo, s7
	s_cbranch_execz .LBB6_11673
; %bb.11670:                            ;   in Loop: Header=BB6_8449 Depth=2
	v_bfe_u32 v2, v14, 2, 5
	s_mov_b32 s40, exec_lo
	s_delay_alu instid0(VALU_DEP_1)
	v_cmpx_eq_u32_e32 0, v2
; %bb.11671:                            ;   in Loop: Header=BB6_8449 Depth=2
	v_clz_i32_u32_e32 v2, v4
	s_delay_alu instid0(VALU_DEP_1) | instskip(NEXT) | instid1(VALU_DEP_1)
	v_min_u32_e32 v2, 32, v2
	v_subrev_nc_u32_e32 v4, 29, v2
	s_delay_alu instid0(VALU_DEP_1) | instskip(NEXT) | instid1(VALU_DEP_1)
	v_lshlrev_b64_e32 v[4:5], v4, v[14:15]
	v_dual_sub_nc_u32 v2, 30, v2 :: v_dual_bitop2_b32 v4, 3, v4 bitop3:0x40
; %bb.11672:                            ;   in Loop: Header=BB6_8449 Depth=2
	s_or_b32 exec_lo, exec_lo, s40
	v_lshlrev_b32_e32 v5, 24, v14
	s_delay_alu instid0(VALU_DEP_1) | instskip(NEXT) | instid1(VALU_DEP_1)
	v_and_b32_e32 v5, 0x80000000, v5
	v_lshl_add_u32 v2, v2, 23, v5
                                        ; implicit-def: $vgpr5
	s_delay_alu instid0(VALU_DEP_1) | instskip(NEXT) | instid1(VALU_DEP_1)
	v_lshl_or_b32 v2, v4, 21, v2
                                        ; implicit-def: $vgpr4
	v_add_nc_u32_e32 v2, 0x38000000, v2
.LBB6_11673:                            ;   in Loop: Header=BB6_8449 Depth=2
	s_and_not1_saveexec_b32 s40, s7
; %bb.11674:                            ;   in Loop: Header=BB6_8449 Depth=2
	v_cmp_lt_i16_e64 s7, -1, v5
	v_mov_b32_e32 v2, 0x7f800000
	v_cmp_eq_u32_e32 vcc_lo, 0, v4
	s_delay_alu instid0(VALU_DEP_2) | instskip(NEXT) | instid1(VALU_DEP_1)
	v_cndmask_b32_e64 v2, 0xff800000, v2, s7
	v_cndmask_b32_e32 v2, 0x7f800001, v2, vcc_lo
; %bb.11675:                            ;   in Loop: Header=BB6_8449 Depth=2
	s_or_b32 exec_lo, exec_lo, s40
.LBB6_11676:                            ;   in Loop: Header=BB6_8449 Depth=2
	s_delay_alu instid0(SALU_CYCLE_1)
	s_or_b32 exec_lo, exec_lo, s29
.LBB6_11677:                            ;   in Loop: Header=BB6_8449 Depth=2
	s_delay_alu instid0(SALU_CYCLE_1) | instskip(NEXT) | instid1(VALU_DEP_1)
	s_or_b32 exec_lo, exec_lo, s28
	v_dual_add_f32 v4, v3, v2 :: v_dual_mov_b32 v63, v1
	v_mov_b32_e32 v3, v1
                                        ; implicit-def: $vgpr21
	s_mov_b32 s7, exec_lo
	s_delay_alu instid0(VALU_DEP_2) | instskip(SKIP_2) | instid1(VALU_DEP_3)
	v_and_b32_e32 v62, 0x7f800000, v4
	v_and_b32_e32 v2, 0x7fffff, v4
	v_lshrrev_b32_e32 v5, 24, v4
	v_cmpx_ne_u64_e32 0x7f800000, v[62:63]
	s_xor_b32 s28, exec_lo, s7
	s_cbranch_execz .LBB6_11691
; %bb.11678:                            ;   in Loop: Header=BB6_8449 Depth=2
	v_and_b32_e32 v62, 0x7fffffff, v4
	v_mov_b32_e32 v63, v1
	v_and_b32_e32 v80, 0x80, v5
                                        ; implicit-def: $vgpr21
	s_mov_b32 s7, exec_lo
	s_delay_alu instid0(VALU_DEP_2)
	v_cmpx_gt_u64_e32 0x47600001, v[62:63]
	s_xor_b32 s29, exec_lo, s7
	s_cbranch_execz .LBB6_11688
; %bb.11679:                            ;   in Loop: Header=BB6_8449 Depth=2
	v_mov_b32_e32 v21, 0
	s_mov_b32 s40, exec_lo
	v_cmpx_ne_u32_e32 0, v4
	s_cbranch_execz .LBB6_11687
; %bb.11680:                            ;   in Loop: Header=BB6_8449 Depth=2
	v_bfe_u32 v21, v4, 23, 8
	v_or_b32_e32 v5, 0x800000, v2
	s_delay_alu instid0(VALU_DEP_2) | instskip(SKIP_2) | instid1(VALU_DEP_2)
	v_cmp_gt_u32_e64 s7, 0x72, v21
	v_sub_nc_u32_e32 v4, 0x71, v21
	v_cmp_eq_u32_e32 vcc_lo, 0, v21
	v_dual_cndmask_b32 v4, 0, v4, s7 :: v_dual_cndmask_b32 v2, v5, v2, vcc_lo
	s_delay_alu instid0(VALU_DEP_1) | instskip(NEXT) | instid1(VALU_DEP_1)
	v_cndmask_b32_e64 v112, v4, 0x70, vcc_lo
	v_dual_add_nc_u32 v4, 21, v112 :: v_dual_add_nc_u32 v115, 20, v112
	s_delay_alu instid0(VALU_DEP_1) | instskip(NEXT) | instid1(VALU_DEP_2)
	v_lshlrev_b64_e64 v[4:5], v4, -1
	v_lshlrev_b64_e64 v[62:63], v115, 1
	s_delay_alu instid0(VALU_DEP_2) | instskip(SKIP_1) | instid1(VALU_DEP_4)
	v_bfi_b32 v4, v4, 0, v2
	v_lshrrev_b64 v[2:3], v112, v[2:3]
	v_bfi_b32 v5, v5, 0, 0
	s_delay_alu instid0(VALU_DEP_1) | instskip(NEXT) | instid1(VALU_DEP_3)
	v_cmp_eq_u64_e64 s7, v[4:5], v[62:63]
	v_mov_b64_e32 v[4:5], v[2:3]
	s_and_saveexec_b32 s41, s7
; %bb.11681:                            ;   in Loop: Header=BB6_8449 Depth=2
	v_bfe_u32 v4, v2, 21, 1
	v_mov_b32_e32 v5, v1
	s_delay_alu instid0(VALU_DEP_1) | instskip(NEXT) | instid1(VALU_DEP_1)
	v_add_nc_u64_e32 v[4:5], v[2:3], v[4:5]
	v_add_nc_u64_e32 v[4:5], -1, v[4:5]
; %bb.11682:                            ;   in Loop: Header=BB6_8449 Depth=2
	s_or_b32 exec_lo, exec_lo, s41
	v_add_nc_u32_e32 v3, 0xffffff81, v21
	v_lshrrev_b32_e32 v5, 23, v2
	s_mov_b32 s7, exec_lo
	s_delay_alu instid0(VALU_DEP_2) | instskip(NEXT) | instid1(VALU_DEP_1)
	v_cndmask_b32_e64 v3, v3, 0xffffff82, vcc_lo
	v_add3_u32 v21, v112, v3, v5
	v_and_b32_e32 v3, 0x1fffff, v4
                                        ; implicit-def: $vgpr4
	s_delay_alu instid0(VALU_DEP_1) | instskip(SKIP_1) | instid1(VALU_DEP_2)
	v_dual_add_nc_u32 v5, 14, v21 :: v_dual_add_nc_u32 v2, v3, v2
	v_mov_b32_e32 v3, v1
	v_cmpx_ne_u32_e32 0, v5
	s_xor_b32 s7, exec_lo, s7
; %bb.11683:                            ;   in Loop: Header=BB6_8449 Depth=2
	s_delay_alu instid0(VALU_DEP_2) | instskip(SKIP_1) | instid1(VALU_DEP_1)
	v_cmp_lt_u64_e32 vcc_lo, 0xffffff, v[2:3]
	v_add_nc_u32_e32 v4, 15, v21
	v_cndmask_b32_e32 v4, v5, v4, vcc_lo
	v_cndmask_b32_e64 v5, 0, 1, vcc_lo
	s_delay_alu instid0(VALU_DEP_1)
	v_lshrrev_b64 v[2:3], v5, v[2:3]
; %bb.11684:                            ;   in Loop: Header=BB6_8449 Depth=2
	s_and_not1_saveexec_b32 s7, s7
; %bb.11685:                            ;   in Loop: Header=BB6_8449 Depth=2
	s_delay_alu instid0(VALU_DEP_1)
	v_bfe_u32 v4, v2, 23, 1
; %bb.11686:                            ;   in Loop: Header=BB6_8449 Depth=2
	s_or_b32 exec_lo, exec_lo, s7
	s_delay_alu instid0(VALU_DEP_2) | instskip(NEXT) | instid1(VALU_DEP_2)
	v_lshrrev_b64 v[2:3], 21, v[2:3]
	v_cmp_gt_i32_e32 vcc_lo, 32, v4
	v_min_i32_e32 v5, 31, v4
	v_cmp_eq_u32_e64 s7, 0, v4
	s_delay_alu instid0(VALU_DEP_2) | instskip(SKIP_1) | instid1(VALU_DEP_2)
	v_dual_cndmask_b32 v3, 0, v3, vcc_lo :: v_dual_lshlrev_b32 v5, 2, v5
	v_cndmask_b32_e32 v2, 3, v2, vcc_lo
	v_and_b32_e32 v5, 0xfc, v5
	s_delay_alu instid0(VALU_DEP_2) | instskip(NEXT) | instid1(VALU_DEP_2)
	v_cmp_eq_u64_e32 vcc_lo, 0, v[2:3]
	v_and_or_b32 v2, v2, 3, v5
	s_and_b32 s7, s7, vcc_lo
	s_delay_alu instid0(VALU_DEP_1) | instid1(SALU_CYCLE_1)
	v_cndmask_b32_e64 v2, v2, 0, s7
	s_delay_alu instid0(VALU_DEP_1)
	v_or_b32_e32 v21, v2, v80
.LBB6_11687:                            ;   in Loop: Header=BB6_8449 Depth=2
	s_or_b32 exec_lo, exec_lo, s40
                                        ; implicit-def: $vgpr80
.LBB6_11688:                            ;   in Loop: Header=BB6_8449 Depth=2
	s_and_not1_saveexec_b32 s7, s29
; %bb.11689:                            ;   in Loop: Header=BB6_8449 Depth=2
	v_or_b32_e32 v21, 0x7b, v80
; %bb.11690:                            ;   in Loop: Header=BB6_8449 Depth=2
	s_or_b32 exec_lo, exec_lo, s7
                                        ; implicit-def: $vgpr4
                                        ; implicit-def: $vgpr2_vgpr3
                                        ; implicit-def: $vgpr5
.LBB6_11691:                            ;   in Loop: Header=BB6_8449 Depth=2
	s_and_not1_saveexec_b32 s7, s28
	s_cbranch_execz .LBB6_11697
; %bb.11692:                            ;   in Loop: Header=BB6_8449 Depth=2
	s_mov_b32 s28, exec_lo
                                        ; implicit-def: $vgpr21
	v_cmpx_ne_u64_e32 0, v[2:3]
	s_xor_b32 s28, exec_lo, s28
; %bb.11693:                            ;   in Loop: Header=BB6_8449 Depth=2
	v_or_b32_e32 v21, 0x7f, v5
                                        ; implicit-def: $vgpr4
; %bb.11694:                            ;   in Loop: Header=BB6_8449 Depth=2
	s_and_not1_saveexec_b32 s28, s28
; %bb.11695:                            ;   in Loop: Header=BB6_8449 Depth=2
	v_cmp_lt_i32_e32 vcc_lo, -1, v4
	v_mov_b32_e32 v2, 0x7c
	s_delay_alu instid0(VALU_DEP_1)
	v_cndmask_b32_e32 v21, 0xfc, v2, vcc_lo
; %bb.11696:                            ;   in Loop: Header=BB6_8449 Depth=2
	s_or_b32 exec_lo, exec_lo, s28
.LBB6_11697:                            ;   in Loop: Header=BB6_8449 Depth=2
	s_delay_alu instid0(SALU_CYCLE_1) | instskip(SKIP_3) | instid1(VALU_DEP_2)
	s_or_b32 exec_lo, exec_lo, s7
	v_lshrrev_b16 v2, 8, v82
	v_dual_mov_b32 v4, 0 :: v_dual_mov_b32 v5, 0
	s_mov_b32 s28, exec_lo
	v_cmpx_ne_u16_e32 0, v2
	s_cbranch_execz .LBB6_11707
; %bb.11698:                            ;   in Loop: Header=BB6_8449 Depth=2
	v_bfrev_b32_e32 v5, 1
	s_mov_b32 s29, exec_lo
	v_cmpx_ne_u16_e32 0x80, v2
	s_cbranch_execz .LBB6_11706
; %bb.11699:                            ;   in Loop: Header=BB6_8449 Depth=2
	v_and_b32_e32 v80, 0xffff, v2
	s_delay_alu instid0(VALU_DEP_1) | instskip(SKIP_1) | instid1(VALU_DEP_2)
	v_and_b32_e32 v5, 0x7c, v80
	v_and_b32_e32 v3, 3, v80
	v_cmp_ne_u32_e32 vcc_lo, 0x7c, v5
                                        ; implicit-def: $vgpr5
	s_and_saveexec_b32 s7, vcc_lo
	s_delay_alu instid0(SALU_CYCLE_1)
	s_xor_b32 s7, exec_lo, s7
	s_cbranch_execz .LBB6_11703
; %bb.11700:                            ;   in Loop: Header=BB6_8449 Depth=2
	v_bfe_u32 v5, v80, 2, 5
	s_mov_b32 s40, exec_lo
	s_delay_alu instid0(VALU_DEP_1)
	v_cmpx_eq_u32_e32 0, v5
	s_cbranch_execz .LBB6_11702
; %bb.11701:                            ;   in Loop: Header=BB6_8449 Depth=2
	v_clz_i32_u32_e32 v3, v3
	s_delay_alu instid0(VALU_DEP_1) | instskip(SKIP_1) | instid1(VALU_DEP_2)
	v_min_u32_e32 v5, 32, v3
	v_mov_b32_e32 v3, v1
	v_subrev_nc_u32_e32 v80, 29, v5
	v_sub_nc_u32_e32 v5, 30, v5
	s_delay_alu instid0(VALU_DEP_2) | instskip(NEXT) | instid1(VALU_DEP_1)
	v_lshlrev_b64_e32 v[2:3], v80, v[2:3]
	v_and_b32_e32 v3, 3, v2
.LBB6_11702:                            ;   in Loop: Header=BB6_8449 Depth=2
	s_or_b32 exec_lo, exec_lo, s40
	v_lshlrev_b32_e32 v2, 16, v82
                                        ; implicit-def: $vgpr82
	s_delay_alu instid0(VALU_DEP_1) | instskip(NEXT) | instid1(VALU_DEP_1)
	v_and_b32_e32 v2, 0x80000000, v2
	v_lshl_add_u32 v2, v5, 23, v2
	s_delay_alu instid0(VALU_DEP_1) | instskip(NEXT) | instid1(VALU_DEP_1)
	v_lshl_or_b32 v2, v3, 21, v2
                                        ; implicit-def: $vgpr3
	v_add_nc_u32_e32 v5, 0x38000000, v2
.LBB6_11703:                            ;   in Loop: Header=BB6_8449 Depth=2
	s_and_not1_saveexec_b32 s40, s7
; %bb.11704:                            ;   in Loop: Header=BB6_8449 Depth=2
	v_cmp_lt_i16_e64 s7, -1, v82
	v_mov_b32_e32 v2, 0x7f800000
	v_cmp_eq_u32_e32 vcc_lo, 0, v3
	s_delay_alu instid0(VALU_DEP_2) | instskip(NEXT) | instid1(VALU_DEP_1)
	v_cndmask_b32_e64 v2, 0xff800000, v2, s7
	v_cndmask_b32_e32 v5, 0x7f800001, v2, vcc_lo
; %bb.11705:                            ;   in Loop: Header=BB6_8449 Depth=2
	s_or_b32 exec_lo, exec_lo, s40
.LBB6_11706:                            ;   in Loop: Header=BB6_8449 Depth=2
	s_delay_alu instid0(SALU_CYCLE_1)
	s_or_b32 exec_lo, exec_lo, s29
.LBB6_11707:                            ;   in Loop: Header=BB6_8449 Depth=2
	s_delay_alu instid0(SALU_CYCLE_1) | instskip(SKIP_2) | instid1(VALU_DEP_1)
	s_or_b32 exec_lo, exec_lo, s28
	v_lshrrev_b16 v2, 8, v14
	s_mov_b32 s28, exec_lo
	v_cmpx_ne_u16_e32 0, v2
	s_cbranch_execz .LBB6_11717
; %bb.11708:                            ;   in Loop: Header=BB6_8449 Depth=2
	v_bfrev_b32_e32 v4, 1
	s_mov_b32 s29, exec_lo
	v_cmpx_ne_u16_e32 0x80, v2
	s_cbranch_execz .LBB6_11716
; %bb.11709:                            ;   in Loop: Header=BB6_8449 Depth=2
	v_and_b32_e32 v80, 0xffff, v2
	s_delay_alu instid0(VALU_DEP_1) | instskip(SKIP_1) | instid1(VALU_DEP_2)
	v_and_b32_e32 v4, 0x7c, v80
	v_and_b32_e32 v3, 3, v80
	v_cmp_ne_u32_e32 vcc_lo, 0x7c, v4
                                        ; implicit-def: $vgpr4
	s_and_saveexec_b32 s7, vcc_lo
	s_delay_alu instid0(SALU_CYCLE_1)
	s_xor_b32 s7, exec_lo, s7
	s_cbranch_execz .LBB6_11713
; %bb.11710:                            ;   in Loop: Header=BB6_8449 Depth=2
	v_bfe_u32 v4, v80, 2, 5
	s_mov_b32 s40, exec_lo
	s_delay_alu instid0(VALU_DEP_1)
	v_cmpx_eq_u32_e32 0, v4
	s_cbranch_execz .LBB6_11712
; %bb.11711:                            ;   in Loop: Header=BB6_8449 Depth=2
	v_clz_i32_u32_e32 v3, v3
	s_delay_alu instid0(VALU_DEP_1) | instskip(SKIP_1) | instid1(VALU_DEP_2)
	v_min_u32_e32 v4, 32, v3
	v_mov_b32_e32 v3, v1
	v_subrev_nc_u32_e32 v80, 29, v4
	v_sub_nc_u32_e32 v4, 30, v4
	s_delay_alu instid0(VALU_DEP_2) | instskip(NEXT) | instid1(VALU_DEP_1)
	v_lshlrev_b64_e32 v[2:3], v80, v[2:3]
	v_and_b32_e32 v3, 3, v2
.LBB6_11712:                            ;   in Loop: Header=BB6_8449 Depth=2
	s_or_b32 exec_lo, exec_lo, s40
	v_lshlrev_b32_e32 v2, 16, v14
	s_delay_alu instid0(VALU_DEP_1) | instskip(NEXT) | instid1(VALU_DEP_1)
	v_and_b32_e32 v2, 0x80000000, v2
	v_lshl_add_u32 v2, v4, 23, v2
	s_delay_alu instid0(VALU_DEP_1) | instskip(NEXT) | instid1(VALU_DEP_1)
	v_lshl_or_b32 v2, v3, 21, v2
                                        ; implicit-def: $vgpr3
	v_add_nc_u32_e32 v4, 0x38000000, v2
.LBB6_11713:                            ;   in Loop: Header=BB6_8449 Depth=2
	s_and_not1_saveexec_b32 s40, s7
; %bb.11714:                            ;   in Loop: Header=BB6_8449 Depth=2
	v_cmp_lt_i16_e64 s7, -1, v14
	v_mov_b32_e32 v2, 0x7f800000
	v_cmp_eq_u32_e32 vcc_lo, 0, v3
	s_delay_alu instid0(VALU_DEP_2) | instskip(NEXT) | instid1(VALU_DEP_1)
	v_cndmask_b32_e64 v2, 0xff800000, v2, s7
	v_cndmask_b32_e32 v4, 0x7f800001, v2, vcc_lo
; %bb.11715:                            ;   in Loop: Header=BB6_8449 Depth=2
	s_or_b32 exec_lo, exec_lo, s40
.LBB6_11716:                            ;   in Loop: Header=BB6_8449 Depth=2
	s_delay_alu instid0(SALU_CYCLE_1)
	s_or_b32 exec_lo, exec_lo, s29
.LBB6_11717:                            ;   in Loop: Header=BB6_8449 Depth=2
	s_delay_alu instid0(SALU_CYCLE_1) | instskip(NEXT) | instid1(VALU_DEP_1)
	s_or_b32 exec_lo, exec_lo, s28
	v_add_f32_e32 v4, v5, v4
	v_dual_mov_b32 v63, v1 :: v_dual_mov_b32 v3, v1
                                        ; implicit-def: $vgpr80
	s_mov_b32 s7, exec_lo
	s_delay_alu instid0(VALU_DEP_2) | instskip(SKIP_2) | instid1(VALU_DEP_3)
	v_and_b32_e32 v62, 0x7f800000, v4
	v_and_b32_e32 v2, 0x7fffff, v4
	v_lshrrev_b32_e32 v5, 24, v4
	v_cmpx_ne_u64_e32 0x7f800000, v[62:63]
	s_xor_b32 s28, exec_lo, s7
	s_cbranch_execz .LBB6_11731
; %bb.11718:                            ;   in Loop: Header=BB6_8449 Depth=2
	v_and_b32_e32 v62, 0x7fffffff, v4
	v_mov_b32_e32 v63, v1
	v_and_b32_e32 v82, 0x80, v5
                                        ; implicit-def: $vgpr80
	s_mov_b32 s7, exec_lo
	s_delay_alu instid0(VALU_DEP_2)
	v_cmpx_gt_u64_e32 0x47600001, v[62:63]
	s_xor_b32 s29, exec_lo, s7
	s_cbranch_execz .LBB6_11728
; %bb.11719:                            ;   in Loop: Header=BB6_8449 Depth=2
	v_mov_b32_e32 v80, 0
	s_mov_b32 s40, exec_lo
	v_cmpx_ne_u32_e32 0, v4
	s_cbranch_execz .LBB6_11727
; %bb.11720:                            ;   in Loop: Header=BB6_8449 Depth=2
	v_bfe_u32 v80, v4, 23, 8
	v_or_b32_e32 v5, 0x800000, v2
	s_delay_alu instid0(VALU_DEP_2) | instskip(SKIP_2) | instid1(VALU_DEP_2)
	v_cmp_gt_u32_e64 s7, 0x72, v80
	v_sub_nc_u32_e32 v4, 0x71, v80
	v_cmp_eq_u32_e32 vcc_lo, 0, v80
	v_dual_cndmask_b32 v4, 0, v4, s7 :: v_dual_cndmask_b32 v2, v5, v2, vcc_lo
	s_delay_alu instid0(VALU_DEP_1) | instskip(NEXT) | instid1(VALU_DEP_1)
	v_cndmask_b32_e64 v112, v4, 0x70, vcc_lo
	v_dual_add_nc_u32 v4, 21, v112 :: v_dual_add_nc_u32 v115, 20, v112
	s_delay_alu instid0(VALU_DEP_1) | instskip(NEXT) | instid1(VALU_DEP_2)
	v_lshlrev_b64_e64 v[4:5], v4, -1
	v_lshlrev_b64_e64 v[62:63], v115, 1
	s_delay_alu instid0(VALU_DEP_2) | instskip(SKIP_1) | instid1(VALU_DEP_4)
	v_bfi_b32 v4, v4, 0, v2
	v_lshrrev_b64 v[2:3], v112, v[2:3]
	v_bfi_b32 v5, v5, 0, 0
	s_delay_alu instid0(VALU_DEP_1) | instskip(NEXT) | instid1(VALU_DEP_3)
	v_cmp_eq_u64_e64 s7, v[4:5], v[62:63]
	v_mov_b64_e32 v[4:5], v[2:3]
	s_and_saveexec_b32 s41, s7
; %bb.11721:                            ;   in Loop: Header=BB6_8449 Depth=2
	v_bfe_u32 v4, v2, 21, 1
	v_mov_b32_e32 v5, v1
	s_delay_alu instid0(VALU_DEP_1) | instskip(NEXT) | instid1(VALU_DEP_1)
	v_add_nc_u64_e32 v[4:5], v[2:3], v[4:5]
	v_add_nc_u64_e32 v[4:5], -1, v[4:5]
; %bb.11722:                            ;   in Loop: Header=BB6_8449 Depth=2
	s_or_b32 exec_lo, exec_lo, s41
	v_add_nc_u32_e32 v3, 0xffffff81, v80
	v_lshrrev_b32_e32 v5, 23, v2
	s_mov_b32 s7, exec_lo
	s_delay_alu instid0(VALU_DEP_2) | instskip(NEXT) | instid1(VALU_DEP_1)
	v_cndmask_b32_e64 v3, v3, 0xffffff82, vcc_lo
	v_add3_u32 v80, v112, v3, v5
	v_and_b32_e32 v3, 0x1fffff, v4
                                        ; implicit-def: $vgpr4
	s_delay_alu instid0(VALU_DEP_1) | instskip(SKIP_1) | instid1(VALU_DEP_2)
	v_dual_add_nc_u32 v5, 14, v80 :: v_dual_add_nc_u32 v2, v3, v2
	v_mov_b32_e32 v3, v1
	v_cmpx_ne_u32_e32 0, v5
	s_xor_b32 s7, exec_lo, s7
; %bb.11723:                            ;   in Loop: Header=BB6_8449 Depth=2
	s_delay_alu instid0(VALU_DEP_2) | instskip(SKIP_1) | instid1(VALU_DEP_1)
	v_cmp_lt_u64_e32 vcc_lo, 0xffffff, v[2:3]
	v_add_nc_u32_e32 v4, 15, v80
	v_cndmask_b32_e32 v4, v5, v4, vcc_lo
	v_cndmask_b32_e64 v5, 0, 1, vcc_lo
	s_delay_alu instid0(VALU_DEP_1)
	v_lshrrev_b64 v[2:3], v5, v[2:3]
; %bb.11724:                            ;   in Loop: Header=BB6_8449 Depth=2
	s_and_not1_saveexec_b32 s7, s7
; %bb.11725:                            ;   in Loop: Header=BB6_8449 Depth=2
	s_delay_alu instid0(VALU_DEP_1)
	v_bfe_u32 v4, v2, 23, 1
; %bb.11726:                            ;   in Loop: Header=BB6_8449 Depth=2
	s_or_b32 exec_lo, exec_lo, s7
	s_delay_alu instid0(VALU_DEP_2) | instskip(NEXT) | instid1(VALU_DEP_2)
	v_lshrrev_b64 v[2:3], 21, v[2:3]
	v_cmp_gt_i32_e32 vcc_lo, 32, v4
	v_min_i32_e32 v5, 31, v4
	v_cmp_eq_u32_e64 s7, 0, v4
	s_delay_alu instid0(VALU_DEP_2) | instskip(SKIP_1) | instid1(VALU_DEP_2)
	v_dual_cndmask_b32 v3, 0, v3, vcc_lo :: v_dual_lshlrev_b32 v5, 2, v5
	v_cndmask_b32_e32 v2, 3, v2, vcc_lo
	v_and_b32_e32 v5, 0xfc, v5
	s_delay_alu instid0(VALU_DEP_2) | instskip(NEXT) | instid1(VALU_DEP_2)
	v_cmp_eq_u64_e32 vcc_lo, 0, v[2:3]
	v_and_or_b32 v2, v2, 3, v5
	s_and_b32 s7, s7, vcc_lo
	s_delay_alu instid0(VALU_DEP_1) | instid1(SALU_CYCLE_1)
	v_cndmask_b32_e64 v2, v2, 0, s7
	s_delay_alu instid0(VALU_DEP_1)
	v_or_b32_e32 v80, v2, v82
.LBB6_11727:                            ;   in Loop: Header=BB6_8449 Depth=2
	s_or_b32 exec_lo, exec_lo, s40
                                        ; implicit-def: $vgpr82
.LBB6_11728:                            ;   in Loop: Header=BB6_8449 Depth=2
	s_and_not1_saveexec_b32 s7, s29
; %bb.11729:                            ;   in Loop: Header=BB6_8449 Depth=2
	v_or_b32_e32 v80, 0x7b, v82
; %bb.11730:                            ;   in Loop: Header=BB6_8449 Depth=2
	s_or_b32 exec_lo, exec_lo, s7
                                        ; implicit-def: $vgpr4
                                        ; implicit-def: $vgpr2_vgpr3
                                        ; implicit-def: $vgpr5
.LBB6_11731:                            ;   in Loop: Header=BB6_8449 Depth=2
	s_and_not1_saveexec_b32 s7, s28
	s_cbranch_execz .LBB6_11737
; %bb.11732:                            ;   in Loop: Header=BB6_8449 Depth=2
	s_mov_b32 s28, exec_lo
                                        ; implicit-def: $vgpr80
	v_cmpx_ne_u64_e32 0, v[2:3]
	s_xor_b32 s28, exec_lo, s28
; %bb.11733:                            ;   in Loop: Header=BB6_8449 Depth=2
	v_or_b32_e32 v80, 0x7f, v5
                                        ; implicit-def: $vgpr4
; %bb.11734:                            ;   in Loop: Header=BB6_8449 Depth=2
	s_and_not1_saveexec_b32 s28, s28
; %bb.11735:                            ;   in Loop: Header=BB6_8449 Depth=2
	v_cmp_lt_i32_e32 vcc_lo, -1, v4
	v_mov_b32_e32 v2, 0x7c
	s_delay_alu instid0(VALU_DEP_1)
	v_cndmask_b32_e32 v80, 0xfc, v2, vcc_lo
; %bb.11736:                            ;   in Loop: Header=BB6_8449 Depth=2
	s_or_b32 exec_lo, exec_lo, s28
.LBB6_11737:                            ;   in Loop: Header=BB6_8449 Depth=2
	s_delay_alu instid0(SALU_CYCLE_1) | instskip(SKIP_3) | instid1(VALU_DEP_2)
	s_or_b32 exec_lo, exec_lo, s7
	v_dual_mov_b32 v3, 0 :: v_dual_lshrrev_b32 v2, 16, v0
	v_mov_b32_e32 v4, 0
	s_mov_b32 s28, exec_lo
	v_and_b32_e32 v5, 0xff, v2
	s_delay_alu instid0(VALU_DEP_1)
	v_cmpx_ne_u16_e32 0, v5
	s_cbranch_execz .LBB6_11747
; %bb.11738:                            ;   in Loop: Header=BB6_8449 Depth=2
	v_bfrev_b32_e32 v4, 1
	s_mov_b32 s29, exec_lo
	v_cmpx_ne_u16_e32 0x80, v5
	s_cbranch_execz .LBB6_11746
; %bb.11739:                            ;   in Loop: Header=BB6_8449 Depth=2
	v_and_b32_e32 v4, 0x7c0000, v0
	v_bfe_u32 v5, v0, 16, 2
	s_delay_alu instid0(VALU_DEP_2) | instskip(SKIP_1) | instid1(SALU_CYCLE_1)
	v_cmp_ne_u32_e32 vcc_lo, 0x7c0000, v4
                                        ; implicit-def: $vgpr4
	s_and_saveexec_b32 s7, vcc_lo
	s_xor_b32 s7, exec_lo, s7
	s_cbranch_execz .LBB6_11743
; %bb.11740:                            ;   in Loop: Header=BB6_8449 Depth=2
	v_bfe_u32 v4, v0, 18, 5
	s_mov_b32 s40, exec_lo
	s_delay_alu instid0(VALU_DEP_1)
	v_cmpx_eq_u32_e32 0, v4
; %bb.11741:                            ;   in Loop: Header=BB6_8449 Depth=2
	v_clz_i32_u32_e32 v4, v5
	s_delay_alu instid0(VALU_DEP_1) | instskip(NEXT) | instid1(VALU_DEP_1)
	v_min_u32_e32 v4, 32, v4
	v_subrev_nc_u32_e32 v5, 29, v4
	s_delay_alu instid0(VALU_DEP_1) | instskip(NEXT) | instid1(VALU_DEP_1)
	v_lshlrev_b64_e32 v[62:63], v5, v[2:3]
	v_dual_sub_nc_u32 v4, 30, v4 :: v_dual_bitop2_b32 v5, 3, v62 bitop3:0x40
; %bb.11742:                            ;   in Loop: Header=BB6_8449 Depth=2
	s_or_b32 exec_lo, exec_lo, s40
	v_lshlrev_b32_e32 v2, 24, v2
	s_delay_alu instid0(VALU_DEP_1) | instskip(NEXT) | instid1(VALU_DEP_1)
	v_and_b32_e32 v2, 0x80000000, v2
	v_lshl_add_u32 v2, v4, 23, v2
	s_delay_alu instid0(VALU_DEP_1) | instskip(NEXT) | instid1(VALU_DEP_1)
	v_lshl_or_b32 v2, v5, 21, v2
                                        ; implicit-def: $vgpr5
	v_add_nc_u32_e32 v4, 0x38000000, v2
                                        ; implicit-def: $vgpr2
.LBB6_11743:                            ;   in Loop: Header=BB6_8449 Depth=2
	s_and_not1_saveexec_b32 s40, s7
; %bb.11744:                            ;   in Loop: Header=BB6_8449 Depth=2
	v_bfe_i32 v2, v2, 0, 8
	v_cmp_eq_u32_e32 vcc_lo, 0, v5
	s_delay_alu instid0(VALU_DEP_2) | instskip(SKIP_1) | instid1(VALU_DEP_1)
	v_cmp_lt_i16_e64 s7, -1, v2
	v_mov_b32_e32 v2, 0x7f800000
	v_cndmask_b32_e64 v2, 0xff800000, v2, s7
	s_delay_alu instid0(VALU_DEP_1)
	v_cndmask_b32_e32 v4, 0x7f800001, v2, vcc_lo
; %bb.11745:                            ;   in Loop: Header=BB6_8449 Depth=2
	s_or_b32 exec_lo, exec_lo, s40
.LBB6_11746:                            ;   in Loop: Header=BB6_8449 Depth=2
	s_delay_alu instid0(SALU_CYCLE_1)
	s_or_b32 exec_lo, exec_lo, s29
.LBB6_11747:                            ;   in Loop: Header=BB6_8449 Depth=2
	s_delay_alu instid0(SALU_CYCLE_1) | instskip(SKIP_2) | instid1(VALU_DEP_1)
	s_or_b32 exec_lo, exec_lo, s28
	v_lshrrev_b32_e32 v2, 16, v14
	s_mov_b32 s28, exec_lo
	v_and_b32_e32 v5, 0xff, v2
	s_delay_alu instid0(VALU_DEP_1)
	v_cmpx_ne_u16_e32 0, v5
	s_cbranch_execz .LBB6_11757
; %bb.11748:                            ;   in Loop: Header=BB6_8449 Depth=2
	v_bfrev_b32_e32 v3, 1
	s_mov_b32 s29, exec_lo
	v_cmpx_ne_u16_e32 0x80, v5
	s_cbranch_execz .LBB6_11756
; %bb.11749:                            ;   in Loop: Header=BB6_8449 Depth=2
	v_and_b32_e32 v3, 0x7c0000, v14
	v_bfe_u32 v5, v14, 16, 2
	s_delay_alu instid0(VALU_DEP_2) | instskip(SKIP_1) | instid1(SALU_CYCLE_1)
	v_cmp_ne_u32_e32 vcc_lo, 0x7c0000, v3
                                        ; implicit-def: $vgpr3
	s_and_saveexec_b32 s7, vcc_lo
	s_xor_b32 s7, exec_lo, s7
	s_cbranch_execz .LBB6_11753
; %bb.11750:                            ;   in Loop: Header=BB6_8449 Depth=2
	v_bfe_u32 v3, v14, 18, 5
	s_mov_b32 s40, exec_lo
	s_delay_alu instid0(VALU_DEP_1)
	v_cmpx_eq_u32_e32 0, v3
; %bb.11751:                            ;   in Loop: Header=BB6_8449 Depth=2
	v_clz_i32_u32_e32 v3, v5
	s_delay_alu instid0(VALU_DEP_1) | instskip(NEXT) | instid1(VALU_DEP_1)
	v_min_u32_e32 v3, 32, v3
	v_subrev_nc_u32_e32 v5, 29, v3
	s_delay_alu instid0(VALU_DEP_1) | instskip(NEXT) | instid1(VALU_DEP_1)
	v_lshlrev_b64_e32 v[62:63], v5, v[2:3]
	v_dual_sub_nc_u32 v3, 30, v3 :: v_dual_bitop2_b32 v5, 3, v62 bitop3:0x40
; %bb.11752:                            ;   in Loop: Header=BB6_8449 Depth=2
	s_or_b32 exec_lo, exec_lo, s40
	v_lshlrev_b32_e32 v2, 24, v2
	s_delay_alu instid0(VALU_DEP_1) | instskip(NEXT) | instid1(VALU_DEP_1)
	v_and_b32_e32 v2, 0x80000000, v2
	v_lshl_add_u32 v2, v3, 23, v2
	s_delay_alu instid0(VALU_DEP_1) | instskip(NEXT) | instid1(VALU_DEP_1)
	v_lshl_or_b32 v2, v5, 21, v2
                                        ; implicit-def: $vgpr5
	v_add_nc_u32_e32 v3, 0x38000000, v2
                                        ; implicit-def: $vgpr2
.LBB6_11753:                            ;   in Loop: Header=BB6_8449 Depth=2
	s_and_not1_saveexec_b32 s40, s7
; %bb.11754:                            ;   in Loop: Header=BB6_8449 Depth=2
	v_bfe_i32 v2, v2, 0, 8
	v_cmp_eq_u32_e32 vcc_lo, 0, v5
	s_delay_alu instid0(VALU_DEP_2) | instskip(SKIP_1) | instid1(VALU_DEP_1)
	v_cmp_lt_i16_e64 s7, -1, v2
	v_mov_b32_e32 v2, 0x7f800000
	v_cndmask_b32_e64 v2, 0xff800000, v2, s7
	s_delay_alu instid0(VALU_DEP_1)
	v_cndmask_b32_e32 v3, 0x7f800001, v2, vcc_lo
; %bb.11755:                            ;   in Loop: Header=BB6_8449 Depth=2
	s_or_b32 exec_lo, exec_lo, s40
.LBB6_11756:                            ;   in Loop: Header=BB6_8449 Depth=2
	s_delay_alu instid0(SALU_CYCLE_1)
	s_or_b32 exec_lo, exec_lo, s29
.LBB6_11757:                            ;   in Loop: Header=BB6_8449 Depth=2
	s_delay_alu instid0(SALU_CYCLE_1) | instskip(NEXT) | instid1(VALU_DEP_1)
	s_or_b32 exec_lo, exec_lo, s28
	v_dual_add_f32 v4, v4, v3 :: v_dual_mov_b32 v63, v1
	v_mov_b32_e32 v3, v1
                                        ; implicit-def: $vgpr82
	s_mov_b32 s7, exec_lo
	s_delay_alu instid0(VALU_DEP_2) | instskip(SKIP_2) | instid1(VALU_DEP_3)
	v_and_b32_e32 v62, 0x7f800000, v4
	v_and_b32_e32 v2, 0x7fffff, v4
	v_lshrrev_b32_e32 v5, 24, v4
	v_cmpx_ne_u64_e32 0x7f800000, v[62:63]
	s_xor_b32 s28, exec_lo, s7
	s_cbranch_execz .LBB6_11771
; %bb.11758:                            ;   in Loop: Header=BB6_8449 Depth=2
	v_and_b32_e32 v62, 0x7fffffff, v4
	v_mov_b32_e32 v63, v1
	v_and_b32_e32 v112, 0x80, v5
                                        ; implicit-def: $vgpr82
	s_mov_b32 s7, exec_lo
	s_delay_alu instid0(VALU_DEP_2)
	v_cmpx_gt_u64_e32 0x47600001, v[62:63]
	s_xor_b32 s29, exec_lo, s7
	s_cbranch_execz .LBB6_11768
; %bb.11759:                            ;   in Loop: Header=BB6_8449 Depth=2
	v_mov_b32_e32 v82, 0
	s_mov_b32 s40, exec_lo
	v_cmpx_ne_u32_e32 0, v4
	s_cbranch_execz .LBB6_11767
; %bb.11760:                            ;   in Loop: Header=BB6_8449 Depth=2
	v_bfe_u32 v82, v4, 23, 8
	v_or_b32_e32 v5, 0x800000, v2
	s_delay_alu instid0(VALU_DEP_2) | instskip(SKIP_2) | instid1(VALU_DEP_2)
	v_cmp_gt_u32_e64 s7, 0x72, v82
	v_sub_nc_u32_e32 v4, 0x71, v82
	v_cmp_eq_u32_e32 vcc_lo, 0, v82
	v_dual_cndmask_b32 v4, 0, v4, s7 :: v_dual_cndmask_b32 v2, v5, v2, vcc_lo
	s_delay_alu instid0(VALU_DEP_1) | instskip(NEXT) | instid1(VALU_DEP_1)
	v_cndmask_b32_e64 v115, v4, 0x70, vcc_lo
	v_dual_add_nc_u32 v4, 21, v115 :: v_dual_add_nc_u32 v40, 20, v115
	s_delay_alu instid0(VALU_DEP_1) | instskip(NEXT) | instid1(VALU_DEP_2)
	v_lshlrev_b64_e64 v[4:5], v4, -1
	v_lshlrev_b64_e64 v[62:63], v40, 1
	s_delay_alu instid0(VALU_DEP_2) | instskip(SKIP_1) | instid1(VALU_DEP_4)
	v_bfi_b32 v4, v4, 0, v2
	v_lshrrev_b64 v[2:3], v115, v[2:3]
	v_bfi_b32 v5, v5, 0, 0
	s_delay_alu instid0(VALU_DEP_1) | instskip(NEXT) | instid1(VALU_DEP_3)
	v_cmp_eq_u64_e64 s7, v[4:5], v[62:63]
	v_mov_b64_e32 v[4:5], v[2:3]
	s_and_saveexec_b32 s41, s7
; %bb.11761:                            ;   in Loop: Header=BB6_8449 Depth=2
	v_bfe_u32 v4, v2, 21, 1
	v_mov_b32_e32 v5, v1
	s_delay_alu instid0(VALU_DEP_1) | instskip(NEXT) | instid1(VALU_DEP_1)
	v_add_nc_u64_e32 v[4:5], v[2:3], v[4:5]
	v_add_nc_u64_e32 v[4:5], -1, v[4:5]
; %bb.11762:                            ;   in Loop: Header=BB6_8449 Depth=2
	s_or_b32 exec_lo, exec_lo, s41
	v_add_nc_u32_e32 v3, 0xffffff81, v82
	v_lshrrev_b32_e32 v5, 23, v2
	s_mov_b32 s7, exec_lo
	s_delay_alu instid0(VALU_DEP_2) | instskip(NEXT) | instid1(VALU_DEP_1)
	v_cndmask_b32_e64 v3, v3, 0xffffff82, vcc_lo
	v_add3_u32 v82, v115, v3, v5
	v_and_b32_e32 v3, 0x1fffff, v4
                                        ; implicit-def: $vgpr4
	s_delay_alu instid0(VALU_DEP_2) | instskip(NEXT) | instid1(VALU_DEP_2)
	v_add_nc_u32_e32 v5, 14, v82
	v_dual_mov_b32 v3, v1 :: v_dual_add_nc_u32 v2, v3, v2
	s_delay_alu instid0(VALU_DEP_2)
	v_cmpx_ne_u32_e32 0, v5
	s_xor_b32 s7, exec_lo, s7
; %bb.11763:                            ;   in Loop: Header=BB6_8449 Depth=2
	s_delay_alu instid0(VALU_DEP_2) | instskip(SKIP_1) | instid1(VALU_DEP_1)
	v_cmp_lt_u64_e32 vcc_lo, 0xffffff, v[2:3]
	v_add_nc_u32_e32 v4, 15, v82
	v_cndmask_b32_e32 v4, v5, v4, vcc_lo
	v_cndmask_b32_e64 v5, 0, 1, vcc_lo
	s_delay_alu instid0(VALU_DEP_1)
	v_lshrrev_b64 v[2:3], v5, v[2:3]
; %bb.11764:                            ;   in Loop: Header=BB6_8449 Depth=2
	s_and_not1_saveexec_b32 s7, s7
; %bb.11765:                            ;   in Loop: Header=BB6_8449 Depth=2
	s_delay_alu instid0(VALU_DEP_1)
	v_bfe_u32 v4, v2, 23, 1
; %bb.11766:                            ;   in Loop: Header=BB6_8449 Depth=2
	s_or_b32 exec_lo, exec_lo, s7
	s_delay_alu instid0(VALU_DEP_2) | instskip(NEXT) | instid1(VALU_DEP_2)
	v_lshrrev_b64 v[2:3], 21, v[2:3]
	v_cmp_gt_i32_e32 vcc_lo, 32, v4
	v_min_i32_e32 v5, 31, v4
	v_cmp_eq_u32_e64 s7, 0, v4
	s_delay_alu instid0(VALU_DEP_2) | instskip(SKIP_1) | instid1(VALU_DEP_2)
	v_dual_cndmask_b32 v3, 0, v3, vcc_lo :: v_dual_lshlrev_b32 v5, 2, v5
	v_cndmask_b32_e32 v2, 3, v2, vcc_lo
	v_and_b32_e32 v5, 0xfc, v5
	s_delay_alu instid0(VALU_DEP_2) | instskip(NEXT) | instid1(VALU_DEP_2)
	v_cmp_eq_u64_e32 vcc_lo, 0, v[2:3]
	v_and_or_b32 v2, v2, 3, v5
	s_and_b32 s7, s7, vcc_lo
	s_delay_alu instid0(VALU_DEP_1) | instid1(SALU_CYCLE_1)
	v_cndmask_b32_e64 v2, v2, 0, s7
	s_delay_alu instid0(VALU_DEP_1)
	v_or_b32_e32 v82, v2, v112
.LBB6_11767:                            ;   in Loop: Header=BB6_8449 Depth=2
	s_or_b32 exec_lo, exec_lo, s40
                                        ; implicit-def: $vgpr112
.LBB6_11768:                            ;   in Loop: Header=BB6_8449 Depth=2
	s_and_not1_saveexec_b32 s7, s29
; %bb.11769:                            ;   in Loop: Header=BB6_8449 Depth=2
	v_or_b32_e32 v82, 0x7b, v112
; %bb.11770:                            ;   in Loop: Header=BB6_8449 Depth=2
	s_or_b32 exec_lo, exec_lo, s7
                                        ; implicit-def: $vgpr4
                                        ; implicit-def: $vgpr2_vgpr3
                                        ; implicit-def: $vgpr5
.LBB6_11771:                            ;   in Loop: Header=BB6_8449 Depth=2
	s_and_not1_saveexec_b32 s7, s28
	s_cbranch_execz .LBB6_11777
; %bb.11772:                            ;   in Loop: Header=BB6_8449 Depth=2
	s_mov_b32 s28, exec_lo
                                        ; implicit-def: $vgpr82
	v_cmpx_ne_u64_e32 0, v[2:3]
	s_xor_b32 s28, exec_lo, s28
; %bb.11773:                            ;   in Loop: Header=BB6_8449 Depth=2
	v_or_b32_e32 v82, 0x7f, v5
                                        ; implicit-def: $vgpr4
; %bb.11774:                            ;   in Loop: Header=BB6_8449 Depth=2
	s_and_not1_saveexec_b32 s28, s28
; %bb.11775:                            ;   in Loop: Header=BB6_8449 Depth=2
	v_cmp_lt_i32_e32 vcc_lo, -1, v4
	v_mov_b32_e32 v2, 0x7c
	s_delay_alu instid0(VALU_DEP_1)
	v_cndmask_b32_e32 v82, 0xfc, v2, vcc_lo
; %bb.11776:                            ;   in Loop: Header=BB6_8449 Depth=2
	s_or_b32 exec_lo, exec_lo, s28
.LBB6_11777:                            ;   in Loop: Header=BB6_8449 Depth=2
	s_delay_alu instid0(SALU_CYCLE_1)
	s_or_b32 exec_lo, exec_lo, s7
	v_dual_mov_b32 v3, 0 :: v_dual_mov_b32 v4, 0
	s_mov_b32 s28, exec_lo
	v_cmpx_lt_u32_e32 0xffffff, v0
	s_cbranch_execz .LBB6_11787
; %bb.11778:                            ;   in Loop: Header=BB6_8449 Depth=2
	v_lshrrev_b32_e32 v2, 24, v0
	v_bfrev_b32_e32 v4, 1
	s_mov_b32 s29, exec_lo
	s_delay_alu instid0(VALU_DEP_2)
	v_cmpx_ne_u32_e32 0x80, v2
	s_cbranch_execz .LBB6_11786
; %bb.11779:                            ;   in Loop: Header=BB6_8449 Depth=2
	v_and_b32_e32 v4, 0x7c000000, v0
	v_bfe_u32 v5, v0, 24, 2
	s_delay_alu instid0(VALU_DEP_2) | instskip(SKIP_1) | instid1(SALU_CYCLE_1)
	v_cmp_ne_u32_e32 vcc_lo, 0x7c000000, v4
                                        ; implicit-def: $vgpr4
	s_and_saveexec_b32 s7, vcc_lo
	s_xor_b32 s7, exec_lo, s7
	s_cbranch_execz .LBB6_11783
; %bb.11780:                            ;   in Loop: Header=BB6_8449 Depth=2
	v_bfe_u32 v4, v0, 26, 5
	s_mov_b32 s40, exec_lo
	s_delay_alu instid0(VALU_DEP_1)
	v_cmpx_eq_u32_e32 0, v4
; %bb.11781:                            ;   in Loop: Header=BB6_8449 Depth=2
	v_clz_i32_u32_e32 v4, v5
	s_delay_alu instid0(VALU_DEP_1) | instskip(NEXT) | instid1(VALU_DEP_1)
	v_min_u32_e32 v4, 32, v4
	v_subrev_nc_u32_e32 v5, 29, v4
	s_delay_alu instid0(VALU_DEP_1) | instskip(NEXT) | instid1(VALU_DEP_1)
	v_lshlrev_b64_e32 v[62:63], v5, v[2:3]
	v_dual_sub_nc_u32 v4, 30, v4 :: v_dual_bitop2_b32 v5, 3, v62 bitop3:0x40
; %bb.11782:                            ;   in Loop: Header=BB6_8449 Depth=2
	s_or_b32 exec_lo, exec_lo, s40
	v_and_b32_e32 v0, 0x80000000, v0
	s_delay_alu instid0(VALU_DEP_1) | instskip(NEXT) | instid1(VALU_DEP_1)
	v_lshl_add_u32 v0, v4, 23, v0
	v_lshl_or_b32 v0, v5, 21, v0
                                        ; implicit-def: $vgpr5
	s_delay_alu instid0(VALU_DEP_1)
	v_add_nc_u32_e32 v4, 0x38000000, v0
.LBB6_11783:                            ;   in Loop: Header=BB6_8449 Depth=2
	s_and_not1_saveexec_b32 s40, s7
; %bb.11784:                            ;   in Loop: Header=BB6_8449 Depth=2
	v_cmp_lt_i32_e64 s7, -1, v0
	v_mov_b32_e32 v0, 0x7f800000
	v_cmp_eq_u32_e32 vcc_lo, 0, v5
	s_delay_alu instid0(VALU_DEP_2) | instskip(NEXT) | instid1(VALU_DEP_1)
	v_cndmask_b32_e64 v0, 0xff800000, v0, s7
	v_cndmask_b32_e32 v4, 0x7f800001, v0, vcc_lo
; %bb.11785:                            ;   in Loop: Header=BB6_8449 Depth=2
	s_or_b32 exec_lo, exec_lo, s40
.LBB6_11786:                            ;   in Loop: Header=BB6_8449 Depth=2
	s_delay_alu instid0(SALU_CYCLE_1)
	s_or_b32 exec_lo, exec_lo, s29
.LBB6_11787:                            ;   in Loop: Header=BB6_8449 Depth=2
	s_delay_alu instid0(SALU_CYCLE_1) | instskip(NEXT) | instid1(SALU_CYCLE_1)
	s_or_b32 exec_lo, exec_lo, s28
	s_mov_b32 s28, exec_lo
	v_cmpx_lt_u32_e32 0xffffff, v14
	s_cbranch_execz .LBB6_11797
; %bb.11788:                            ;   in Loop: Header=BB6_8449 Depth=2
	v_lshrrev_b32_e32 v0, 24, v14
	v_bfrev_b32_e32 v3, 1
	s_mov_b32 s29, exec_lo
	s_delay_alu instid0(VALU_DEP_2)
	v_cmpx_ne_u32_e32 0x80, v0
	s_cbranch_execz .LBB6_11796
; %bb.11789:                            ;   in Loop: Header=BB6_8449 Depth=2
	v_and_b32_e32 v3, 0x7c000000, v14
	v_bfe_u32 v2, v14, 24, 2
	s_delay_alu instid0(VALU_DEP_2) | instskip(SKIP_1) | instid1(SALU_CYCLE_1)
	v_cmp_ne_u32_e32 vcc_lo, 0x7c000000, v3
                                        ; implicit-def: $vgpr3
	s_and_saveexec_b32 s7, vcc_lo
	s_xor_b32 s7, exec_lo, s7
	s_cbranch_execz .LBB6_11793
; %bb.11790:                            ;   in Loop: Header=BB6_8449 Depth=2
	v_bfe_u32 v3, v14, 26, 5
	s_mov_b32 s40, exec_lo
	s_delay_alu instid0(VALU_DEP_1)
	v_cmpx_eq_u32_e32 0, v3
; %bb.11791:                            ;   in Loop: Header=BB6_8449 Depth=2
	v_clz_i32_u32_e32 v2, v2
	s_delay_alu instid0(VALU_DEP_1) | instskip(NEXT) | instid1(VALU_DEP_1)
	v_min_u32_e32 v5, 32, v2
	v_subrev_nc_u32_e32 v2, 29, v5
	s_delay_alu instid0(VALU_DEP_1) | instskip(NEXT) | instid1(VALU_DEP_1)
	v_lshlrev_b64_e32 v[2:3], v2, v[0:1]
	v_dual_sub_nc_u32 v3, 30, v5 :: v_dual_bitop2_b32 v2, 3, v2 bitop3:0x40
; %bb.11792:                            ;   in Loop: Header=BB6_8449 Depth=2
	s_or_b32 exec_lo, exec_lo, s40
	v_and_b32_e32 v0, 0x80000000, v14
	s_delay_alu instid0(VALU_DEP_1) | instskip(NEXT) | instid1(VALU_DEP_1)
	v_lshl_add_u32 v0, v3, 23, v0
	v_lshl_or_b32 v0, v2, 21, v0
                                        ; implicit-def: $vgpr2
	s_delay_alu instid0(VALU_DEP_1)
	v_add_nc_u32_e32 v3, 0x38000000, v0
.LBB6_11793:                            ;   in Loop: Header=BB6_8449 Depth=2
	s_and_not1_saveexec_b32 s40, s7
; %bb.11794:                            ;   in Loop: Header=BB6_8449 Depth=2
	v_cmp_lt_i32_e64 s7, -1, v14
	v_mov_b32_e32 v0, 0x7f800000
	v_cmp_eq_u32_e32 vcc_lo, 0, v2
	s_delay_alu instid0(VALU_DEP_2) | instskip(NEXT) | instid1(VALU_DEP_1)
	v_cndmask_b32_e64 v0, 0xff800000, v0, s7
	v_cndmask_b32_e32 v3, 0x7f800001, v0, vcc_lo
; %bb.11795:                            ;   in Loop: Header=BB6_8449 Depth=2
	s_or_b32 exec_lo, exec_lo, s40
.LBB6_11796:                            ;   in Loop: Header=BB6_8449 Depth=2
	s_delay_alu instid0(SALU_CYCLE_1)
	s_or_b32 exec_lo, exec_lo, s29
.LBB6_11797:                            ;   in Loop: Header=BB6_8449 Depth=2
	s_delay_alu instid0(SALU_CYCLE_1) | instskip(NEXT) | instid1(VALU_DEP_1)
	s_or_b32 exec_lo, exec_lo, s28
	v_dual_add_f32 v2, v4, v3 :: v_dual_mov_b32 v5, v1
                                        ; implicit-def: $vgpr112
	s_mov_b32 s7, exec_lo
	s_delay_alu instid0(VALU_DEP_1) | instskip(SKIP_2) | instid1(VALU_DEP_3)
	v_and_b32_e32 v4, 0x7f800000, v2
	v_and_b32_e32 v0, 0x7fffff, v2
	v_lshrrev_b32_e32 v3, 24, v2
	v_cmpx_ne_u64_e32 0x7f800000, v[4:5]
	s_xor_b32 s28, exec_lo, s7
	s_cbranch_execz .LBB6_11811
; %bb.11798:                            ;   in Loop: Header=BB6_8449 Depth=2
	v_and_b32_e32 v4, 0x7fffffff, v2
	v_mov_b32_e32 v5, v1
	v_and_b32_e32 v115, 0x80, v3
                                        ; implicit-def: $vgpr112
	s_mov_b32 s7, exec_lo
	s_delay_alu instid0(VALU_DEP_2)
	v_cmpx_gt_u64_e32 0x47600001, v[4:5]
	s_xor_b32 s29, exec_lo, s7
	s_cbranch_execz .LBB6_11808
; %bb.11799:                            ;   in Loop: Header=BB6_8449 Depth=2
	v_mov_b32_e32 v112, 0
	s_mov_b32 s40, exec_lo
	v_cmpx_ne_u32_e32 0, v2
	s_cbranch_execz .LBB6_11807
; %bb.11800:                            ;   in Loop: Header=BB6_8449 Depth=2
	v_bfe_u32 v112, v2, 23, 8
	v_or_b32_e32 v3, 0x800000, v0
	s_delay_alu instid0(VALU_DEP_2) | instskip(SKIP_2) | instid1(VALU_DEP_2)
	v_cmp_gt_u32_e64 s7, 0x72, v112
	v_sub_nc_u32_e32 v2, 0x71, v112
	v_cmp_eq_u32_e32 vcc_lo, 0, v112
	v_cndmask_b32_e64 v2, 0, v2, s7
	s_delay_alu instid0(VALU_DEP_1) | instskip(SKIP_1) | instid1(VALU_DEP_2)
	v_cndmask_b32_e64 v40, v2, 0x70, vcc_lo
	v_dual_cndmask_b32 v2, v3, v0 :: v_dual_mov_b32 v3, v1
	v_add_nc_u32_e32 v0, 21, v40
	s_delay_alu instid0(VALU_DEP_1) | instskip(SKIP_1) | instid1(VALU_DEP_1)
	v_lshlrev_b64_e64 v[4:5], v0, -1
	v_add_nc_u32_e32 v0, 20, v40
	v_lshlrev_b64_e64 v[62:63], v0, 1
	s_delay_alu instid0(VALU_DEP_3) | instskip(SKIP_2) | instid1(VALU_DEP_1)
	v_bfi_b32 v4, v4, 0, v2
	v_lshrrev_b64 v[2:3], v40, v[2:3]
	v_bfi_b32 v5, v5, 0, 0
	v_cmp_eq_u64_e64 s7, v[4:5], v[62:63]
	s_delay_alu instid0(VALU_DEP_3)
	v_mov_b64_e32 v[4:5], v[2:3]
	s_and_saveexec_b32 s41, s7
; %bb.11801:                            ;   in Loop: Header=BB6_8449 Depth=2
	v_bfe_u32 v4, v2, 21, 1
	v_mov_b32_e32 v5, v1
	s_delay_alu instid0(VALU_DEP_1) | instskip(NEXT) | instid1(VALU_DEP_1)
	v_add_nc_u64_e32 v[4:5], v[2:3], v[4:5]
	v_add_nc_u64_e32 v[4:5], -1, v[4:5]
; %bb.11802:                            ;   in Loop: Header=BB6_8449 Depth=2
	s_or_b32 exec_lo, exec_lo, s41
	v_add_nc_u32_e32 v0, 0xffffff81, v112
	s_delay_alu instid0(VALU_DEP_2) | instskip(SKIP_2) | instid1(VALU_DEP_3)
	v_and_b32_e32 v4, 0x1fffff, v4
	v_lshrrev_b32_e32 v3, 23, v2
	s_mov_b32 s7, exec_lo
	v_cndmask_b32_e64 v0, v0, 0xffffff82, vcc_lo
	s_delay_alu instid0(VALU_DEP_1) | instskip(SKIP_1) | instid1(VALU_DEP_2)
	v_add3_u32 v112, v40, v0, v3
	v_add_nc_u32_e32 v0, v4, v2
                                        ; implicit-def: $vgpr2_vgpr3
                                        ; implicit-def: $vgpr4
	v_add_nc_u32_e32 v5, 14, v112
	s_delay_alu instid0(VALU_DEP_1)
	v_cmpx_ne_u32_e32 0, v5
	s_xor_b32 s7, exec_lo, s7
; %bb.11803:                            ;   in Loop: Header=BB6_8449 Depth=2
	s_delay_alu instid0(VALU_DEP_3) | instskip(SKIP_1) | instid1(VALU_DEP_1)
	v_cmp_lt_u64_e32 vcc_lo, 0xffffff, v[0:1]
	v_add_nc_u32_e32 v2, 15, v112
	v_cndmask_b32_e32 v4, v5, v2, vcc_lo
	v_cndmask_b32_e64 v2, 0, 1, vcc_lo
	s_delay_alu instid0(VALU_DEP_1)
	v_lshrrev_b64 v[2:3], v2, v[0:1]
; %bb.11804:                            ;   in Loop: Header=BB6_8449 Depth=2
	s_and_not1_saveexec_b32 s7, s7
; %bb.11805:                            ;   in Loop: Header=BB6_8449 Depth=2
	v_mov_b64_e32 v[2:3], v[0:1]
	v_bfe_u32 v4, v0, 23, 1
; %bb.11806:                            ;   in Loop: Header=BB6_8449 Depth=2
	s_or_b32 exec_lo, exec_lo, s7
	s_delay_alu instid0(VALU_DEP_2) | instskip(NEXT) | instid1(VALU_DEP_2)
	v_lshrrev_b64 v[2:3], 21, v[2:3]
	v_cmp_gt_i32_e32 vcc_lo, 32, v4
	v_min_i32_e32 v0, 31, v4
	v_cmp_eq_u32_e64 s7, 0, v4
	s_delay_alu instid0(VALU_DEP_2) | instskip(SKIP_1) | instid1(VALU_DEP_2)
	v_dual_cndmask_b32 v3, 0, v3 :: v_dual_lshlrev_b32 v0, 2, v0
	v_cndmask_b32_e32 v2, 3, v2, vcc_lo
	v_and_b32_e32 v0, 0xfc, v0
	s_delay_alu instid0(VALU_DEP_2) | instskip(NEXT) | instid1(VALU_DEP_2)
	v_cmp_eq_u64_e32 vcc_lo, 0, v[2:3]
	v_and_or_b32 v0, v2, 3, v0
	s_and_b32 s7, s7, vcc_lo
	s_delay_alu instid0(VALU_DEP_1) | instid1(SALU_CYCLE_1)
	v_cndmask_b32_e64 v0, v0, 0, s7
	s_delay_alu instid0(VALU_DEP_1)
	v_or_b32_e32 v112, v0, v115
.LBB6_11807:                            ;   in Loop: Header=BB6_8449 Depth=2
	s_or_b32 exec_lo, exec_lo, s40
                                        ; implicit-def: $vgpr115
.LBB6_11808:                            ;   in Loop: Header=BB6_8449 Depth=2
	s_and_not1_saveexec_b32 s7, s29
; %bb.11809:                            ;   in Loop: Header=BB6_8449 Depth=2
	v_or_b32_e32 v112, 0x7b, v115
; %bb.11810:                            ;   in Loop: Header=BB6_8449 Depth=2
	s_or_b32 exec_lo, exec_lo, s7
                                        ; implicit-def: $vgpr2
                                        ; implicit-def: $vgpr3
.LBB6_11811:                            ;   in Loop: Header=BB6_8449 Depth=2
	s_and_not1_saveexec_b32 s7, s28
	s_cbranch_execz .LBB6_11817
; %bb.11812:                            ;   in Loop: Header=BB6_8449 Depth=2
	s_mov_b32 s28, exec_lo
                                        ; implicit-def: $vgpr112
	v_cmpx_ne_u64_e32 0, v[0:1]
	s_xor_b32 s28, exec_lo, s28
; %bb.11813:                            ;   in Loop: Header=BB6_8449 Depth=2
	v_or_b32_e32 v112, 0x7f, v3
                                        ; implicit-def: $vgpr2
; %bb.11814:                            ;   in Loop: Header=BB6_8449 Depth=2
	s_and_not1_saveexec_b32 s28, s28
; %bb.11815:                            ;   in Loop: Header=BB6_8449 Depth=2
	v_cmp_lt_i32_e32 vcc_lo, -1, v2
	v_mov_b32_e32 v0, 0x7c
	s_delay_alu instid0(VALU_DEP_1)
	v_cndmask_b32_e32 v112, 0xfc, v0, vcc_lo
; %bb.11816:                            ;   in Loop: Header=BB6_8449 Depth=2
	s_or_b32 exec_lo, exec_lo, s28
.LBB6_11817:                            ;   in Loop: Header=BB6_8449 Depth=2
	s_delay_alu instid0(SALU_CYCLE_1) | instskip(SKIP_4) | instid1(VALU_DEP_2)
	s_or_b32 exec_lo, exec_lo, s7
	v_lshl_or_b32 v70, v70, 8, v68
	v_dual_lshlrev_b32 v0, 16, v81 :: v_dual_lshlrev_b32 v2, 24, v84
	v_mov_b32_e32 v3, 0
	s_mov_b32 s28, exec_lo
	v_or3_b32 v0, v0, v2, v70
	v_mov_b32_e32 v2, 0
	v_cmpx_ne_u32_e32 0, v68
	s_cbranch_execz .LBB6_11827
; %bb.11818:                            ;   in Loop: Header=BB6_8449 Depth=2
	v_bfrev_b32_e32 v2, 1
	s_mov_b32 s29, exec_lo
	v_cmpx_ne_u32_e32 0x80, v68
	s_cbranch_execz .LBB6_11826
; %bb.11819:                            ;   in Loop: Header=BB6_8449 Depth=2
	v_and_b32_e32 v2, 0x7c, v68
	v_and_b32_e32 v4, 3, v68
	s_delay_alu instid0(VALU_DEP_2) | instskip(SKIP_1) | instid1(SALU_CYCLE_1)
	v_cmp_ne_u32_e32 vcc_lo, 0x7c, v2
                                        ; implicit-def: $vgpr2
	s_and_saveexec_b32 s7, vcc_lo
	s_xor_b32 s7, exec_lo, s7
	s_cbranch_execz .LBB6_11823
; %bb.11820:                            ;   in Loop: Header=BB6_8449 Depth=2
	v_bfe_u32 v2, v68, 2, 5
	s_mov_b32 s40, exec_lo
	s_delay_alu instid0(VALU_DEP_1)
	v_cmpx_eq_u32_e32 0, v2
; %bb.11821:                            ;   in Loop: Header=BB6_8449 Depth=2
	v_clz_i32_u32_e32 v2, v4
	s_delay_alu instid0(VALU_DEP_1) | instskip(NEXT) | instid1(VALU_DEP_1)
	v_min_u32_e32 v2, 32, v2
	v_subrev_nc_u32_e32 v4, 29, v2
	s_delay_alu instid0(VALU_DEP_1) | instskip(NEXT) | instid1(VALU_DEP_1)
	v_lshlrev_b64_e32 v[4:5], v4, v[0:1]
	v_dual_sub_nc_u32 v2, 30, v2 :: v_dual_bitop2_b32 v4, 3, v4 bitop3:0x40
; %bb.11822:                            ;   in Loop: Header=BB6_8449 Depth=2
	s_or_b32 exec_lo, exec_lo, s40
	v_lshlrev_b32_e32 v5, 24, v68
                                        ; implicit-def: $vgpr68
	s_delay_alu instid0(VALU_DEP_1) | instskip(NEXT) | instid1(VALU_DEP_1)
	v_and_b32_e32 v5, 0x80000000, v5
	v_lshl_add_u32 v2, v2, 23, v5
	s_delay_alu instid0(VALU_DEP_1) | instskip(NEXT) | instid1(VALU_DEP_1)
	v_lshl_or_b32 v2, v4, 21, v2
                                        ; implicit-def: $vgpr4
	v_add_nc_u32_e32 v2, 0x38000000, v2
.LBB6_11823:                            ;   in Loop: Header=BB6_8449 Depth=2
	s_and_not1_saveexec_b32 s40, s7
; %bb.11824:                            ;   in Loop: Header=BB6_8449 Depth=2
	v_and_b32_e32 v2, 0x80, v68
	v_cmp_eq_u32_e32 vcc_lo, 0, v4
	s_delay_alu instid0(VALU_DEP_2) | instskip(SKIP_1) | instid1(VALU_DEP_1)
	v_cmp_eq_u32_e64 s7, 0, v2
	v_mov_b32_e32 v2, 0x7f800000
	v_cndmask_b32_e64 v2, 0xff800000, v2, s7
	s_delay_alu instid0(VALU_DEP_1)
	v_cndmask_b32_e32 v2, 0x7f800001, v2, vcc_lo
; %bb.11825:                            ;   in Loop: Header=BB6_8449 Depth=2
	s_or_b32 exec_lo, exec_lo, s40
.LBB6_11826:                            ;   in Loop: Header=BB6_8449 Depth=2
	s_delay_alu instid0(SALU_CYCLE_1)
	s_or_b32 exec_lo, exec_lo, s29
.LBB6_11827:                            ;   in Loop: Header=BB6_8449 Depth=2
	s_delay_alu instid0(SALU_CYCLE_1) | instskip(SKIP_2) | instid1(VALU_DEP_1)
	s_or_b32 exec_lo, exec_lo, s28
	v_and_b32_e32 v4, 0xff, v15
	s_mov_b32 s28, exec_lo
	v_cmpx_ne_u16_e32 0, v4
	s_cbranch_execz .LBB6_11837
; %bb.11828:                            ;   in Loop: Header=BB6_8449 Depth=2
	v_bfrev_b32_e32 v3, 1
	s_mov_b32 s29, exec_lo
	v_cmpx_ne_u16_e32 0x80, v4
	s_cbranch_execz .LBB6_11836
; %bb.11829:                            ;   in Loop: Header=BB6_8449 Depth=2
	v_and_b32_e32 v3, 0x7c, v15
	v_and_b32_e32 v4, 3, v15
	s_delay_alu instid0(VALU_DEP_2) | instskip(SKIP_1) | instid1(SALU_CYCLE_1)
	v_cmp_ne_u32_e32 vcc_lo, 0x7c, v3
                                        ; implicit-def: $vgpr3
	s_and_saveexec_b32 s7, vcc_lo
	s_xor_b32 s7, exec_lo, s7
	s_cbranch_execz .LBB6_11833
; %bb.11830:                            ;   in Loop: Header=BB6_8449 Depth=2
	v_bfe_u32 v3, v15, 2, 5
	s_mov_b32 s40, exec_lo
	s_delay_alu instid0(VALU_DEP_1)
	v_cmpx_eq_u32_e32 0, v3
; %bb.11831:                            ;   in Loop: Header=BB6_8449 Depth=2
	v_clz_i32_u32_e32 v3, v4
	v_dual_mov_b32 v4, v15 :: v_dual_mov_b32 v5, v1
	s_delay_alu instid0(VALU_DEP_2) | instskip(NEXT) | instid1(VALU_DEP_1)
	v_min_u32_e32 v3, 32, v3
	v_subrev_nc_u32_e32 v68, 29, v3
	s_delay_alu instid0(VALU_DEP_1) | instskip(NEXT) | instid1(VALU_DEP_1)
	v_lshlrev_b64_e32 v[4:5], v68, v[4:5]
	v_dual_sub_nc_u32 v3, 30, v3 :: v_dual_bitop2_b32 v4, 3, v4 bitop3:0x40
; %bb.11832:                            ;   in Loop: Header=BB6_8449 Depth=2
	s_or_b32 exec_lo, exec_lo, s40
	v_lshlrev_b32_e32 v5, 24, v15
	s_delay_alu instid0(VALU_DEP_1) | instskip(NEXT) | instid1(VALU_DEP_1)
	v_and_b32_e32 v5, 0x80000000, v5
	v_lshl_add_u32 v3, v3, 23, v5
	s_delay_alu instid0(VALU_DEP_1) | instskip(NEXT) | instid1(VALU_DEP_1)
	v_lshl_or_b32 v3, v4, 21, v3
                                        ; implicit-def: $vgpr4
	v_add_nc_u32_e32 v3, 0x38000000, v3
.LBB6_11833:                            ;   in Loop: Header=BB6_8449 Depth=2
	s_and_not1_saveexec_b32 s40, s7
; %bb.11834:                            ;   in Loop: Header=BB6_8449 Depth=2
	v_bfe_i32 v3, v15, 0, 8
	v_cmp_eq_u32_e32 vcc_lo, 0, v4
	s_delay_alu instid0(VALU_DEP_2) | instskip(SKIP_1) | instid1(VALU_DEP_1)
	v_cmp_lt_i16_e64 s7, -1, v3
	v_mov_b32_e32 v3, 0x7f800000
	v_cndmask_b32_e64 v3, 0xff800000, v3, s7
	s_delay_alu instid0(VALU_DEP_1)
	v_cndmask_b32_e32 v3, 0x7f800001, v3, vcc_lo
; %bb.11835:                            ;   in Loop: Header=BB6_8449 Depth=2
	s_or_b32 exec_lo, exec_lo, s40
.LBB6_11836:                            ;   in Loop: Header=BB6_8449 Depth=2
	s_delay_alu instid0(SALU_CYCLE_1)
	s_or_b32 exec_lo, exec_lo, s29
.LBB6_11837:                            ;   in Loop: Header=BB6_8449 Depth=2
	s_delay_alu instid0(SALU_CYCLE_1) | instskip(NEXT) | instid1(VALU_DEP_1)
	s_or_b32 exec_lo, exec_lo, s28
	v_dual_add_f32 v4, v2, v3 :: v_dual_mov_b32 v63, v1
	v_mov_b32_e32 v3, v1
                                        ; implicit-def: $vgpr68
	s_mov_b32 s7, exec_lo
	s_delay_alu instid0(VALU_DEP_2) | instskip(SKIP_2) | instid1(VALU_DEP_3)
	v_and_b32_e32 v62, 0x7f800000, v4
	v_and_b32_e32 v2, 0x7fffff, v4
	v_lshrrev_b32_e32 v5, 24, v4
	v_cmpx_ne_u64_e32 0x7f800000, v[62:63]
	s_xor_b32 s28, exec_lo, s7
	s_cbranch_execz .LBB6_11851
; %bb.11838:                            ;   in Loop: Header=BB6_8449 Depth=2
	v_and_b32_e32 v62, 0x7fffffff, v4
	v_mov_b32_e32 v63, v1
	v_and_b32_e32 v81, 0x80, v5
                                        ; implicit-def: $vgpr68
	s_mov_b32 s7, exec_lo
	s_delay_alu instid0(VALU_DEP_2)
	v_cmpx_gt_u64_e32 0x47600001, v[62:63]
	s_xor_b32 s29, exec_lo, s7
	s_cbranch_execz .LBB6_11848
; %bb.11839:                            ;   in Loop: Header=BB6_8449 Depth=2
	v_mov_b32_e32 v68, 0
	s_mov_b32 s40, exec_lo
	v_cmpx_ne_u32_e32 0, v4
	s_cbranch_execz .LBB6_11847
; %bb.11840:                            ;   in Loop: Header=BB6_8449 Depth=2
	v_bfe_u32 v68, v4, 23, 8
	v_or_b32_e32 v5, 0x800000, v2
	s_delay_alu instid0(VALU_DEP_2) | instskip(SKIP_2) | instid1(VALU_DEP_2)
	v_cmp_gt_u32_e64 s7, 0x72, v68
	v_sub_nc_u32_e32 v4, 0x71, v68
	v_cmp_eq_u32_e32 vcc_lo, 0, v68
	v_dual_cndmask_b32 v4, 0, v4, s7 :: v_dual_cndmask_b32 v2, v5, v2, vcc_lo
	s_delay_alu instid0(VALU_DEP_1) | instskip(NEXT) | instid1(VALU_DEP_1)
	v_cndmask_b32_e64 v84, v4, 0x70, vcc_lo
	v_dual_add_nc_u32 v4, 21, v84 :: v_dual_add_nc_u32 v115, 20, v84
	s_delay_alu instid0(VALU_DEP_1) | instskip(NEXT) | instid1(VALU_DEP_2)
	v_lshlrev_b64_e64 v[4:5], v4, -1
	v_lshlrev_b64_e64 v[62:63], v115, 1
	s_delay_alu instid0(VALU_DEP_2) | instskip(SKIP_1) | instid1(VALU_DEP_4)
	v_bfi_b32 v4, v4, 0, v2
	v_lshrrev_b64 v[2:3], v84, v[2:3]
	v_bfi_b32 v5, v5, 0, 0
	s_delay_alu instid0(VALU_DEP_1) | instskip(NEXT) | instid1(VALU_DEP_3)
	v_cmp_eq_u64_e64 s7, v[4:5], v[62:63]
	v_mov_b64_e32 v[4:5], v[2:3]
	s_and_saveexec_b32 s41, s7
; %bb.11841:                            ;   in Loop: Header=BB6_8449 Depth=2
	v_bfe_u32 v4, v2, 21, 1
	v_mov_b32_e32 v5, v1
	s_delay_alu instid0(VALU_DEP_1) | instskip(NEXT) | instid1(VALU_DEP_1)
	v_add_nc_u64_e32 v[4:5], v[2:3], v[4:5]
	v_add_nc_u64_e32 v[4:5], -1, v[4:5]
; %bb.11842:                            ;   in Loop: Header=BB6_8449 Depth=2
	s_or_b32 exec_lo, exec_lo, s41
	v_add_nc_u32_e32 v3, 0xffffff81, v68
	v_lshrrev_b32_e32 v5, 23, v2
	s_mov_b32 s7, exec_lo
	s_delay_alu instid0(VALU_DEP_2) | instskip(NEXT) | instid1(VALU_DEP_1)
	v_cndmask_b32_e64 v3, v3, 0xffffff82, vcc_lo
	v_add3_u32 v68, v84, v3, v5
	v_and_b32_e32 v3, 0x1fffff, v4
                                        ; implicit-def: $vgpr4
	s_delay_alu instid0(VALU_DEP_1) | instskip(SKIP_1) | instid1(VALU_DEP_2)
	v_dual_add_nc_u32 v5, 14, v68 :: v_dual_add_nc_u32 v2, v3, v2
	v_mov_b32_e32 v3, v1
	v_cmpx_ne_u32_e32 0, v5
	s_xor_b32 s7, exec_lo, s7
; %bb.11843:                            ;   in Loop: Header=BB6_8449 Depth=2
	s_delay_alu instid0(VALU_DEP_2) | instskip(SKIP_1) | instid1(VALU_DEP_1)
	v_cmp_lt_u64_e32 vcc_lo, 0xffffff, v[2:3]
	v_add_nc_u32_e32 v4, 15, v68
	v_cndmask_b32_e32 v4, v5, v4, vcc_lo
	v_cndmask_b32_e64 v5, 0, 1, vcc_lo
	s_delay_alu instid0(VALU_DEP_1)
	v_lshrrev_b64 v[2:3], v5, v[2:3]
; %bb.11844:                            ;   in Loop: Header=BB6_8449 Depth=2
	s_and_not1_saveexec_b32 s7, s7
; %bb.11845:                            ;   in Loop: Header=BB6_8449 Depth=2
	s_delay_alu instid0(VALU_DEP_1)
	v_bfe_u32 v4, v2, 23, 1
; %bb.11846:                            ;   in Loop: Header=BB6_8449 Depth=2
	s_or_b32 exec_lo, exec_lo, s7
	s_delay_alu instid0(VALU_DEP_2) | instskip(NEXT) | instid1(VALU_DEP_2)
	v_lshrrev_b64 v[2:3], 21, v[2:3]
	v_cmp_gt_i32_e32 vcc_lo, 32, v4
	v_min_i32_e32 v5, 31, v4
	v_cmp_eq_u32_e64 s7, 0, v4
	s_delay_alu instid0(VALU_DEP_2) | instskip(SKIP_1) | instid1(VALU_DEP_2)
	v_dual_cndmask_b32 v3, 0, v3, vcc_lo :: v_dual_lshlrev_b32 v5, 2, v5
	v_cndmask_b32_e32 v2, 3, v2, vcc_lo
	v_and_b32_e32 v5, 0xfc, v5
	s_delay_alu instid0(VALU_DEP_2) | instskip(NEXT) | instid1(VALU_DEP_2)
	v_cmp_eq_u64_e32 vcc_lo, 0, v[2:3]
	v_and_or_b32 v2, v2, 3, v5
	s_and_b32 s7, s7, vcc_lo
	s_delay_alu instid0(VALU_DEP_1) | instid1(SALU_CYCLE_1)
	v_cndmask_b32_e64 v2, v2, 0, s7
	s_delay_alu instid0(VALU_DEP_1)
	v_or_b32_e32 v68, v2, v81
.LBB6_11847:                            ;   in Loop: Header=BB6_8449 Depth=2
	s_or_b32 exec_lo, exec_lo, s40
                                        ; implicit-def: $vgpr81
.LBB6_11848:                            ;   in Loop: Header=BB6_8449 Depth=2
	s_and_not1_saveexec_b32 s7, s29
; %bb.11849:                            ;   in Loop: Header=BB6_8449 Depth=2
	v_or_b32_e32 v68, 0x7b, v81
; %bb.11850:                            ;   in Loop: Header=BB6_8449 Depth=2
	s_or_b32 exec_lo, exec_lo, s7
                                        ; implicit-def: $vgpr4
                                        ; implicit-def: $vgpr2_vgpr3
                                        ; implicit-def: $vgpr5
.LBB6_11851:                            ;   in Loop: Header=BB6_8449 Depth=2
	s_and_not1_saveexec_b32 s7, s28
	s_cbranch_execz .LBB6_11857
; %bb.11852:                            ;   in Loop: Header=BB6_8449 Depth=2
	s_mov_b32 s28, exec_lo
                                        ; implicit-def: $vgpr68
	v_cmpx_ne_u64_e32 0, v[2:3]
	s_xor_b32 s28, exec_lo, s28
; %bb.11853:                            ;   in Loop: Header=BB6_8449 Depth=2
	v_or_b32_e32 v68, 0x7f, v5
                                        ; implicit-def: $vgpr4
; %bb.11854:                            ;   in Loop: Header=BB6_8449 Depth=2
	s_and_not1_saveexec_b32 s28, s28
; %bb.11855:                            ;   in Loop: Header=BB6_8449 Depth=2
	v_cmp_lt_i32_e32 vcc_lo, -1, v4
	v_mov_b32_e32 v2, 0x7c
	s_delay_alu instid0(VALU_DEP_1)
	v_cndmask_b32_e32 v68, 0xfc, v2, vcc_lo
; %bb.11856:                            ;   in Loop: Header=BB6_8449 Depth=2
	s_or_b32 exec_lo, exec_lo, s28
.LBB6_11857:                            ;   in Loop: Header=BB6_8449 Depth=2
	s_delay_alu instid0(SALU_CYCLE_1) | instskip(SKIP_3) | instid1(VALU_DEP_2)
	s_or_b32 exec_lo, exec_lo, s7
	v_lshrrev_b16 v2, 8, v70
	v_dual_mov_b32 v4, 0 :: v_dual_mov_b32 v5, 0
	s_mov_b32 s28, exec_lo
	v_cmpx_ne_u16_e32 0, v2
	s_cbranch_execz .LBB6_11867
; %bb.11858:                            ;   in Loop: Header=BB6_8449 Depth=2
	v_bfrev_b32_e32 v5, 1
	s_mov_b32 s29, exec_lo
	v_cmpx_ne_u16_e32 0x80, v2
	s_cbranch_execz .LBB6_11866
; %bb.11859:                            ;   in Loop: Header=BB6_8449 Depth=2
	v_and_b32_e32 v81, 0xffff, v2
	s_delay_alu instid0(VALU_DEP_1) | instskip(SKIP_1) | instid1(VALU_DEP_2)
	v_and_b32_e32 v5, 0x7c, v81
	v_and_b32_e32 v3, 3, v81
	v_cmp_ne_u32_e32 vcc_lo, 0x7c, v5
                                        ; implicit-def: $vgpr5
	s_and_saveexec_b32 s7, vcc_lo
	s_delay_alu instid0(SALU_CYCLE_1)
	s_xor_b32 s7, exec_lo, s7
	s_cbranch_execz .LBB6_11863
; %bb.11860:                            ;   in Loop: Header=BB6_8449 Depth=2
	v_bfe_u32 v5, v81, 2, 5
	s_mov_b32 s40, exec_lo
	s_delay_alu instid0(VALU_DEP_1)
	v_cmpx_eq_u32_e32 0, v5
	s_cbranch_execz .LBB6_11862
; %bb.11861:                            ;   in Loop: Header=BB6_8449 Depth=2
	v_clz_i32_u32_e32 v3, v3
	s_delay_alu instid0(VALU_DEP_1) | instskip(SKIP_1) | instid1(VALU_DEP_2)
	v_min_u32_e32 v5, 32, v3
	v_mov_b32_e32 v3, v1
	v_subrev_nc_u32_e32 v81, 29, v5
	v_sub_nc_u32_e32 v5, 30, v5
	s_delay_alu instid0(VALU_DEP_2) | instskip(NEXT) | instid1(VALU_DEP_1)
	v_lshlrev_b64_e32 v[2:3], v81, v[2:3]
	v_and_b32_e32 v3, 3, v2
.LBB6_11862:                            ;   in Loop: Header=BB6_8449 Depth=2
	s_or_b32 exec_lo, exec_lo, s40
	v_lshlrev_b32_e32 v2, 16, v70
                                        ; implicit-def: $vgpr70
	s_delay_alu instid0(VALU_DEP_1) | instskip(NEXT) | instid1(VALU_DEP_1)
	v_and_b32_e32 v2, 0x80000000, v2
	v_lshl_add_u32 v2, v5, 23, v2
	s_delay_alu instid0(VALU_DEP_1) | instskip(NEXT) | instid1(VALU_DEP_1)
	v_lshl_or_b32 v2, v3, 21, v2
                                        ; implicit-def: $vgpr3
	v_add_nc_u32_e32 v5, 0x38000000, v2
.LBB6_11863:                            ;   in Loop: Header=BB6_8449 Depth=2
	s_and_not1_saveexec_b32 s40, s7
; %bb.11864:                            ;   in Loop: Header=BB6_8449 Depth=2
	v_cmp_lt_i16_e64 s7, -1, v70
	v_mov_b32_e32 v2, 0x7f800000
	v_cmp_eq_u32_e32 vcc_lo, 0, v3
	s_delay_alu instid0(VALU_DEP_2) | instskip(NEXT) | instid1(VALU_DEP_1)
	v_cndmask_b32_e64 v2, 0xff800000, v2, s7
	v_cndmask_b32_e32 v5, 0x7f800001, v2, vcc_lo
; %bb.11865:                            ;   in Loop: Header=BB6_8449 Depth=2
	s_or_b32 exec_lo, exec_lo, s40
.LBB6_11866:                            ;   in Loop: Header=BB6_8449 Depth=2
	s_delay_alu instid0(SALU_CYCLE_1)
	s_or_b32 exec_lo, exec_lo, s29
.LBB6_11867:                            ;   in Loop: Header=BB6_8449 Depth=2
	s_delay_alu instid0(SALU_CYCLE_1) | instskip(SKIP_2) | instid1(VALU_DEP_1)
	s_or_b32 exec_lo, exec_lo, s28
	v_lshrrev_b16 v2, 8, v15
	s_mov_b32 s28, exec_lo
	v_cmpx_ne_u16_e32 0, v2
	s_cbranch_execz .LBB6_11877
; %bb.11868:                            ;   in Loop: Header=BB6_8449 Depth=2
	v_bfrev_b32_e32 v4, 1
	s_mov_b32 s29, exec_lo
	v_cmpx_ne_u16_e32 0x80, v2
	s_cbranch_execz .LBB6_11876
; %bb.11869:                            ;   in Loop: Header=BB6_8449 Depth=2
	v_and_b32_e32 v70, 0xffff, v2
	s_delay_alu instid0(VALU_DEP_1) | instskip(SKIP_1) | instid1(VALU_DEP_2)
	v_and_b32_e32 v4, 0x7c, v70
	v_and_b32_e32 v3, 3, v70
	v_cmp_ne_u32_e32 vcc_lo, 0x7c, v4
                                        ; implicit-def: $vgpr4
	s_and_saveexec_b32 s7, vcc_lo
	s_delay_alu instid0(SALU_CYCLE_1)
	s_xor_b32 s7, exec_lo, s7
	s_cbranch_execz .LBB6_11873
; %bb.11870:                            ;   in Loop: Header=BB6_8449 Depth=2
	v_bfe_u32 v4, v70, 2, 5
	s_mov_b32 s40, exec_lo
	s_delay_alu instid0(VALU_DEP_1)
	v_cmpx_eq_u32_e32 0, v4
	s_cbranch_execz .LBB6_11872
; %bb.11871:                            ;   in Loop: Header=BB6_8449 Depth=2
	v_clz_i32_u32_e32 v3, v3
	s_delay_alu instid0(VALU_DEP_1) | instskip(SKIP_1) | instid1(VALU_DEP_2)
	v_min_u32_e32 v4, 32, v3
	v_mov_b32_e32 v3, v1
	v_subrev_nc_u32_e32 v70, 29, v4
	v_sub_nc_u32_e32 v4, 30, v4
	s_delay_alu instid0(VALU_DEP_2) | instskip(NEXT) | instid1(VALU_DEP_1)
	v_lshlrev_b64_e32 v[2:3], v70, v[2:3]
	v_and_b32_e32 v3, 3, v2
.LBB6_11872:                            ;   in Loop: Header=BB6_8449 Depth=2
	s_or_b32 exec_lo, exec_lo, s40
	v_lshlrev_b32_e32 v2, 16, v15
	s_delay_alu instid0(VALU_DEP_1) | instskip(NEXT) | instid1(VALU_DEP_1)
	v_and_b32_e32 v2, 0x80000000, v2
	v_lshl_add_u32 v2, v4, 23, v2
	s_delay_alu instid0(VALU_DEP_1) | instskip(NEXT) | instid1(VALU_DEP_1)
	v_lshl_or_b32 v2, v3, 21, v2
                                        ; implicit-def: $vgpr3
	v_add_nc_u32_e32 v4, 0x38000000, v2
.LBB6_11873:                            ;   in Loop: Header=BB6_8449 Depth=2
	s_and_not1_saveexec_b32 s40, s7
; %bb.11874:                            ;   in Loop: Header=BB6_8449 Depth=2
	v_cmp_lt_i16_e64 s7, -1, v15
	v_mov_b32_e32 v2, 0x7f800000
	v_cmp_eq_u32_e32 vcc_lo, 0, v3
	s_delay_alu instid0(VALU_DEP_2) | instskip(NEXT) | instid1(VALU_DEP_1)
	v_cndmask_b32_e64 v2, 0xff800000, v2, s7
	v_cndmask_b32_e32 v4, 0x7f800001, v2, vcc_lo
; %bb.11875:                            ;   in Loop: Header=BB6_8449 Depth=2
	s_or_b32 exec_lo, exec_lo, s40
.LBB6_11876:                            ;   in Loop: Header=BB6_8449 Depth=2
	s_delay_alu instid0(SALU_CYCLE_1)
	s_or_b32 exec_lo, exec_lo, s29
.LBB6_11877:                            ;   in Loop: Header=BB6_8449 Depth=2
	s_delay_alu instid0(SALU_CYCLE_1) | instskip(NEXT) | instid1(VALU_DEP_1)
	s_or_b32 exec_lo, exec_lo, s28
	v_add_f32_e32 v4, v5, v4
	v_dual_mov_b32 v63, v1 :: v_dual_mov_b32 v3, v1
                                        ; implicit-def: $vgpr70
	s_mov_b32 s7, exec_lo
	s_delay_alu instid0(VALU_DEP_2) | instskip(SKIP_2) | instid1(VALU_DEP_3)
	v_and_b32_e32 v62, 0x7f800000, v4
	v_and_b32_e32 v2, 0x7fffff, v4
	v_lshrrev_b32_e32 v5, 24, v4
	v_cmpx_ne_u64_e32 0x7f800000, v[62:63]
	s_xor_b32 s28, exec_lo, s7
	s_cbranch_execz .LBB6_11891
; %bb.11878:                            ;   in Loop: Header=BB6_8449 Depth=2
	v_and_b32_e32 v62, 0x7fffffff, v4
	v_mov_b32_e32 v63, v1
	v_and_b32_e32 v81, 0x80, v5
                                        ; implicit-def: $vgpr70
	s_mov_b32 s7, exec_lo
	s_delay_alu instid0(VALU_DEP_2)
	v_cmpx_gt_u64_e32 0x47600001, v[62:63]
	s_xor_b32 s29, exec_lo, s7
	s_cbranch_execz .LBB6_11888
; %bb.11879:                            ;   in Loop: Header=BB6_8449 Depth=2
	v_mov_b32_e32 v70, 0
	s_mov_b32 s40, exec_lo
	v_cmpx_ne_u32_e32 0, v4
	s_cbranch_execz .LBB6_11887
; %bb.11880:                            ;   in Loop: Header=BB6_8449 Depth=2
	v_bfe_u32 v70, v4, 23, 8
	v_or_b32_e32 v5, 0x800000, v2
	s_delay_alu instid0(VALU_DEP_2) | instskip(SKIP_2) | instid1(VALU_DEP_2)
	v_cmp_gt_u32_e64 s7, 0x72, v70
	v_sub_nc_u32_e32 v4, 0x71, v70
	v_cmp_eq_u32_e32 vcc_lo, 0, v70
	v_dual_cndmask_b32 v4, 0, v4, s7 :: v_dual_cndmask_b32 v2, v5, v2, vcc_lo
	s_delay_alu instid0(VALU_DEP_1) | instskip(NEXT) | instid1(VALU_DEP_1)
	v_cndmask_b32_e64 v84, v4, 0x70, vcc_lo
	v_dual_add_nc_u32 v4, 21, v84 :: v_dual_add_nc_u32 v115, 20, v84
	s_delay_alu instid0(VALU_DEP_1) | instskip(NEXT) | instid1(VALU_DEP_2)
	v_lshlrev_b64_e64 v[4:5], v4, -1
	v_lshlrev_b64_e64 v[62:63], v115, 1
	s_delay_alu instid0(VALU_DEP_2) | instskip(SKIP_1) | instid1(VALU_DEP_4)
	v_bfi_b32 v4, v4, 0, v2
	v_lshrrev_b64 v[2:3], v84, v[2:3]
	v_bfi_b32 v5, v5, 0, 0
	s_delay_alu instid0(VALU_DEP_1) | instskip(NEXT) | instid1(VALU_DEP_3)
	v_cmp_eq_u64_e64 s7, v[4:5], v[62:63]
	v_mov_b64_e32 v[4:5], v[2:3]
	s_and_saveexec_b32 s41, s7
; %bb.11881:                            ;   in Loop: Header=BB6_8449 Depth=2
	v_bfe_u32 v4, v2, 21, 1
	v_mov_b32_e32 v5, v1
	s_delay_alu instid0(VALU_DEP_1) | instskip(NEXT) | instid1(VALU_DEP_1)
	v_add_nc_u64_e32 v[4:5], v[2:3], v[4:5]
	v_add_nc_u64_e32 v[4:5], -1, v[4:5]
; %bb.11882:                            ;   in Loop: Header=BB6_8449 Depth=2
	s_or_b32 exec_lo, exec_lo, s41
	v_add_nc_u32_e32 v3, 0xffffff81, v70
	v_lshrrev_b32_e32 v5, 23, v2
	s_mov_b32 s7, exec_lo
	s_delay_alu instid0(VALU_DEP_2) | instskip(NEXT) | instid1(VALU_DEP_1)
	v_cndmask_b32_e64 v3, v3, 0xffffff82, vcc_lo
	v_add3_u32 v70, v84, v3, v5
	v_and_b32_e32 v3, 0x1fffff, v4
                                        ; implicit-def: $vgpr4
	s_delay_alu instid0(VALU_DEP_2) | instskip(NEXT) | instid1(VALU_DEP_2)
	v_add_nc_u32_e32 v5, 14, v70
	v_dual_mov_b32 v3, v1 :: v_dual_add_nc_u32 v2, v3, v2
	s_delay_alu instid0(VALU_DEP_2)
	v_cmpx_ne_u32_e32 0, v5
	s_xor_b32 s7, exec_lo, s7
; %bb.11883:                            ;   in Loop: Header=BB6_8449 Depth=2
	s_delay_alu instid0(VALU_DEP_2) | instskip(SKIP_1) | instid1(VALU_DEP_1)
	v_cmp_lt_u64_e32 vcc_lo, 0xffffff, v[2:3]
	v_add_nc_u32_e32 v4, 15, v70
	v_cndmask_b32_e32 v4, v5, v4, vcc_lo
	v_cndmask_b32_e64 v5, 0, 1, vcc_lo
	s_delay_alu instid0(VALU_DEP_1)
	v_lshrrev_b64 v[2:3], v5, v[2:3]
; %bb.11884:                            ;   in Loop: Header=BB6_8449 Depth=2
	s_and_not1_saveexec_b32 s7, s7
; %bb.11885:                            ;   in Loop: Header=BB6_8449 Depth=2
	s_delay_alu instid0(VALU_DEP_1)
	v_bfe_u32 v4, v2, 23, 1
; %bb.11886:                            ;   in Loop: Header=BB6_8449 Depth=2
	s_or_b32 exec_lo, exec_lo, s7
	s_delay_alu instid0(VALU_DEP_2) | instskip(NEXT) | instid1(VALU_DEP_2)
	v_lshrrev_b64 v[2:3], 21, v[2:3]
	v_cmp_gt_i32_e32 vcc_lo, 32, v4
	v_min_i32_e32 v5, 31, v4
	v_cmp_eq_u32_e64 s7, 0, v4
	s_delay_alu instid0(VALU_DEP_2) | instskip(SKIP_1) | instid1(VALU_DEP_2)
	v_dual_cndmask_b32 v3, 0, v3, vcc_lo :: v_dual_lshlrev_b32 v5, 2, v5
	v_cndmask_b32_e32 v2, 3, v2, vcc_lo
	v_and_b32_e32 v5, 0xfc, v5
	s_delay_alu instid0(VALU_DEP_2) | instskip(NEXT) | instid1(VALU_DEP_2)
	v_cmp_eq_u64_e32 vcc_lo, 0, v[2:3]
	v_and_or_b32 v2, v2, 3, v5
	s_and_b32 s7, s7, vcc_lo
	s_delay_alu instid0(VALU_DEP_1) | instid1(SALU_CYCLE_1)
	v_cndmask_b32_e64 v2, v2, 0, s7
	s_delay_alu instid0(VALU_DEP_1)
	v_or_b32_e32 v70, v2, v81
.LBB6_11887:                            ;   in Loop: Header=BB6_8449 Depth=2
	s_or_b32 exec_lo, exec_lo, s40
                                        ; implicit-def: $vgpr81
.LBB6_11888:                            ;   in Loop: Header=BB6_8449 Depth=2
	s_and_not1_saveexec_b32 s7, s29
; %bb.11889:                            ;   in Loop: Header=BB6_8449 Depth=2
	v_or_b32_e32 v70, 0x7b, v81
; %bb.11890:                            ;   in Loop: Header=BB6_8449 Depth=2
	s_or_b32 exec_lo, exec_lo, s7
                                        ; implicit-def: $vgpr4
                                        ; implicit-def: $vgpr2_vgpr3
                                        ; implicit-def: $vgpr5
.LBB6_11891:                            ;   in Loop: Header=BB6_8449 Depth=2
	s_and_not1_saveexec_b32 s7, s28
	s_cbranch_execz .LBB6_11897
; %bb.11892:                            ;   in Loop: Header=BB6_8449 Depth=2
	s_mov_b32 s28, exec_lo
                                        ; implicit-def: $vgpr70
	v_cmpx_ne_u64_e32 0, v[2:3]
	s_xor_b32 s28, exec_lo, s28
; %bb.11893:                            ;   in Loop: Header=BB6_8449 Depth=2
	v_or_b32_e32 v70, 0x7f, v5
                                        ; implicit-def: $vgpr4
; %bb.11894:                            ;   in Loop: Header=BB6_8449 Depth=2
	s_and_not1_saveexec_b32 s28, s28
; %bb.11895:                            ;   in Loop: Header=BB6_8449 Depth=2
	v_cmp_lt_i32_e32 vcc_lo, -1, v4
	v_mov_b32_e32 v2, 0x7c
	s_delay_alu instid0(VALU_DEP_1)
	v_cndmask_b32_e32 v70, 0xfc, v2, vcc_lo
; %bb.11896:                            ;   in Loop: Header=BB6_8449 Depth=2
	s_or_b32 exec_lo, exec_lo, s28
.LBB6_11897:                            ;   in Loop: Header=BB6_8449 Depth=2
	s_delay_alu instid0(SALU_CYCLE_1) | instskip(SKIP_3) | instid1(VALU_DEP_2)
	s_or_b32 exec_lo, exec_lo, s7
	v_dual_mov_b32 v3, 0 :: v_dual_lshrrev_b32 v2, 16, v0
	v_mov_b32_e32 v4, 0
	s_mov_b32 s28, exec_lo
	v_and_b32_e32 v5, 0xff, v2
	s_delay_alu instid0(VALU_DEP_1)
	v_cmpx_ne_u16_e32 0, v5
	s_cbranch_execz .LBB6_11907
; %bb.11898:                            ;   in Loop: Header=BB6_8449 Depth=2
	v_bfrev_b32_e32 v4, 1
	s_mov_b32 s29, exec_lo
	v_cmpx_ne_u16_e32 0x80, v5
	s_cbranch_execz .LBB6_11906
; %bb.11899:                            ;   in Loop: Header=BB6_8449 Depth=2
	v_and_b32_e32 v4, 0x7c0000, v0
	v_bfe_u32 v5, v0, 16, 2
	s_delay_alu instid0(VALU_DEP_2) | instskip(SKIP_1) | instid1(SALU_CYCLE_1)
	v_cmp_ne_u32_e32 vcc_lo, 0x7c0000, v4
                                        ; implicit-def: $vgpr4
	s_and_saveexec_b32 s7, vcc_lo
	s_xor_b32 s7, exec_lo, s7
	s_cbranch_execz .LBB6_11903
; %bb.11900:                            ;   in Loop: Header=BB6_8449 Depth=2
	v_bfe_u32 v4, v0, 18, 5
	s_mov_b32 s40, exec_lo
	s_delay_alu instid0(VALU_DEP_1)
	v_cmpx_eq_u32_e32 0, v4
; %bb.11901:                            ;   in Loop: Header=BB6_8449 Depth=2
	v_clz_i32_u32_e32 v4, v5
	s_delay_alu instid0(VALU_DEP_1) | instskip(NEXT) | instid1(VALU_DEP_1)
	v_min_u32_e32 v4, 32, v4
	v_subrev_nc_u32_e32 v5, 29, v4
	s_delay_alu instid0(VALU_DEP_1) | instskip(NEXT) | instid1(VALU_DEP_1)
	v_lshlrev_b64_e32 v[62:63], v5, v[2:3]
	v_dual_sub_nc_u32 v4, 30, v4 :: v_dual_bitop2_b32 v5, 3, v62 bitop3:0x40
; %bb.11902:                            ;   in Loop: Header=BB6_8449 Depth=2
	s_or_b32 exec_lo, exec_lo, s40
	v_lshlrev_b32_e32 v2, 24, v2
	s_delay_alu instid0(VALU_DEP_1) | instskip(NEXT) | instid1(VALU_DEP_1)
	v_and_b32_e32 v2, 0x80000000, v2
	v_lshl_add_u32 v2, v4, 23, v2
	s_delay_alu instid0(VALU_DEP_1) | instskip(NEXT) | instid1(VALU_DEP_1)
	v_lshl_or_b32 v2, v5, 21, v2
                                        ; implicit-def: $vgpr5
	v_add_nc_u32_e32 v4, 0x38000000, v2
                                        ; implicit-def: $vgpr2
.LBB6_11903:                            ;   in Loop: Header=BB6_8449 Depth=2
	s_and_not1_saveexec_b32 s40, s7
; %bb.11904:                            ;   in Loop: Header=BB6_8449 Depth=2
	v_bfe_i32 v2, v2, 0, 8
	v_cmp_eq_u32_e32 vcc_lo, 0, v5
	s_delay_alu instid0(VALU_DEP_2) | instskip(SKIP_1) | instid1(VALU_DEP_1)
	v_cmp_lt_i16_e64 s7, -1, v2
	v_mov_b32_e32 v2, 0x7f800000
	v_cndmask_b32_e64 v2, 0xff800000, v2, s7
	s_delay_alu instid0(VALU_DEP_1)
	v_cndmask_b32_e32 v4, 0x7f800001, v2, vcc_lo
; %bb.11905:                            ;   in Loop: Header=BB6_8449 Depth=2
	s_or_b32 exec_lo, exec_lo, s40
.LBB6_11906:                            ;   in Loop: Header=BB6_8449 Depth=2
	s_delay_alu instid0(SALU_CYCLE_1)
	s_or_b32 exec_lo, exec_lo, s29
.LBB6_11907:                            ;   in Loop: Header=BB6_8449 Depth=2
	s_delay_alu instid0(SALU_CYCLE_1) | instskip(SKIP_2) | instid1(VALU_DEP_1)
	s_or_b32 exec_lo, exec_lo, s28
	v_lshrrev_b32_e32 v2, 16, v15
	s_mov_b32 s28, exec_lo
	v_and_b32_e32 v5, 0xff, v2
	s_delay_alu instid0(VALU_DEP_1)
	v_cmpx_ne_u16_e32 0, v5
	s_cbranch_execz .LBB6_11917
; %bb.11908:                            ;   in Loop: Header=BB6_8449 Depth=2
	v_bfrev_b32_e32 v3, 1
	s_mov_b32 s29, exec_lo
	v_cmpx_ne_u16_e32 0x80, v5
	s_cbranch_execz .LBB6_11916
; %bb.11909:                            ;   in Loop: Header=BB6_8449 Depth=2
	v_and_b32_e32 v3, 0x7c0000, v15
	v_bfe_u32 v5, v15, 16, 2
	s_delay_alu instid0(VALU_DEP_2) | instskip(SKIP_1) | instid1(SALU_CYCLE_1)
	v_cmp_ne_u32_e32 vcc_lo, 0x7c0000, v3
                                        ; implicit-def: $vgpr3
	s_and_saveexec_b32 s7, vcc_lo
	s_xor_b32 s7, exec_lo, s7
	s_cbranch_execz .LBB6_11913
; %bb.11910:                            ;   in Loop: Header=BB6_8449 Depth=2
	v_bfe_u32 v3, v15, 18, 5
	s_mov_b32 s40, exec_lo
	s_delay_alu instid0(VALU_DEP_1)
	v_cmpx_eq_u32_e32 0, v3
; %bb.11911:                            ;   in Loop: Header=BB6_8449 Depth=2
	v_clz_i32_u32_e32 v3, v5
	s_delay_alu instid0(VALU_DEP_1) | instskip(NEXT) | instid1(VALU_DEP_1)
	v_min_u32_e32 v3, 32, v3
	v_subrev_nc_u32_e32 v5, 29, v3
	s_delay_alu instid0(VALU_DEP_1) | instskip(NEXT) | instid1(VALU_DEP_1)
	v_lshlrev_b64_e32 v[62:63], v5, v[2:3]
	v_dual_sub_nc_u32 v3, 30, v3 :: v_dual_bitop2_b32 v5, 3, v62 bitop3:0x40
; %bb.11912:                            ;   in Loop: Header=BB6_8449 Depth=2
	s_or_b32 exec_lo, exec_lo, s40
	v_lshlrev_b32_e32 v2, 24, v2
	s_delay_alu instid0(VALU_DEP_1) | instskip(NEXT) | instid1(VALU_DEP_1)
	v_and_b32_e32 v2, 0x80000000, v2
	v_lshl_add_u32 v2, v3, 23, v2
	s_delay_alu instid0(VALU_DEP_1) | instskip(NEXT) | instid1(VALU_DEP_1)
	v_lshl_or_b32 v2, v5, 21, v2
                                        ; implicit-def: $vgpr5
	v_add_nc_u32_e32 v3, 0x38000000, v2
                                        ; implicit-def: $vgpr2
.LBB6_11913:                            ;   in Loop: Header=BB6_8449 Depth=2
	s_and_not1_saveexec_b32 s40, s7
; %bb.11914:                            ;   in Loop: Header=BB6_8449 Depth=2
	v_bfe_i32 v2, v2, 0, 8
	v_cmp_eq_u32_e32 vcc_lo, 0, v5
	s_delay_alu instid0(VALU_DEP_2) | instskip(SKIP_1) | instid1(VALU_DEP_1)
	v_cmp_lt_i16_e64 s7, -1, v2
	v_mov_b32_e32 v2, 0x7f800000
	v_cndmask_b32_e64 v2, 0xff800000, v2, s7
	s_delay_alu instid0(VALU_DEP_1)
	v_cndmask_b32_e32 v3, 0x7f800001, v2, vcc_lo
; %bb.11915:                            ;   in Loop: Header=BB6_8449 Depth=2
	s_or_b32 exec_lo, exec_lo, s40
.LBB6_11916:                            ;   in Loop: Header=BB6_8449 Depth=2
	s_delay_alu instid0(SALU_CYCLE_1)
	s_or_b32 exec_lo, exec_lo, s29
.LBB6_11917:                            ;   in Loop: Header=BB6_8449 Depth=2
	s_delay_alu instid0(SALU_CYCLE_1) | instskip(NEXT) | instid1(VALU_DEP_1)
	s_or_b32 exec_lo, exec_lo, s28
	v_dual_add_f32 v4, v4, v3 :: v_dual_mov_b32 v63, v1
	v_mov_b32_e32 v3, v1
                                        ; implicit-def: $vgpr81
	s_mov_b32 s7, exec_lo
	s_delay_alu instid0(VALU_DEP_2) | instskip(SKIP_2) | instid1(VALU_DEP_3)
	v_and_b32_e32 v62, 0x7f800000, v4
	v_and_b32_e32 v2, 0x7fffff, v4
	v_lshrrev_b32_e32 v5, 24, v4
	v_cmpx_ne_u64_e32 0x7f800000, v[62:63]
	s_xor_b32 s28, exec_lo, s7
	s_cbranch_execz .LBB6_11931
; %bb.11918:                            ;   in Loop: Header=BB6_8449 Depth=2
	v_and_b32_e32 v62, 0x7fffffff, v4
	v_mov_b32_e32 v63, v1
	v_and_b32_e32 v84, 0x80, v5
                                        ; implicit-def: $vgpr81
	s_mov_b32 s7, exec_lo
	s_delay_alu instid0(VALU_DEP_2)
	v_cmpx_gt_u64_e32 0x47600001, v[62:63]
	s_xor_b32 s29, exec_lo, s7
	s_cbranch_execz .LBB6_11928
; %bb.11919:                            ;   in Loop: Header=BB6_8449 Depth=2
	v_mov_b32_e32 v81, 0
	s_mov_b32 s40, exec_lo
	v_cmpx_ne_u32_e32 0, v4
	s_cbranch_execz .LBB6_11927
; %bb.11920:                            ;   in Loop: Header=BB6_8449 Depth=2
	v_bfe_u32 v81, v4, 23, 8
	v_or_b32_e32 v5, 0x800000, v2
	s_delay_alu instid0(VALU_DEP_2) | instskip(SKIP_2) | instid1(VALU_DEP_2)
	v_cmp_gt_u32_e64 s7, 0x72, v81
	v_sub_nc_u32_e32 v4, 0x71, v81
	v_cmp_eq_u32_e32 vcc_lo, 0, v81
	v_dual_cndmask_b32 v4, 0, v4, s7 :: v_dual_cndmask_b32 v2, v5, v2, vcc_lo
	s_delay_alu instid0(VALU_DEP_1) | instskip(NEXT) | instid1(VALU_DEP_1)
	v_cndmask_b32_e64 v115, v4, 0x70, vcc_lo
	v_dual_add_nc_u32 v4, 21, v115 :: v_dual_add_nc_u32 v40, 20, v115
	s_delay_alu instid0(VALU_DEP_1) | instskip(NEXT) | instid1(VALU_DEP_2)
	v_lshlrev_b64_e64 v[4:5], v4, -1
	v_lshlrev_b64_e64 v[62:63], v40, 1
	s_delay_alu instid0(VALU_DEP_2) | instskip(SKIP_1) | instid1(VALU_DEP_4)
	v_bfi_b32 v4, v4, 0, v2
	v_lshrrev_b64 v[2:3], v115, v[2:3]
	v_bfi_b32 v5, v5, 0, 0
	s_delay_alu instid0(VALU_DEP_1) | instskip(NEXT) | instid1(VALU_DEP_3)
	v_cmp_eq_u64_e64 s7, v[4:5], v[62:63]
	v_mov_b64_e32 v[4:5], v[2:3]
	s_and_saveexec_b32 s41, s7
; %bb.11921:                            ;   in Loop: Header=BB6_8449 Depth=2
	v_bfe_u32 v4, v2, 21, 1
	v_mov_b32_e32 v5, v1
	s_delay_alu instid0(VALU_DEP_1) | instskip(NEXT) | instid1(VALU_DEP_1)
	v_add_nc_u64_e32 v[4:5], v[2:3], v[4:5]
	v_add_nc_u64_e32 v[4:5], -1, v[4:5]
; %bb.11922:                            ;   in Loop: Header=BB6_8449 Depth=2
	s_or_b32 exec_lo, exec_lo, s41
	v_add_nc_u32_e32 v3, 0xffffff81, v81
	v_lshrrev_b32_e32 v5, 23, v2
	s_mov_b32 s7, exec_lo
	s_delay_alu instid0(VALU_DEP_2) | instskip(NEXT) | instid1(VALU_DEP_1)
	v_cndmask_b32_e64 v3, v3, 0xffffff82, vcc_lo
	v_add3_u32 v81, v115, v3, v5
	v_and_b32_e32 v3, 0x1fffff, v4
                                        ; implicit-def: $vgpr4
	s_delay_alu instid0(VALU_DEP_1) | instskip(SKIP_1) | instid1(VALU_DEP_2)
	v_dual_add_nc_u32 v5, 14, v81 :: v_dual_add_nc_u32 v2, v3, v2
	v_mov_b32_e32 v3, v1
	v_cmpx_ne_u32_e32 0, v5
	s_xor_b32 s7, exec_lo, s7
; %bb.11923:                            ;   in Loop: Header=BB6_8449 Depth=2
	s_delay_alu instid0(VALU_DEP_2) | instskip(SKIP_1) | instid1(VALU_DEP_1)
	v_cmp_lt_u64_e32 vcc_lo, 0xffffff, v[2:3]
	v_add_nc_u32_e32 v4, 15, v81
	v_cndmask_b32_e32 v4, v5, v4, vcc_lo
	v_cndmask_b32_e64 v5, 0, 1, vcc_lo
	s_delay_alu instid0(VALU_DEP_1)
	v_lshrrev_b64 v[2:3], v5, v[2:3]
; %bb.11924:                            ;   in Loop: Header=BB6_8449 Depth=2
	s_and_not1_saveexec_b32 s7, s7
; %bb.11925:                            ;   in Loop: Header=BB6_8449 Depth=2
	s_delay_alu instid0(VALU_DEP_1)
	v_bfe_u32 v4, v2, 23, 1
; %bb.11926:                            ;   in Loop: Header=BB6_8449 Depth=2
	s_or_b32 exec_lo, exec_lo, s7
	s_delay_alu instid0(VALU_DEP_2) | instskip(NEXT) | instid1(VALU_DEP_2)
	v_lshrrev_b64 v[2:3], 21, v[2:3]
	v_cmp_gt_i32_e32 vcc_lo, 32, v4
	v_min_i32_e32 v5, 31, v4
	v_cmp_eq_u32_e64 s7, 0, v4
	s_delay_alu instid0(VALU_DEP_2) | instskip(SKIP_1) | instid1(VALU_DEP_2)
	v_dual_cndmask_b32 v3, 0, v3, vcc_lo :: v_dual_lshlrev_b32 v5, 2, v5
	v_cndmask_b32_e32 v2, 3, v2, vcc_lo
	v_and_b32_e32 v5, 0xfc, v5
	s_delay_alu instid0(VALU_DEP_2) | instskip(NEXT) | instid1(VALU_DEP_2)
	v_cmp_eq_u64_e32 vcc_lo, 0, v[2:3]
	v_and_or_b32 v2, v2, 3, v5
	s_and_b32 s7, s7, vcc_lo
	s_delay_alu instid0(VALU_DEP_1) | instid1(SALU_CYCLE_1)
	v_cndmask_b32_e64 v2, v2, 0, s7
	s_delay_alu instid0(VALU_DEP_1)
	v_or_b32_e32 v81, v2, v84
.LBB6_11927:                            ;   in Loop: Header=BB6_8449 Depth=2
	s_or_b32 exec_lo, exec_lo, s40
                                        ; implicit-def: $vgpr84
.LBB6_11928:                            ;   in Loop: Header=BB6_8449 Depth=2
	s_and_not1_saveexec_b32 s7, s29
; %bb.11929:                            ;   in Loop: Header=BB6_8449 Depth=2
	v_or_b32_e32 v81, 0x7b, v84
; %bb.11930:                            ;   in Loop: Header=BB6_8449 Depth=2
	s_or_b32 exec_lo, exec_lo, s7
                                        ; implicit-def: $vgpr4
                                        ; implicit-def: $vgpr2_vgpr3
                                        ; implicit-def: $vgpr5
.LBB6_11931:                            ;   in Loop: Header=BB6_8449 Depth=2
	s_and_not1_saveexec_b32 s7, s28
	s_cbranch_execz .LBB6_11937
; %bb.11932:                            ;   in Loop: Header=BB6_8449 Depth=2
	s_mov_b32 s28, exec_lo
                                        ; implicit-def: $vgpr81
	v_cmpx_ne_u64_e32 0, v[2:3]
	s_xor_b32 s28, exec_lo, s28
; %bb.11933:                            ;   in Loop: Header=BB6_8449 Depth=2
	v_or_b32_e32 v81, 0x7f, v5
                                        ; implicit-def: $vgpr4
; %bb.11934:                            ;   in Loop: Header=BB6_8449 Depth=2
	s_and_not1_saveexec_b32 s28, s28
; %bb.11935:                            ;   in Loop: Header=BB6_8449 Depth=2
	v_cmp_lt_i32_e32 vcc_lo, -1, v4
	v_mov_b32_e32 v2, 0x7c
	s_delay_alu instid0(VALU_DEP_1)
	v_cndmask_b32_e32 v81, 0xfc, v2, vcc_lo
; %bb.11936:                            ;   in Loop: Header=BB6_8449 Depth=2
	s_or_b32 exec_lo, exec_lo, s28
.LBB6_11937:                            ;   in Loop: Header=BB6_8449 Depth=2
	s_delay_alu instid0(SALU_CYCLE_1)
	s_or_b32 exec_lo, exec_lo, s7
	v_dual_mov_b32 v3, 0 :: v_dual_mov_b32 v4, 0
	s_mov_b32 s28, exec_lo
	v_cmpx_lt_u32_e32 0xffffff, v0
	s_cbranch_execz .LBB6_11947
; %bb.11938:                            ;   in Loop: Header=BB6_8449 Depth=2
	v_lshrrev_b32_e32 v2, 24, v0
	v_bfrev_b32_e32 v4, 1
	s_mov_b32 s29, exec_lo
	s_delay_alu instid0(VALU_DEP_2)
	v_cmpx_ne_u32_e32 0x80, v2
	s_cbranch_execz .LBB6_11946
; %bb.11939:                            ;   in Loop: Header=BB6_8449 Depth=2
	v_and_b32_e32 v4, 0x7c000000, v0
	v_bfe_u32 v5, v0, 24, 2
	s_delay_alu instid0(VALU_DEP_2) | instskip(SKIP_1) | instid1(SALU_CYCLE_1)
	v_cmp_ne_u32_e32 vcc_lo, 0x7c000000, v4
                                        ; implicit-def: $vgpr4
	s_and_saveexec_b32 s7, vcc_lo
	s_xor_b32 s7, exec_lo, s7
	s_cbranch_execz .LBB6_11943
; %bb.11940:                            ;   in Loop: Header=BB6_8449 Depth=2
	v_bfe_u32 v4, v0, 26, 5
	s_mov_b32 s40, exec_lo
	s_delay_alu instid0(VALU_DEP_1)
	v_cmpx_eq_u32_e32 0, v4
; %bb.11941:                            ;   in Loop: Header=BB6_8449 Depth=2
	v_clz_i32_u32_e32 v4, v5
	s_delay_alu instid0(VALU_DEP_1) | instskip(NEXT) | instid1(VALU_DEP_1)
	v_min_u32_e32 v4, 32, v4
	v_subrev_nc_u32_e32 v5, 29, v4
	s_delay_alu instid0(VALU_DEP_1) | instskip(NEXT) | instid1(VALU_DEP_1)
	v_lshlrev_b64_e32 v[62:63], v5, v[2:3]
	v_dual_sub_nc_u32 v4, 30, v4 :: v_dual_bitop2_b32 v5, 3, v62 bitop3:0x40
; %bb.11942:                            ;   in Loop: Header=BB6_8449 Depth=2
	s_or_b32 exec_lo, exec_lo, s40
	v_and_b32_e32 v0, 0x80000000, v0
	s_delay_alu instid0(VALU_DEP_1) | instskip(NEXT) | instid1(VALU_DEP_1)
	v_lshl_add_u32 v0, v4, 23, v0
	v_lshl_or_b32 v0, v5, 21, v0
                                        ; implicit-def: $vgpr5
	s_delay_alu instid0(VALU_DEP_1)
	v_add_nc_u32_e32 v4, 0x38000000, v0
.LBB6_11943:                            ;   in Loop: Header=BB6_8449 Depth=2
	s_and_not1_saveexec_b32 s40, s7
; %bb.11944:                            ;   in Loop: Header=BB6_8449 Depth=2
	v_cmp_lt_i32_e64 s7, -1, v0
	v_mov_b32_e32 v0, 0x7f800000
	v_cmp_eq_u32_e32 vcc_lo, 0, v5
	s_delay_alu instid0(VALU_DEP_2) | instskip(NEXT) | instid1(VALU_DEP_1)
	v_cndmask_b32_e64 v0, 0xff800000, v0, s7
	v_cndmask_b32_e32 v4, 0x7f800001, v0, vcc_lo
; %bb.11945:                            ;   in Loop: Header=BB6_8449 Depth=2
	s_or_b32 exec_lo, exec_lo, s40
.LBB6_11946:                            ;   in Loop: Header=BB6_8449 Depth=2
	s_delay_alu instid0(SALU_CYCLE_1)
	s_or_b32 exec_lo, exec_lo, s29
.LBB6_11947:                            ;   in Loop: Header=BB6_8449 Depth=2
	s_delay_alu instid0(SALU_CYCLE_1) | instskip(NEXT) | instid1(SALU_CYCLE_1)
	s_or_b32 exec_lo, exec_lo, s28
	s_mov_b32 s28, exec_lo
	v_cmpx_lt_u64_e64 s[12:13], v[14:15]
	s_cbranch_execz .LBB6_11957
; %bb.11948:                            ;   in Loop: Header=BB6_8449 Depth=2
	v_lshrrev_b32_e32 v0, 24, v15
	v_bfrev_b32_e32 v3, 1
	s_mov_b32 s29, exec_lo
	s_delay_alu instid0(VALU_DEP_2)
	v_cmpx_ne_u32_e32 0x80, v0
	s_cbranch_execz .LBB6_11956
; %bb.11949:                            ;   in Loop: Header=BB6_8449 Depth=2
	v_and_b32_e32 v3, 0x7c000000, v15
	v_bfe_u32 v2, v15, 24, 2
	s_delay_alu instid0(VALU_DEP_2) | instskip(SKIP_1) | instid1(SALU_CYCLE_1)
	v_cmp_ne_u32_e32 vcc_lo, 0x7c000000, v3
                                        ; implicit-def: $vgpr3
	s_and_saveexec_b32 s7, vcc_lo
	s_xor_b32 s7, exec_lo, s7
	s_cbranch_execz .LBB6_11953
; %bb.11950:                            ;   in Loop: Header=BB6_8449 Depth=2
	v_bfe_u32 v3, v15, 26, 5
	s_mov_b32 s40, exec_lo
	s_delay_alu instid0(VALU_DEP_1)
	v_cmpx_eq_u32_e32 0, v3
; %bb.11951:                            ;   in Loop: Header=BB6_8449 Depth=2
	v_clz_i32_u32_e32 v2, v2
	s_delay_alu instid0(VALU_DEP_1) | instskip(NEXT) | instid1(VALU_DEP_1)
	v_min_u32_e32 v5, 32, v2
	v_subrev_nc_u32_e32 v2, 29, v5
	s_delay_alu instid0(VALU_DEP_1) | instskip(NEXT) | instid1(VALU_DEP_1)
	v_lshlrev_b64_e32 v[2:3], v2, v[0:1]
	v_dual_sub_nc_u32 v3, 30, v5 :: v_dual_bitop2_b32 v2, 3, v2 bitop3:0x40
; %bb.11952:                            ;   in Loop: Header=BB6_8449 Depth=2
	s_or_b32 exec_lo, exec_lo, s40
	v_and_b32_e32 v0, 0x80000000, v15
	s_delay_alu instid0(VALU_DEP_1) | instskip(NEXT) | instid1(VALU_DEP_1)
	v_lshl_add_u32 v0, v3, 23, v0
	v_lshl_or_b32 v0, v2, 21, v0
                                        ; implicit-def: $vgpr2
	s_delay_alu instid0(VALU_DEP_1)
	v_add_nc_u32_e32 v3, 0x38000000, v0
.LBB6_11953:                            ;   in Loop: Header=BB6_8449 Depth=2
	s_and_not1_saveexec_b32 s40, s7
; %bb.11954:                            ;   in Loop: Header=BB6_8449 Depth=2
	v_cmp_lt_i64_e64 s7, -1, v[14:15]
	v_mov_b32_e32 v0, 0x7f800000
	v_cmp_eq_u32_e32 vcc_lo, 0, v2
	s_delay_alu instid0(VALU_DEP_2) | instskip(NEXT) | instid1(VALU_DEP_1)
	v_cndmask_b32_e64 v0, 0xff800000, v0, s7
	v_cndmask_b32_e32 v3, 0x7f800001, v0, vcc_lo
; %bb.11955:                            ;   in Loop: Header=BB6_8449 Depth=2
	s_or_b32 exec_lo, exec_lo, s40
.LBB6_11956:                            ;   in Loop: Header=BB6_8449 Depth=2
	s_delay_alu instid0(SALU_CYCLE_1)
	s_or_b32 exec_lo, exec_lo, s29
.LBB6_11957:                            ;   in Loop: Header=BB6_8449 Depth=2
	s_delay_alu instid0(SALU_CYCLE_1) | instskip(NEXT) | instid1(VALU_DEP_1)
	s_or_b32 exec_lo, exec_lo, s28
	v_dual_add_f32 v2, v4, v3 :: v_dual_mov_b32 v5, v1
                                        ; implicit-def: $vgpr14
	s_mov_b32 s7, exec_lo
	s_delay_alu instid0(VALU_DEP_1) | instskip(SKIP_2) | instid1(VALU_DEP_3)
	v_and_b32_e32 v4, 0x7f800000, v2
	v_and_b32_e32 v0, 0x7fffff, v2
	v_lshrrev_b32_e32 v3, 24, v2
	v_cmpx_ne_u64_e32 0x7f800000, v[4:5]
	s_xor_b32 s28, exec_lo, s7
	s_cbranch_execz .LBB6_11971
; %bb.11958:                            ;   in Loop: Header=BB6_8449 Depth=2
	v_and_b32_e32 v4, 0x7fffffff, v2
	v_mov_b32_e32 v5, v1
	v_and_b32_e32 v15, 0x80, v3
                                        ; implicit-def: $vgpr14
	s_mov_b32 s7, exec_lo
	s_delay_alu instid0(VALU_DEP_2)
	v_cmpx_gt_u64_e32 0x47600001, v[4:5]
	s_xor_b32 s29, exec_lo, s7
	s_cbranch_execz .LBB6_11968
; %bb.11959:                            ;   in Loop: Header=BB6_8449 Depth=2
	v_mov_b32_e32 v14, 0
	s_mov_b32 s40, exec_lo
	v_cmpx_ne_u32_e32 0, v2
	s_cbranch_execz .LBB6_11967
; %bb.11960:                            ;   in Loop: Header=BB6_8449 Depth=2
	v_bfe_u32 v14, v2, 23, 8
	v_or_b32_e32 v3, 0x800000, v0
	s_delay_alu instid0(VALU_DEP_2) | instskip(SKIP_2) | instid1(VALU_DEP_2)
	v_cmp_gt_u32_e64 s7, 0x72, v14
	v_sub_nc_u32_e32 v2, 0x71, v14
	v_cmp_eq_u32_e32 vcc_lo, 0, v14
	v_cndmask_b32_e64 v2, 0, v2, s7
	s_delay_alu instid0(VALU_DEP_1) | instskip(SKIP_1) | instid1(VALU_DEP_2)
	v_cndmask_b32_e64 v84, v2, 0x70, vcc_lo
	v_dual_cndmask_b32 v2, v3, v0 :: v_dual_mov_b32 v3, v1
	v_add_nc_u32_e32 v0, 21, v84
	s_delay_alu instid0(VALU_DEP_1) | instskip(SKIP_1) | instid1(VALU_DEP_1)
	v_lshlrev_b64_e64 v[4:5], v0, -1
	v_add_nc_u32_e32 v0, 20, v84
	v_lshlrev_b64_e64 v[62:63], v0, 1
	s_delay_alu instid0(VALU_DEP_3) | instskip(SKIP_2) | instid1(VALU_DEP_1)
	v_bfi_b32 v4, v4, 0, v2
	v_lshrrev_b64 v[2:3], v84, v[2:3]
	v_bfi_b32 v5, v5, 0, 0
	v_cmp_eq_u64_e64 s7, v[4:5], v[62:63]
	s_delay_alu instid0(VALU_DEP_3)
	v_mov_b64_e32 v[4:5], v[2:3]
	s_and_saveexec_b32 s41, s7
; %bb.11961:                            ;   in Loop: Header=BB6_8449 Depth=2
	v_bfe_u32 v4, v2, 21, 1
	v_mov_b32_e32 v5, v1
	s_delay_alu instid0(VALU_DEP_1) | instskip(NEXT) | instid1(VALU_DEP_1)
	v_add_nc_u64_e32 v[4:5], v[2:3], v[4:5]
	v_add_nc_u64_e32 v[4:5], -1, v[4:5]
; %bb.11962:                            ;   in Loop: Header=BB6_8449 Depth=2
	s_or_b32 exec_lo, exec_lo, s41
	v_add_nc_u32_e32 v0, 0xffffff81, v14
	s_delay_alu instid0(VALU_DEP_2) | instskip(SKIP_2) | instid1(VALU_DEP_3)
	v_and_b32_e32 v4, 0x1fffff, v4
	v_lshrrev_b32_e32 v3, 23, v2
	s_mov_b32 s7, exec_lo
	v_cndmask_b32_e64 v0, v0, 0xffffff82, vcc_lo
	s_delay_alu instid0(VALU_DEP_1) | instskip(SKIP_1) | instid1(VALU_DEP_2)
	v_add3_u32 v14, v84, v0, v3
	v_add_nc_u32_e32 v0, v4, v2
                                        ; implicit-def: $vgpr2_vgpr3
                                        ; implicit-def: $vgpr4
	v_add_nc_u32_e32 v5, 14, v14
	s_delay_alu instid0(VALU_DEP_1)
	v_cmpx_ne_u32_e32 0, v5
	s_xor_b32 s7, exec_lo, s7
; %bb.11963:                            ;   in Loop: Header=BB6_8449 Depth=2
	s_delay_alu instid0(VALU_DEP_3) | instskip(SKIP_1) | instid1(VALU_DEP_1)
	v_cmp_lt_u64_e32 vcc_lo, 0xffffff, v[0:1]
	v_add_nc_u32_e32 v2, 15, v14
	v_cndmask_b32_e32 v4, v5, v2, vcc_lo
	v_cndmask_b32_e64 v2, 0, 1, vcc_lo
	s_delay_alu instid0(VALU_DEP_1)
	v_lshrrev_b64 v[2:3], v2, v[0:1]
; %bb.11964:                            ;   in Loop: Header=BB6_8449 Depth=2
	s_and_not1_saveexec_b32 s7, s7
; %bb.11965:                            ;   in Loop: Header=BB6_8449 Depth=2
	v_mov_b64_e32 v[2:3], v[0:1]
	v_bfe_u32 v4, v0, 23, 1
; %bb.11966:                            ;   in Loop: Header=BB6_8449 Depth=2
	s_or_b32 exec_lo, exec_lo, s7
	s_delay_alu instid0(VALU_DEP_2) | instskip(NEXT) | instid1(VALU_DEP_2)
	v_lshrrev_b64 v[2:3], 21, v[2:3]
	v_cmp_gt_i32_e32 vcc_lo, 32, v4
	v_min_i32_e32 v0, 31, v4
	v_cmp_eq_u32_e64 s7, 0, v4
	s_delay_alu instid0(VALU_DEP_2) | instskip(SKIP_1) | instid1(VALU_DEP_2)
	v_dual_cndmask_b32 v3, 0, v3 :: v_dual_lshlrev_b32 v0, 2, v0
	v_cndmask_b32_e32 v2, 3, v2, vcc_lo
	v_and_b32_e32 v0, 0xfc, v0
	s_delay_alu instid0(VALU_DEP_2) | instskip(NEXT) | instid1(VALU_DEP_2)
	v_cmp_eq_u64_e32 vcc_lo, 0, v[2:3]
	v_and_or_b32 v0, v2, 3, v0
	s_and_b32 s7, s7, vcc_lo
	s_delay_alu instid0(VALU_DEP_1) | instid1(SALU_CYCLE_1)
	v_cndmask_b32_e64 v0, v0, 0, s7
	s_delay_alu instid0(VALU_DEP_1)
	v_or_b32_e32 v14, v0, v15
.LBB6_11967:                            ;   in Loop: Header=BB6_8449 Depth=2
	s_or_b32 exec_lo, exec_lo, s40
                                        ; implicit-def: $vgpr15
.LBB6_11968:                            ;   in Loop: Header=BB6_8449 Depth=2
	s_and_not1_saveexec_b32 s7, s29
; %bb.11969:                            ;   in Loop: Header=BB6_8449 Depth=2
	v_or_b32_e32 v14, 0x7b, v15
; %bb.11970:                            ;   in Loop: Header=BB6_8449 Depth=2
	s_or_b32 exec_lo, exec_lo, s7
                                        ; implicit-def: $vgpr2
                                        ; implicit-def: $vgpr3
.LBB6_11971:                            ;   in Loop: Header=BB6_8449 Depth=2
	s_and_not1_saveexec_b32 s7, s28
	s_cbranch_execz .LBB6_11977
; %bb.11972:                            ;   in Loop: Header=BB6_8449 Depth=2
	s_mov_b32 s28, exec_lo
                                        ; implicit-def: $vgpr14
	v_cmpx_ne_u64_e32 0, v[0:1]
	s_xor_b32 s28, exec_lo, s28
; %bb.11973:                            ;   in Loop: Header=BB6_8449 Depth=2
	v_or_b32_e32 v14, 0x7f, v3
                                        ; implicit-def: $vgpr2
; %bb.11974:                            ;   in Loop: Header=BB6_8449 Depth=2
	s_and_not1_saveexec_b32 s28, s28
; %bb.11975:                            ;   in Loop: Header=BB6_8449 Depth=2
	v_cmp_lt_i32_e32 vcc_lo, -1, v2
	v_mov_b32_e32 v0, 0x7c
	s_delay_alu instid0(VALU_DEP_1)
	v_cndmask_b32_e32 v14, 0xfc, v0, vcc_lo
; %bb.11976:                            ;   in Loop: Header=BB6_8449 Depth=2
	s_or_b32 exec_lo, exec_lo, s28
.LBB6_11977:                            ;   in Loop: Header=BB6_8449 Depth=2
	s_delay_alu instid0(SALU_CYCLE_1) | instskip(SKIP_4) | instid1(VALU_DEP_2)
	s_or_b32 exec_lo, exec_lo, s7
	v_lshl_or_b32 v66, v66, 8, v55
	v_dual_lshlrev_b32 v0, 16, v69 :: v_dual_lshlrev_b32 v2, 24, v71
	s_mov_b32 s28, exec_lo
	v_mov_b32_e32 v3, 0
	v_or3_b32 v0, v0, v2, v66
	v_mov_b32_e32 v2, 0
	v_cmpx_ne_u32_e32 0, v55
	s_cbranch_execz .LBB6_11987
; %bb.11978:                            ;   in Loop: Header=BB6_8449 Depth=2
	v_bfrev_b32_e32 v3, 1
	s_mov_b32 s29, exec_lo
	v_cmpx_ne_u32_e32 0x80, v55
	s_cbranch_execz .LBB6_11986
; %bb.11979:                            ;   in Loop: Header=BB6_8449 Depth=2
	v_and_b32_e32 v3, 0x7c, v55
	v_and_b32_e32 v4, 3, v55
	s_delay_alu instid0(VALU_DEP_2) | instskip(SKIP_1) | instid1(SALU_CYCLE_1)
	v_cmp_ne_u32_e32 vcc_lo, 0x7c, v3
                                        ; implicit-def: $vgpr3
	s_and_saveexec_b32 s7, vcc_lo
	s_xor_b32 s7, exec_lo, s7
	s_cbranch_execz .LBB6_11983
; %bb.11980:                            ;   in Loop: Header=BB6_8449 Depth=2
	v_bfe_u32 v3, v55, 2, 5
	s_mov_b32 s40, exec_lo
	s_delay_alu instid0(VALU_DEP_1)
	v_cmpx_eq_u32_e32 0, v3
; %bb.11981:                            ;   in Loop: Header=BB6_8449 Depth=2
	v_clz_i32_u32_e32 v3, v4
	s_delay_alu instid0(VALU_DEP_1) | instskip(NEXT) | instid1(VALU_DEP_1)
	v_min_u32_e32 v3, 32, v3
	v_subrev_nc_u32_e32 v4, 29, v3
	s_delay_alu instid0(VALU_DEP_1) | instskip(NEXT) | instid1(VALU_DEP_1)
	v_lshlrev_b64_e32 v[4:5], v4, v[0:1]
	v_dual_sub_nc_u32 v3, 30, v3 :: v_dual_bitop2_b32 v4, 3, v4 bitop3:0x40
; %bb.11982:                            ;   in Loop: Header=BB6_8449 Depth=2
	s_or_b32 exec_lo, exec_lo, s40
	v_lshlrev_b32_e32 v5, 24, v55
                                        ; implicit-def: $vgpr55
	s_delay_alu instid0(VALU_DEP_1) | instskip(NEXT) | instid1(VALU_DEP_1)
	v_and_b32_e32 v5, 0x80000000, v5
	v_lshl_add_u32 v3, v3, 23, v5
	s_delay_alu instid0(VALU_DEP_1) | instskip(NEXT) | instid1(VALU_DEP_1)
	v_lshl_or_b32 v3, v4, 21, v3
                                        ; implicit-def: $vgpr4
	v_add_nc_u32_e32 v3, 0x38000000, v3
.LBB6_11983:                            ;   in Loop: Header=BB6_8449 Depth=2
	s_and_not1_saveexec_b32 s40, s7
; %bb.11984:                            ;   in Loop: Header=BB6_8449 Depth=2
	v_and_b32_e32 v3, 0x80, v55
	v_cmp_eq_u32_e32 vcc_lo, 0, v4
	s_delay_alu instid0(VALU_DEP_2) | instskip(SKIP_1) | instid1(VALU_DEP_1)
	v_cmp_eq_u32_e64 s7, 0, v3
	v_mov_b32_e32 v3, 0x7f800000
	v_cndmask_b32_e64 v3, 0xff800000, v3, s7
	s_delay_alu instid0(VALU_DEP_1)
	v_cndmask_b32_e32 v3, 0x7f800001, v3, vcc_lo
; %bb.11985:                            ;   in Loop: Header=BB6_8449 Depth=2
	s_or_b32 exec_lo, exec_lo, s40
.LBB6_11986:                            ;   in Loop: Header=BB6_8449 Depth=2
	s_delay_alu instid0(SALU_CYCLE_1)
	s_or_b32 exec_lo, exec_lo, s29
.LBB6_11987:                            ;   in Loop: Header=BB6_8449 Depth=2
	s_delay_alu instid0(SALU_CYCLE_1) | instskip(SKIP_2) | instid1(VALU_DEP_1)
	s_or_b32 exec_lo, exec_lo, s28
	v_and_b32_e32 v4, 0xff, v16
	s_mov_b32 s28, exec_lo
	v_cmpx_ne_u16_e32 0, v4
	s_cbranch_execz .LBB6_11997
; %bb.11988:                            ;   in Loop: Header=BB6_8449 Depth=2
	v_bfe_i32 v5, v16, 0, 8
	v_bfrev_b32_e32 v2, 1
	s_mov_b32 s29, exec_lo
	s_delay_alu instid0(VALU_DEP_2)
	v_cmpx_ne_u16_e32 0xff80, v5
	s_cbranch_execz .LBB6_11996
; %bb.11989:                            ;   in Loop: Header=BB6_8449 Depth=2
	v_and_b32_e32 v2, 0x7c, v16
	v_and_b32_e32 v4, 3, v16
	s_delay_alu instid0(VALU_DEP_2) | instskip(SKIP_1) | instid1(SALU_CYCLE_1)
	v_cmp_ne_u32_e32 vcc_lo, 0x7c, v2
                                        ; implicit-def: $vgpr2
	s_and_saveexec_b32 s7, vcc_lo
	s_xor_b32 s7, exec_lo, s7
	s_cbranch_execz .LBB6_11993
; %bb.11990:                            ;   in Loop: Header=BB6_8449 Depth=2
	v_bfe_u32 v2, v16, 2, 5
	s_mov_b32 s40, exec_lo
	s_delay_alu instid0(VALU_DEP_1)
	v_cmpx_eq_u32_e32 0, v2
; %bb.11991:                            ;   in Loop: Header=BB6_8449 Depth=2
	v_clz_i32_u32_e32 v2, v4
	s_delay_alu instid0(VALU_DEP_1) | instskip(NEXT) | instid1(VALU_DEP_1)
	v_min_u32_e32 v2, 32, v2
	v_subrev_nc_u32_e32 v4, 29, v2
	s_delay_alu instid0(VALU_DEP_1) | instskip(NEXT) | instid1(VALU_DEP_1)
	v_lshlrev_b64_e32 v[4:5], v4, v[16:17]
	v_dual_sub_nc_u32 v2, 30, v2 :: v_dual_bitop2_b32 v4, 3, v4 bitop3:0x40
; %bb.11992:                            ;   in Loop: Header=BB6_8449 Depth=2
	s_or_b32 exec_lo, exec_lo, s40
	v_lshlrev_b32_e32 v5, 24, v16
	s_delay_alu instid0(VALU_DEP_1) | instskip(NEXT) | instid1(VALU_DEP_1)
	v_and_b32_e32 v5, 0x80000000, v5
	v_lshl_add_u32 v2, v2, 23, v5
                                        ; implicit-def: $vgpr5
	s_delay_alu instid0(VALU_DEP_1) | instskip(NEXT) | instid1(VALU_DEP_1)
	v_lshl_or_b32 v2, v4, 21, v2
                                        ; implicit-def: $vgpr4
	v_add_nc_u32_e32 v2, 0x38000000, v2
.LBB6_11993:                            ;   in Loop: Header=BB6_8449 Depth=2
	s_and_not1_saveexec_b32 s40, s7
; %bb.11994:                            ;   in Loop: Header=BB6_8449 Depth=2
	v_cmp_lt_i16_e64 s7, -1, v5
	v_mov_b32_e32 v2, 0x7f800000
	v_cmp_eq_u32_e32 vcc_lo, 0, v4
	s_delay_alu instid0(VALU_DEP_2) | instskip(NEXT) | instid1(VALU_DEP_1)
	v_cndmask_b32_e64 v2, 0xff800000, v2, s7
	v_cndmask_b32_e32 v2, 0x7f800001, v2, vcc_lo
; %bb.11995:                            ;   in Loop: Header=BB6_8449 Depth=2
	s_or_b32 exec_lo, exec_lo, s40
.LBB6_11996:                            ;   in Loop: Header=BB6_8449 Depth=2
	s_delay_alu instid0(SALU_CYCLE_1)
	s_or_b32 exec_lo, exec_lo, s29
.LBB6_11997:                            ;   in Loop: Header=BB6_8449 Depth=2
	s_delay_alu instid0(SALU_CYCLE_1) | instskip(NEXT) | instid1(VALU_DEP_1)
	s_or_b32 exec_lo, exec_lo, s28
	v_dual_add_f32 v4, v3, v2 :: v_dual_mov_b32 v63, v1
	v_mov_b32_e32 v3, v1
                                        ; implicit-def: $vgpr15
	s_mov_b32 s7, exec_lo
	s_delay_alu instid0(VALU_DEP_2) | instskip(SKIP_2) | instid1(VALU_DEP_3)
	v_and_b32_e32 v62, 0x7f800000, v4
	v_and_b32_e32 v2, 0x7fffff, v4
	v_lshrrev_b32_e32 v5, 24, v4
	v_cmpx_ne_u64_e32 0x7f800000, v[62:63]
	s_xor_b32 s28, exec_lo, s7
	s_cbranch_execz .LBB6_12011
; %bb.11998:                            ;   in Loop: Header=BB6_8449 Depth=2
	v_and_b32_e32 v62, 0x7fffffff, v4
	v_mov_b32_e32 v63, v1
	v_and_b32_e32 v55, 0x80, v5
                                        ; implicit-def: $vgpr15
	s_mov_b32 s7, exec_lo
	s_delay_alu instid0(VALU_DEP_2)
	v_cmpx_gt_u64_e32 0x47600001, v[62:63]
	s_xor_b32 s29, exec_lo, s7
	s_cbranch_execz .LBB6_12008
; %bb.11999:                            ;   in Loop: Header=BB6_8449 Depth=2
	v_mov_b32_e32 v15, 0
	s_mov_b32 s40, exec_lo
	v_cmpx_ne_u32_e32 0, v4
	s_cbranch_execz .LBB6_12007
; %bb.12000:                            ;   in Loop: Header=BB6_8449 Depth=2
	v_bfe_u32 v15, v4, 23, 8
	v_or_b32_e32 v5, 0x800000, v2
	s_delay_alu instid0(VALU_DEP_2) | instskip(SKIP_2) | instid1(VALU_DEP_2)
	v_cmp_gt_u32_e64 s7, 0x72, v15
	v_sub_nc_u32_e32 v4, 0x71, v15
	v_cmp_eq_u32_e32 vcc_lo, 0, v15
	v_dual_cndmask_b32 v4, 0, v4, s7 :: v_dual_cndmask_b32 v2, v5, v2, vcc_lo
	s_delay_alu instid0(VALU_DEP_1) | instskip(NEXT) | instid1(VALU_DEP_1)
	v_cndmask_b32_e64 v69, v4, 0x70, vcc_lo
	v_dual_add_nc_u32 v4, 21, v69 :: v_dual_add_nc_u32 v71, 20, v69
	s_delay_alu instid0(VALU_DEP_1) | instskip(NEXT) | instid1(VALU_DEP_2)
	v_lshlrev_b64_e64 v[4:5], v4, -1
	v_lshlrev_b64_e64 v[62:63], v71, 1
	s_delay_alu instid0(VALU_DEP_2) | instskip(SKIP_1) | instid1(VALU_DEP_4)
	v_bfi_b32 v4, v4, 0, v2
	v_lshrrev_b64 v[2:3], v69, v[2:3]
	v_bfi_b32 v5, v5, 0, 0
	s_delay_alu instid0(VALU_DEP_1) | instskip(NEXT) | instid1(VALU_DEP_3)
	v_cmp_eq_u64_e64 s7, v[4:5], v[62:63]
	v_mov_b64_e32 v[4:5], v[2:3]
	s_and_saveexec_b32 s41, s7
; %bb.12001:                            ;   in Loop: Header=BB6_8449 Depth=2
	v_bfe_u32 v4, v2, 21, 1
	v_mov_b32_e32 v5, v1
	s_delay_alu instid0(VALU_DEP_1) | instskip(NEXT) | instid1(VALU_DEP_1)
	v_add_nc_u64_e32 v[4:5], v[2:3], v[4:5]
	v_add_nc_u64_e32 v[4:5], -1, v[4:5]
; %bb.12002:                            ;   in Loop: Header=BB6_8449 Depth=2
	s_or_b32 exec_lo, exec_lo, s41
	v_add_nc_u32_e32 v3, 0xffffff81, v15
	v_lshrrev_b32_e32 v5, 23, v2
	s_mov_b32 s7, exec_lo
	s_delay_alu instid0(VALU_DEP_2) | instskip(NEXT) | instid1(VALU_DEP_1)
	v_cndmask_b32_e64 v3, v3, 0xffffff82, vcc_lo
	v_add3_u32 v15, v69, v3, v5
	v_and_b32_e32 v3, 0x1fffff, v4
                                        ; implicit-def: $vgpr4
	s_delay_alu instid0(VALU_DEP_1) | instskip(SKIP_1) | instid1(VALU_DEP_2)
	v_dual_add_nc_u32 v5, 14, v15 :: v_dual_add_nc_u32 v2, v3, v2
	v_mov_b32_e32 v3, v1
	v_cmpx_ne_u32_e32 0, v5
	s_xor_b32 s7, exec_lo, s7
; %bb.12003:                            ;   in Loop: Header=BB6_8449 Depth=2
	s_delay_alu instid0(VALU_DEP_2) | instskip(SKIP_1) | instid1(VALU_DEP_1)
	v_cmp_lt_u64_e32 vcc_lo, 0xffffff, v[2:3]
	v_add_nc_u32_e32 v4, 15, v15
	v_cndmask_b32_e32 v4, v5, v4, vcc_lo
	v_cndmask_b32_e64 v5, 0, 1, vcc_lo
	s_delay_alu instid0(VALU_DEP_1)
	v_lshrrev_b64 v[2:3], v5, v[2:3]
; %bb.12004:                            ;   in Loop: Header=BB6_8449 Depth=2
	s_and_not1_saveexec_b32 s7, s7
; %bb.12005:                            ;   in Loop: Header=BB6_8449 Depth=2
	s_delay_alu instid0(VALU_DEP_1)
	v_bfe_u32 v4, v2, 23, 1
; %bb.12006:                            ;   in Loop: Header=BB6_8449 Depth=2
	s_or_b32 exec_lo, exec_lo, s7
	s_delay_alu instid0(VALU_DEP_2) | instskip(NEXT) | instid1(VALU_DEP_2)
	v_lshrrev_b64 v[2:3], 21, v[2:3]
	v_cmp_gt_i32_e32 vcc_lo, 32, v4
	v_min_i32_e32 v5, 31, v4
	v_cmp_eq_u32_e64 s7, 0, v4
	s_delay_alu instid0(VALU_DEP_2) | instskip(SKIP_1) | instid1(VALU_DEP_2)
	v_dual_cndmask_b32 v3, 0, v3, vcc_lo :: v_dual_lshlrev_b32 v5, 2, v5
	v_cndmask_b32_e32 v2, 3, v2, vcc_lo
	v_and_b32_e32 v5, 0xfc, v5
	s_delay_alu instid0(VALU_DEP_2) | instskip(NEXT) | instid1(VALU_DEP_2)
	v_cmp_eq_u64_e32 vcc_lo, 0, v[2:3]
	v_and_or_b32 v2, v2, 3, v5
	s_and_b32 s7, s7, vcc_lo
	s_delay_alu instid0(VALU_DEP_1) | instid1(SALU_CYCLE_1)
	v_cndmask_b32_e64 v2, v2, 0, s7
	s_delay_alu instid0(VALU_DEP_1)
	v_or_b32_e32 v15, v2, v55
.LBB6_12007:                            ;   in Loop: Header=BB6_8449 Depth=2
	s_or_b32 exec_lo, exec_lo, s40
                                        ; implicit-def: $vgpr55
.LBB6_12008:                            ;   in Loop: Header=BB6_8449 Depth=2
	s_and_not1_saveexec_b32 s7, s29
; %bb.12009:                            ;   in Loop: Header=BB6_8449 Depth=2
	v_or_b32_e32 v15, 0x7b, v55
; %bb.12010:                            ;   in Loop: Header=BB6_8449 Depth=2
	s_or_b32 exec_lo, exec_lo, s7
                                        ; implicit-def: $vgpr4
                                        ; implicit-def: $vgpr2_vgpr3
                                        ; implicit-def: $vgpr5
.LBB6_12011:                            ;   in Loop: Header=BB6_8449 Depth=2
	s_and_not1_saveexec_b32 s7, s28
	s_cbranch_execz .LBB6_12017
; %bb.12012:                            ;   in Loop: Header=BB6_8449 Depth=2
	s_mov_b32 s28, exec_lo
                                        ; implicit-def: $vgpr15
	v_cmpx_ne_u64_e32 0, v[2:3]
	s_xor_b32 s28, exec_lo, s28
; %bb.12013:                            ;   in Loop: Header=BB6_8449 Depth=2
	v_or_b32_e32 v15, 0x7f, v5
                                        ; implicit-def: $vgpr4
; %bb.12014:                            ;   in Loop: Header=BB6_8449 Depth=2
	s_and_not1_saveexec_b32 s28, s28
; %bb.12015:                            ;   in Loop: Header=BB6_8449 Depth=2
	v_cmp_lt_i32_e32 vcc_lo, -1, v4
	v_mov_b32_e32 v2, 0x7c
	s_delay_alu instid0(VALU_DEP_1)
	v_cndmask_b32_e32 v15, 0xfc, v2, vcc_lo
; %bb.12016:                            ;   in Loop: Header=BB6_8449 Depth=2
	s_or_b32 exec_lo, exec_lo, s28
.LBB6_12017:                            ;   in Loop: Header=BB6_8449 Depth=2
	s_delay_alu instid0(SALU_CYCLE_1) | instskip(SKIP_3) | instid1(VALU_DEP_2)
	s_or_b32 exec_lo, exec_lo, s7
	v_lshrrev_b16 v2, 8, v66
	v_dual_mov_b32 v4, 0 :: v_dual_mov_b32 v5, 0
	s_mov_b32 s28, exec_lo
	v_cmpx_ne_u16_e32 0, v2
	s_cbranch_execz .LBB6_12027
; %bb.12018:                            ;   in Loop: Header=BB6_8449 Depth=2
	v_bfrev_b32_e32 v5, 1
	s_mov_b32 s29, exec_lo
	v_cmpx_ne_u16_e32 0x80, v2
	s_cbranch_execz .LBB6_12026
; %bb.12019:                            ;   in Loop: Header=BB6_8449 Depth=2
	v_and_b32_e32 v55, 0xffff, v2
	s_delay_alu instid0(VALU_DEP_1) | instskip(SKIP_1) | instid1(VALU_DEP_2)
	v_and_b32_e32 v5, 0x7c, v55
	v_and_b32_e32 v3, 3, v55
	v_cmp_ne_u32_e32 vcc_lo, 0x7c, v5
                                        ; implicit-def: $vgpr5
	s_and_saveexec_b32 s7, vcc_lo
	s_delay_alu instid0(SALU_CYCLE_1)
	s_xor_b32 s7, exec_lo, s7
	s_cbranch_execz .LBB6_12023
; %bb.12020:                            ;   in Loop: Header=BB6_8449 Depth=2
	v_bfe_u32 v5, v55, 2, 5
	s_mov_b32 s40, exec_lo
	s_delay_alu instid0(VALU_DEP_1)
	v_cmpx_eq_u32_e32 0, v5
	s_cbranch_execz .LBB6_12022
; %bb.12021:                            ;   in Loop: Header=BB6_8449 Depth=2
	v_clz_i32_u32_e32 v3, v3
	s_delay_alu instid0(VALU_DEP_1) | instskip(SKIP_1) | instid1(VALU_DEP_2)
	v_min_u32_e32 v5, 32, v3
	v_mov_b32_e32 v3, v1
	v_subrev_nc_u32_e32 v55, 29, v5
	v_sub_nc_u32_e32 v5, 30, v5
	s_delay_alu instid0(VALU_DEP_2) | instskip(NEXT) | instid1(VALU_DEP_1)
	v_lshlrev_b64_e32 v[2:3], v55, v[2:3]
	v_and_b32_e32 v3, 3, v2
.LBB6_12022:                            ;   in Loop: Header=BB6_8449 Depth=2
	s_or_b32 exec_lo, exec_lo, s40
	v_lshlrev_b32_e32 v2, 16, v66
                                        ; implicit-def: $vgpr66
	s_delay_alu instid0(VALU_DEP_1) | instskip(NEXT) | instid1(VALU_DEP_1)
	v_and_b32_e32 v2, 0x80000000, v2
	v_lshl_add_u32 v2, v5, 23, v2
	s_delay_alu instid0(VALU_DEP_1) | instskip(NEXT) | instid1(VALU_DEP_1)
	v_lshl_or_b32 v2, v3, 21, v2
                                        ; implicit-def: $vgpr3
	v_add_nc_u32_e32 v5, 0x38000000, v2
.LBB6_12023:                            ;   in Loop: Header=BB6_8449 Depth=2
	s_and_not1_saveexec_b32 s40, s7
; %bb.12024:                            ;   in Loop: Header=BB6_8449 Depth=2
	v_cmp_lt_i16_e64 s7, -1, v66
	v_mov_b32_e32 v2, 0x7f800000
	v_cmp_eq_u32_e32 vcc_lo, 0, v3
	s_delay_alu instid0(VALU_DEP_2) | instskip(NEXT) | instid1(VALU_DEP_1)
	v_cndmask_b32_e64 v2, 0xff800000, v2, s7
	v_cndmask_b32_e32 v5, 0x7f800001, v2, vcc_lo
; %bb.12025:                            ;   in Loop: Header=BB6_8449 Depth=2
	s_or_b32 exec_lo, exec_lo, s40
.LBB6_12026:                            ;   in Loop: Header=BB6_8449 Depth=2
	s_delay_alu instid0(SALU_CYCLE_1)
	s_or_b32 exec_lo, exec_lo, s29
.LBB6_12027:                            ;   in Loop: Header=BB6_8449 Depth=2
	s_delay_alu instid0(SALU_CYCLE_1) | instskip(SKIP_2) | instid1(VALU_DEP_1)
	s_or_b32 exec_lo, exec_lo, s28
	v_lshrrev_b16 v2, 8, v16
	s_mov_b32 s28, exec_lo
	v_cmpx_ne_u16_e32 0, v2
	s_cbranch_execz .LBB6_12037
; %bb.12028:                            ;   in Loop: Header=BB6_8449 Depth=2
	v_bfrev_b32_e32 v4, 1
	s_mov_b32 s29, exec_lo
	v_cmpx_ne_u16_e32 0x80, v2
	s_cbranch_execz .LBB6_12036
; %bb.12029:                            ;   in Loop: Header=BB6_8449 Depth=2
	v_and_b32_e32 v55, 0xffff, v2
	s_delay_alu instid0(VALU_DEP_1) | instskip(SKIP_1) | instid1(VALU_DEP_2)
	v_and_b32_e32 v4, 0x7c, v55
	v_and_b32_e32 v3, 3, v55
	v_cmp_ne_u32_e32 vcc_lo, 0x7c, v4
                                        ; implicit-def: $vgpr4
	s_and_saveexec_b32 s7, vcc_lo
	s_delay_alu instid0(SALU_CYCLE_1)
	s_xor_b32 s7, exec_lo, s7
	s_cbranch_execz .LBB6_12033
; %bb.12030:                            ;   in Loop: Header=BB6_8449 Depth=2
	v_bfe_u32 v4, v55, 2, 5
	s_mov_b32 s40, exec_lo
	s_delay_alu instid0(VALU_DEP_1)
	v_cmpx_eq_u32_e32 0, v4
	s_cbranch_execz .LBB6_12032
; %bb.12031:                            ;   in Loop: Header=BB6_8449 Depth=2
	v_clz_i32_u32_e32 v3, v3
	s_delay_alu instid0(VALU_DEP_1) | instskip(SKIP_1) | instid1(VALU_DEP_2)
	v_min_u32_e32 v4, 32, v3
	v_mov_b32_e32 v3, v1
	v_subrev_nc_u32_e32 v55, 29, v4
	v_sub_nc_u32_e32 v4, 30, v4
	s_delay_alu instid0(VALU_DEP_2) | instskip(NEXT) | instid1(VALU_DEP_1)
	v_lshlrev_b64_e32 v[2:3], v55, v[2:3]
	v_and_b32_e32 v3, 3, v2
.LBB6_12032:                            ;   in Loop: Header=BB6_8449 Depth=2
	s_or_b32 exec_lo, exec_lo, s40
	v_lshlrev_b32_e32 v2, 16, v16
	s_delay_alu instid0(VALU_DEP_1) | instskip(NEXT) | instid1(VALU_DEP_1)
	v_and_b32_e32 v2, 0x80000000, v2
	v_lshl_add_u32 v2, v4, 23, v2
	s_delay_alu instid0(VALU_DEP_1) | instskip(NEXT) | instid1(VALU_DEP_1)
	v_lshl_or_b32 v2, v3, 21, v2
                                        ; implicit-def: $vgpr3
	v_add_nc_u32_e32 v4, 0x38000000, v2
.LBB6_12033:                            ;   in Loop: Header=BB6_8449 Depth=2
	s_and_not1_saveexec_b32 s40, s7
; %bb.12034:                            ;   in Loop: Header=BB6_8449 Depth=2
	v_cmp_lt_i16_e64 s7, -1, v16
	v_mov_b32_e32 v2, 0x7f800000
	v_cmp_eq_u32_e32 vcc_lo, 0, v3
	s_delay_alu instid0(VALU_DEP_2) | instskip(NEXT) | instid1(VALU_DEP_1)
	v_cndmask_b32_e64 v2, 0xff800000, v2, s7
	v_cndmask_b32_e32 v4, 0x7f800001, v2, vcc_lo
; %bb.12035:                            ;   in Loop: Header=BB6_8449 Depth=2
	s_or_b32 exec_lo, exec_lo, s40
.LBB6_12036:                            ;   in Loop: Header=BB6_8449 Depth=2
	s_delay_alu instid0(SALU_CYCLE_1)
	s_or_b32 exec_lo, exec_lo, s29
.LBB6_12037:                            ;   in Loop: Header=BB6_8449 Depth=2
	s_delay_alu instid0(SALU_CYCLE_1) | instskip(NEXT) | instid1(VALU_DEP_1)
	s_or_b32 exec_lo, exec_lo, s28
	v_add_f32_e32 v4, v5, v4
	v_dual_mov_b32 v63, v1 :: v_dual_mov_b32 v3, v1
                                        ; implicit-def: $vgpr55
	s_mov_b32 s7, exec_lo
	s_delay_alu instid0(VALU_DEP_2) | instskip(SKIP_2) | instid1(VALU_DEP_3)
	v_and_b32_e32 v62, 0x7f800000, v4
	v_and_b32_e32 v2, 0x7fffff, v4
	v_lshrrev_b32_e32 v5, 24, v4
	v_cmpx_ne_u64_e32 0x7f800000, v[62:63]
	s_xor_b32 s28, exec_lo, s7
	s_cbranch_execz .LBB6_12051
; %bb.12038:                            ;   in Loop: Header=BB6_8449 Depth=2
	v_and_b32_e32 v62, 0x7fffffff, v4
	v_mov_b32_e32 v63, v1
	v_and_b32_e32 v66, 0x80, v5
                                        ; implicit-def: $vgpr55
	s_mov_b32 s7, exec_lo
	s_delay_alu instid0(VALU_DEP_2)
	v_cmpx_gt_u64_e32 0x47600001, v[62:63]
	s_xor_b32 s29, exec_lo, s7
	s_cbranch_execz .LBB6_12048
; %bb.12039:                            ;   in Loop: Header=BB6_8449 Depth=2
	v_mov_b32_e32 v55, 0
	s_mov_b32 s40, exec_lo
	v_cmpx_ne_u32_e32 0, v4
	s_cbranch_execz .LBB6_12047
; %bb.12040:                            ;   in Loop: Header=BB6_8449 Depth=2
	v_bfe_u32 v55, v4, 23, 8
	v_or_b32_e32 v5, 0x800000, v2
	s_delay_alu instid0(VALU_DEP_2) | instskip(SKIP_2) | instid1(VALU_DEP_2)
	v_cmp_gt_u32_e64 s7, 0x72, v55
	v_sub_nc_u32_e32 v4, 0x71, v55
	v_cmp_eq_u32_e32 vcc_lo, 0, v55
	v_dual_cndmask_b32 v4, 0, v4, s7 :: v_dual_cndmask_b32 v2, v5, v2, vcc_lo
	s_delay_alu instid0(VALU_DEP_1) | instskip(NEXT) | instid1(VALU_DEP_1)
	v_cndmask_b32_e64 v69, v4, 0x70, vcc_lo
	v_dual_add_nc_u32 v4, 21, v69 :: v_dual_add_nc_u32 v71, 20, v69
	s_delay_alu instid0(VALU_DEP_1) | instskip(NEXT) | instid1(VALU_DEP_2)
	v_lshlrev_b64_e64 v[4:5], v4, -1
	v_lshlrev_b64_e64 v[62:63], v71, 1
	s_delay_alu instid0(VALU_DEP_2) | instskip(SKIP_1) | instid1(VALU_DEP_4)
	v_bfi_b32 v4, v4, 0, v2
	v_lshrrev_b64 v[2:3], v69, v[2:3]
	v_bfi_b32 v5, v5, 0, 0
	s_delay_alu instid0(VALU_DEP_1) | instskip(NEXT) | instid1(VALU_DEP_3)
	v_cmp_eq_u64_e64 s7, v[4:5], v[62:63]
	v_mov_b64_e32 v[4:5], v[2:3]
	s_and_saveexec_b32 s41, s7
; %bb.12041:                            ;   in Loop: Header=BB6_8449 Depth=2
	v_bfe_u32 v4, v2, 21, 1
	v_mov_b32_e32 v5, v1
	s_delay_alu instid0(VALU_DEP_1) | instskip(NEXT) | instid1(VALU_DEP_1)
	v_add_nc_u64_e32 v[4:5], v[2:3], v[4:5]
	v_add_nc_u64_e32 v[4:5], -1, v[4:5]
; %bb.12042:                            ;   in Loop: Header=BB6_8449 Depth=2
	s_or_b32 exec_lo, exec_lo, s41
	v_add_nc_u32_e32 v3, 0xffffff81, v55
	v_lshrrev_b32_e32 v5, 23, v2
	s_mov_b32 s7, exec_lo
	s_delay_alu instid0(VALU_DEP_2) | instskip(NEXT) | instid1(VALU_DEP_1)
	v_cndmask_b32_e64 v3, v3, 0xffffff82, vcc_lo
	v_add3_u32 v55, v69, v3, v5
	v_and_b32_e32 v3, 0x1fffff, v4
                                        ; implicit-def: $vgpr4
	s_delay_alu instid0(VALU_DEP_1) | instskip(SKIP_1) | instid1(VALU_DEP_2)
	v_dual_add_nc_u32 v5, 14, v55 :: v_dual_add_nc_u32 v2, v3, v2
	v_mov_b32_e32 v3, v1
	v_cmpx_ne_u32_e32 0, v5
	s_xor_b32 s7, exec_lo, s7
; %bb.12043:                            ;   in Loop: Header=BB6_8449 Depth=2
	s_delay_alu instid0(VALU_DEP_2) | instskip(SKIP_1) | instid1(VALU_DEP_1)
	v_cmp_lt_u64_e32 vcc_lo, 0xffffff, v[2:3]
	v_add_nc_u32_e32 v4, 15, v55
	v_cndmask_b32_e32 v4, v5, v4, vcc_lo
	v_cndmask_b32_e64 v5, 0, 1, vcc_lo
	s_delay_alu instid0(VALU_DEP_1)
	v_lshrrev_b64 v[2:3], v5, v[2:3]
; %bb.12044:                            ;   in Loop: Header=BB6_8449 Depth=2
	s_and_not1_saveexec_b32 s7, s7
; %bb.12045:                            ;   in Loop: Header=BB6_8449 Depth=2
	s_delay_alu instid0(VALU_DEP_1)
	v_bfe_u32 v4, v2, 23, 1
; %bb.12046:                            ;   in Loop: Header=BB6_8449 Depth=2
	s_or_b32 exec_lo, exec_lo, s7
	s_delay_alu instid0(VALU_DEP_2) | instskip(NEXT) | instid1(VALU_DEP_2)
	v_lshrrev_b64 v[2:3], 21, v[2:3]
	v_cmp_gt_i32_e32 vcc_lo, 32, v4
	v_min_i32_e32 v5, 31, v4
	v_cmp_eq_u32_e64 s7, 0, v4
	s_delay_alu instid0(VALU_DEP_2) | instskip(SKIP_1) | instid1(VALU_DEP_2)
	v_dual_cndmask_b32 v3, 0, v3, vcc_lo :: v_dual_lshlrev_b32 v5, 2, v5
	v_cndmask_b32_e32 v2, 3, v2, vcc_lo
	v_and_b32_e32 v5, 0xfc, v5
	s_delay_alu instid0(VALU_DEP_2) | instskip(NEXT) | instid1(VALU_DEP_2)
	v_cmp_eq_u64_e32 vcc_lo, 0, v[2:3]
	v_and_or_b32 v2, v2, 3, v5
	s_and_b32 s7, s7, vcc_lo
	s_delay_alu instid0(VALU_DEP_1) | instid1(SALU_CYCLE_1)
	v_cndmask_b32_e64 v2, v2, 0, s7
	s_delay_alu instid0(VALU_DEP_1)
	v_or_b32_e32 v55, v2, v66
.LBB6_12047:                            ;   in Loop: Header=BB6_8449 Depth=2
	s_or_b32 exec_lo, exec_lo, s40
                                        ; implicit-def: $vgpr66
.LBB6_12048:                            ;   in Loop: Header=BB6_8449 Depth=2
	s_and_not1_saveexec_b32 s7, s29
; %bb.12049:                            ;   in Loop: Header=BB6_8449 Depth=2
	v_or_b32_e32 v55, 0x7b, v66
; %bb.12050:                            ;   in Loop: Header=BB6_8449 Depth=2
	s_or_b32 exec_lo, exec_lo, s7
                                        ; implicit-def: $vgpr4
                                        ; implicit-def: $vgpr2_vgpr3
                                        ; implicit-def: $vgpr5
.LBB6_12051:                            ;   in Loop: Header=BB6_8449 Depth=2
	s_and_not1_saveexec_b32 s7, s28
	s_cbranch_execz .LBB6_12057
; %bb.12052:                            ;   in Loop: Header=BB6_8449 Depth=2
	s_mov_b32 s28, exec_lo
                                        ; implicit-def: $vgpr55
	v_cmpx_ne_u64_e32 0, v[2:3]
	s_xor_b32 s28, exec_lo, s28
; %bb.12053:                            ;   in Loop: Header=BB6_8449 Depth=2
	v_or_b32_e32 v55, 0x7f, v5
                                        ; implicit-def: $vgpr4
; %bb.12054:                            ;   in Loop: Header=BB6_8449 Depth=2
	s_and_not1_saveexec_b32 s28, s28
; %bb.12055:                            ;   in Loop: Header=BB6_8449 Depth=2
	v_cmp_lt_i32_e32 vcc_lo, -1, v4
	v_mov_b32_e32 v2, 0x7c
	s_delay_alu instid0(VALU_DEP_1)
	v_cndmask_b32_e32 v55, 0xfc, v2, vcc_lo
; %bb.12056:                            ;   in Loop: Header=BB6_8449 Depth=2
	s_or_b32 exec_lo, exec_lo, s28
.LBB6_12057:                            ;   in Loop: Header=BB6_8449 Depth=2
	s_delay_alu instid0(SALU_CYCLE_1) | instskip(SKIP_3) | instid1(VALU_DEP_2)
	s_or_b32 exec_lo, exec_lo, s7
	v_dual_mov_b32 v3, 0 :: v_dual_lshrrev_b32 v2, 16, v0
	v_mov_b32_e32 v4, 0
	s_mov_b32 s28, exec_lo
	v_and_b32_e32 v5, 0xff, v2
	s_delay_alu instid0(VALU_DEP_1)
	v_cmpx_ne_u16_e32 0, v5
	s_cbranch_execz .LBB6_12067
; %bb.12058:                            ;   in Loop: Header=BB6_8449 Depth=2
	v_bfrev_b32_e32 v4, 1
	s_mov_b32 s29, exec_lo
	v_cmpx_ne_u16_e32 0x80, v5
	s_cbranch_execz .LBB6_12066
; %bb.12059:                            ;   in Loop: Header=BB6_8449 Depth=2
	v_and_b32_e32 v4, 0x7c0000, v0
	v_bfe_u32 v5, v0, 16, 2
	s_delay_alu instid0(VALU_DEP_2) | instskip(SKIP_1) | instid1(SALU_CYCLE_1)
	v_cmp_ne_u32_e32 vcc_lo, 0x7c0000, v4
                                        ; implicit-def: $vgpr4
	s_and_saveexec_b32 s7, vcc_lo
	s_xor_b32 s7, exec_lo, s7
	s_cbranch_execz .LBB6_12063
; %bb.12060:                            ;   in Loop: Header=BB6_8449 Depth=2
	v_bfe_u32 v4, v0, 18, 5
	s_mov_b32 s40, exec_lo
	s_delay_alu instid0(VALU_DEP_1)
	v_cmpx_eq_u32_e32 0, v4
; %bb.12061:                            ;   in Loop: Header=BB6_8449 Depth=2
	v_clz_i32_u32_e32 v4, v5
	s_delay_alu instid0(VALU_DEP_1) | instskip(NEXT) | instid1(VALU_DEP_1)
	v_min_u32_e32 v4, 32, v4
	v_subrev_nc_u32_e32 v5, 29, v4
	s_delay_alu instid0(VALU_DEP_1) | instskip(NEXT) | instid1(VALU_DEP_1)
	v_lshlrev_b64_e32 v[62:63], v5, v[2:3]
	v_dual_sub_nc_u32 v4, 30, v4 :: v_dual_bitop2_b32 v5, 3, v62 bitop3:0x40
; %bb.12062:                            ;   in Loop: Header=BB6_8449 Depth=2
	s_or_b32 exec_lo, exec_lo, s40
	v_lshlrev_b32_e32 v2, 24, v2
	s_delay_alu instid0(VALU_DEP_1) | instskip(NEXT) | instid1(VALU_DEP_1)
	v_and_b32_e32 v2, 0x80000000, v2
	v_lshl_add_u32 v2, v4, 23, v2
	s_delay_alu instid0(VALU_DEP_1) | instskip(NEXT) | instid1(VALU_DEP_1)
	v_lshl_or_b32 v2, v5, 21, v2
                                        ; implicit-def: $vgpr5
	v_add_nc_u32_e32 v4, 0x38000000, v2
                                        ; implicit-def: $vgpr2
.LBB6_12063:                            ;   in Loop: Header=BB6_8449 Depth=2
	s_and_not1_saveexec_b32 s40, s7
; %bb.12064:                            ;   in Loop: Header=BB6_8449 Depth=2
	v_bfe_i32 v2, v2, 0, 8
	v_cmp_eq_u32_e32 vcc_lo, 0, v5
	s_delay_alu instid0(VALU_DEP_2) | instskip(SKIP_1) | instid1(VALU_DEP_1)
	v_cmp_lt_i16_e64 s7, -1, v2
	v_mov_b32_e32 v2, 0x7f800000
	v_cndmask_b32_e64 v2, 0xff800000, v2, s7
	s_delay_alu instid0(VALU_DEP_1)
	v_cndmask_b32_e32 v4, 0x7f800001, v2, vcc_lo
; %bb.12065:                            ;   in Loop: Header=BB6_8449 Depth=2
	s_or_b32 exec_lo, exec_lo, s40
.LBB6_12066:                            ;   in Loop: Header=BB6_8449 Depth=2
	s_delay_alu instid0(SALU_CYCLE_1)
	s_or_b32 exec_lo, exec_lo, s29
.LBB6_12067:                            ;   in Loop: Header=BB6_8449 Depth=2
	s_delay_alu instid0(SALU_CYCLE_1) | instskip(SKIP_2) | instid1(VALU_DEP_1)
	s_or_b32 exec_lo, exec_lo, s28
	v_lshrrev_b32_e32 v2, 16, v16
	s_mov_b32 s28, exec_lo
	v_and_b32_e32 v5, 0xff, v2
	s_delay_alu instid0(VALU_DEP_1)
	v_cmpx_ne_u16_e32 0, v5
	s_cbranch_execz .LBB6_12077
; %bb.12068:                            ;   in Loop: Header=BB6_8449 Depth=2
	v_bfrev_b32_e32 v3, 1
	s_mov_b32 s29, exec_lo
	v_cmpx_ne_u16_e32 0x80, v5
	s_cbranch_execz .LBB6_12076
; %bb.12069:                            ;   in Loop: Header=BB6_8449 Depth=2
	v_and_b32_e32 v3, 0x7c0000, v16
	v_bfe_u32 v5, v16, 16, 2
	s_delay_alu instid0(VALU_DEP_2) | instskip(SKIP_1) | instid1(SALU_CYCLE_1)
	v_cmp_ne_u32_e32 vcc_lo, 0x7c0000, v3
                                        ; implicit-def: $vgpr3
	s_and_saveexec_b32 s7, vcc_lo
	s_xor_b32 s7, exec_lo, s7
	s_cbranch_execz .LBB6_12073
; %bb.12070:                            ;   in Loop: Header=BB6_8449 Depth=2
	v_bfe_u32 v3, v16, 18, 5
	s_mov_b32 s40, exec_lo
	s_delay_alu instid0(VALU_DEP_1)
	v_cmpx_eq_u32_e32 0, v3
; %bb.12071:                            ;   in Loop: Header=BB6_8449 Depth=2
	v_clz_i32_u32_e32 v3, v5
	s_delay_alu instid0(VALU_DEP_1) | instskip(NEXT) | instid1(VALU_DEP_1)
	v_min_u32_e32 v3, 32, v3
	v_subrev_nc_u32_e32 v5, 29, v3
	s_delay_alu instid0(VALU_DEP_1) | instskip(NEXT) | instid1(VALU_DEP_1)
	v_lshlrev_b64_e32 v[62:63], v5, v[2:3]
	v_dual_sub_nc_u32 v3, 30, v3 :: v_dual_bitop2_b32 v5, 3, v62 bitop3:0x40
; %bb.12072:                            ;   in Loop: Header=BB6_8449 Depth=2
	s_or_b32 exec_lo, exec_lo, s40
	v_lshlrev_b32_e32 v2, 24, v2
	s_delay_alu instid0(VALU_DEP_1) | instskip(NEXT) | instid1(VALU_DEP_1)
	v_and_b32_e32 v2, 0x80000000, v2
	v_lshl_add_u32 v2, v3, 23, v2
	s_delay_alu instid0(VALU_DEP_1) | instskip(NEXT) | instid1(VALU_DEP_1)
	v_lshl_or_b32 v2, v5, 21, v2
                                        ; implicit-def: $vgpr5
	v_add_nc_u32_e32 v3, 0x38000000, v2
                                        ; implicit-def: $vgpr2
.LBB6_12073:                            ;   in Loop: Header=BB6_8449 Depth=2
	s_and_not1_saveexec_b32 s40, s7
; %bb.12074:                            ;   in Loop: Header=BB6_8449 Depth=2
	v_bfe_i32 v2, v2, 0, 8
	v_cmp_eq_u32_e32 vcc_lo, 0, v5
	s_delay_alu instid0(VALU_DEP_2) | instskip(SKIP_1) | instid1(VALU_DEP_1)
	v_cmp_lt_i16_e64 s7, -1, v2
	v_mov_b32_e32 v2, 0x7f800000
	v_cndmask_b32_e64 v2, 0xff800000, v2, s7
	s_delay_alu instid0(VALU_DEP_1)
	v_cndmask_b32_e32 v3, 0x7f800001, v2, vcc_lo
; %bb.12075:                            ;   in Loop: Header=BB6_8449 Depth=2
	s_or_b32 exec_lo, exec_lo, s40
.LBB6_12076:                            ;   in Loop: Header=BB6_8449 Depth=2
	s_delay_alu instid0(SALU_CYCLE_1)
	s_or_b32 exec_lo, exec_lo, s29
.LBB6_12077:                            ;   in Loop: Header=BB6_8449 Depth=2
	s_delay_alu instid0(SALU_CYCLE_1) | instskip(NEXT) | instid1(VALU_DEP_1)
	s_or_b32 exec_lo, exec_lo, s28
	v_dual_add_f32 v4, v4, v3 :: v_dual_mov_b32 v63, v1
	v_mov_b32_e32 v3, v1
                                        ; implicit-def: $vgpr66
	s_mov_b32 s7, exec_lo
	s_delay_alu instid0(VALU_DEP_2) | instskip(SKIP_2) | instid1(VALU_DEP_3)
	v_and_b32_e32 v62, 0x7f800000, v4
	v_and_b32_e32 v2, 0x7fffff, v4
	v_lshrrev_b32_e32 v5, 24, v4
	v_cmpx_ne_u64_e32 0x7f800000, v[62:63]
	s_xor_b32 s28, exec_lo, s7
	s_cbranch_execz .LBB6_12091
; %bb.12078:                            ;   in Loop: Header=BB6_8449 Depth=2
	v_and_b32_e32 v62, 0x7fffffff, v4
	v_mov_b32_e32 v63, v1
	v_and_b32_e32 v69, 0x80, v5
                                        ; implicit-def: $vgpr66
	s_mov_b32 s7, exec_lo
	s_delay_alu instid0(VALU_DEP_2)
	v_cmpx_gt_u64_e32 0x47600001, v[62:63]
	s_xor_b32 s29, exec_lo, s7
	s_cbranch_execz .LBB6_12088
; %bb.12079:                            ;   in Loop: Header=BB6_8449 Depth=2
	v_mov_b32_e32 v66, 0
	s_mov_b32 s40, exec_lo
	v_cmpx_ne_u32_e32 0, v4
	s_cbranch_execz .LBB6_12087
; %bb.12080:                            ;   in Loop: Header=BB6_8449 Depth=2
	v_bfe_u32 v66, v4, 23, 8
	v_or_b32_e32 v5, 0x800000, v2
	s_delay_alu instid0(VALU_DEP_2) | instskip(SKIP_2) | instid1(VALU_DEP_2)
	v_cmp_gt_u32_e64 s7, 0x72, v66
	v_sub_nc_u32_e32 v4, 0x71, v66
	v_cmp_eq_u32_e32 vcc_lo, 0, v66
	v_dual_cndmask_b32 v4, 0, v4, s7 :: v_dual_cndmask_b32 v2, v5, v2, vcc_lo
	s_delay_alu instid0(VALU_DEP_1) | instskip(NEXT) | instid1(VALU_DEP_1)
	v_cndmask_b32_e64 v71, v4, 0x70, vcc_lo
	v_dual_add_nc_u32 v4, 21, v71 :: v_dual_add_nc_u32 v84, 20, v71
	s_delay_alu instid0(VALU_DEP_1) | instskip(NEXT) | instid1(VALU_DEP_2)
	v_lshlrev_b64_e64 v[4:5], v4, -1
	v_lshlrev_b64_e64 v[62:63], v84, 1
	s_delay_alu instid0(VALU_DEP_2) | instskip(SKIP_1) | instid1(VALU_DEP_4)
	v_bfi_b32 v4, v4, 0, v2
	v_lshrrev_b64 v[2:3], v71, v[2:3]
	v_bfi_b32 v5, v5, 0, 0
	s_delay_alu instid0(VALU_DEP_1) | instskip(NEXT) | instid1(VALU_DEP_3)
	v_cmp_eq_u64_e64 s7, v[4:5], v[62:63]
	v_mov_b64_e32 v[4:5], v[2:3]
	s_and_saveexec_b32 s41, s7
; %bb.12081:                            ;   in Loop: Header=BB6_8449 Depth=2
	v_bfe_u32 v4, v2, 21, 1
	v_mov_b32_e32 v5, v1
	s_delay_alu instid0(VALU_DEP_1) | instskip(NEXT) | instid1(VALU_DEP_1)
	v_add_nc_u64_e32 v[4:5], v[2:3], v[4:5]
	v_add_nc_u64_e32 v[4:5], -1, v[4:5]
; %bb.12082:                            ;   in Loop: Header=BB6_8449 Depth=2
	s_or_b32 exec_lo, exec_lo, s41
	v_add_nc_u32_e32 v3, 0xffffff81, v66
	v_lshrrev_b32_e32 v5, 23, v2
	s_mov_b32 s7, exec_lo
	s_delay_alu instid0(VALU_DEP_2) | instskip(NEXT) | instid1(VALU_DEP_1)
	v_cndmask_b32_e64 v3, v3, 0xffffff82, vcc_lo
	v_add3_u32 v66, v71, v3, v5
	v_and_b32_e32 v3, 0x1fffff, v4
                                        ; implicit-def: $vgpr4
	s_delay_alu instid0(VALU_DEP_2) | instskip(NEXT) | instid1(VALU_DEP_2)
	v_add_nc_u32_e32 v5, 14, v66
	v_dual_mov_b32 v3, v1 :: v_dual_add_nc_u32 v2, v3, v2
	s_delay_alu instid0(VALU_DEP_2)
	v_cmpx_ne_u32_e32 0, v5
	s_xor_b32 s7, exec_lo, s7
; %bb.12083:                            ;   in Loop: Header=BB6_8449 Depth=2
	s_delay_alu instid0(VALU_DEP_2) | instskip(SKIP_1) | instid1(VALU_DEP_1)
	v_cmp_lt_u64_e32 vcc_lo, 0xffffff, v[2:3]
	v_add_nc_u32_e32 v4, 15, v66
	v_cndmask_b32_e32 v4, v5, v4, vcc_lo
	v_cndmask_b32_e64 v5, 0, 1, vcc_lo
	s_delay_alu instid0(VALU_DEP_1)
	v_lshrrev_b64 v[2:3], v5, v[2:3]
; %bb.12084:                            ;   in Loop: Header=BB6_8449 Depth=2
	s_and_not1_saveexec_b32 s7, s7
; %bb.12085:                            ;   in Loop: Header=BB6_8449 Depth=2
	s_delay_alu instid0(VALU_DEP_1)
	v_bfe_u32 v4, v2, 23, 1
; %bb.12086:                            ;   in Loop: Header=BB6_8449 Depth=2
	s_or_b32 exec_lo, exec_lo, s7
	s_delay_alu instid0(VALU_DEP_2) | instskip(NEXT) | instid1(VALU_DEP_2)
	v_lshrrev_b64 v[2:3], 21, v[2:3]
	v_cmp_gt_i32_e32 vcc_lo, 32, v4
	v_min_i32_e32 v5, 31, v4
	v_cmp_eq_u32_e64 s7, 0, v4
	s_delay_alu instid0(VALU_DEP_2) | instskip(SKIP_1) | instid1(VALU_DEP_2)
	v_dual_cndmask_b32 v3, 0, v3, vcc_lo :: v_dual_lshlrev_b32 v5, 2, v5
	v_cndmask_b32_e32 v2, 3, v2, vcc_lo
	v_and_b32_e32 v5, 0xfc, v5
	s_delay_alu instid0(VALU_DEP_2) | instskip(NEXT) | instid1(VALU_DEP_2)
	v_cmp_eq_u64_e32 vcc_lo, 0, v[2:3]
	v_and_or_b32 v2, v2, 3, v5
	s_and_b32 s7, s7, vcc_lo
	s_delay_alu instid0(VALU_DEP_1) | instid1(SALU_CYCLE_1)
	v_cndmask_b32_e64 v2, v2, 0, s7
	s_delay_alu instid0(VALU_DEP_1)
	v_or_b32_e32 v66, v2, v69
.LBB6_12087:                            ;   in Loop: Header=BB6_8449 Depth=2
	s_or_b32 exec_lo, exec_lo, s40
                                        ; implicit-def: $vgpr69
.LBB6_12088:                            ;   in Loop: Header=BB6_8449 Depth=2
	s_and_not1_saveexec_b32 s7, s29
; %bb.12089:                            ;   in Loop: Header=BB6_8449 Depth=2
	v_or_b32_e32 v66, 0x7b, v69
; %bb.12090:                            ;   in Loop: Header=BB6_8449 Depth=2
	s_or_b32 exec_lo, exec_lo, s7
                                        ; implicit-def: $vgpr4
                                        ; implicit-def: $vgpr2_vgpr3
                                        ; implicit-def: $vgpr5
.LBB6_12091:                            ;   in Loop: Header=BB6_8449 Depth=2
	s_and_not1_saveexec_b32 s7, s28
	s_cbranch_execz .LBB6_12097
; %bb.12092:                            ;   in Loop: Header=BB6_8449 Depth=2
	s_mov_b32 s28, exec_lo
                                        ; implicit-def: $vgpr66
	v_cmpx_ne_u64_e32 0, v[2:3]
	s_xor_b32 s28, exec_lo, s28
; %bb.12093:                            ;   in Loop: Header=BB6_8449 Depth=2
	v_or_b32_e32 v66, 0x7f, v5
                                        ; implicit-def: $vgpr4
; %bb.12094:                            ;   in Loop: Header=BB6_8449 Depth=2
	s_and_not1_saveexec_b32 s28, s28
; %bb.12095:                            ;   in Loop: Header=BB6_8449 Depth=2
	v_cmp_lt_i32_e32 vcc_lo, -1, v4
	v_mov_b32_e32 v2, 0x7c
	s_delay_alu instid0(VALU_DEP_1)
	v_cndmask_b32_e32 v66, 0xfc, v2, vcc_lo
; %bb.12096:                            ;   in Loop: Header=BB6_8449 Depth=2
	s_or_b32 exec_lo, exec_lo, s28
.LBB6_12097:                            ;   in Loop: Header=BB6_8449 Depth=2
	s_delay_alu instid0(SALU_CYCLE_1)
	s_or_b32 exec_lo, exec_lo, s7
	v_dual_mov_b32 v3, 0 :: v_dual_mov_b32 v4, 0
	s_mov_b32 s28, exec_lo
	v_cmpx_lt_u32_e32 0xffffff, v0
	s_cbranch_execz .LBB6_12107
; %bb.12098:                            ;   in Loop: Header=BB6_8449 Depth=2
	v_lshrrev_b32_e32 v2, 24, v0
	v_bfrev_b32_e32 v4, 1
	s_mov_b32 s29, exec_lo
	s_delay_alu instid0(VALU_DEP_2)
	v_cmpx_ne_u32_e32 0x80, v2
	s_cbranch_execz .LBB6_12106
; %bb.12099:                            ;   in Loop: Header=BB6_8449 Depth=2
	v_and_b32_e32 v4, 0x7c000000, v0
	v_bfe_u32 v5, v0, 24, 2
	s_delay_alu instid0(VALU_DEP_2) | instskip(SKIP_1) | instid1(SALU_CYCLE_1)
	v_cmp_ne_u32_e32 vcc_lo, 0x7c000000, v4
                                        ; implicit-def: $vgpr4
	s_and_saveexec_b32 s7, vcc_lo
	s_xor_b32 s7, exec_lo, s7
	s_cbranch_execz .LBB6_12103
; %bb.12100:                            ;   in Loop: Header=BB6_8449 Depth=2
	v_bfe_u32 v4, v0, 26, 5
	s_mov_b32 s40, exec_lo
	s_delay_alu instid0(VALU_DEP_1)
	v_cmpx_eq_u32_e32 0, v4
; %bb.12101:                            ;   in Loop: Header=BB6_8449 Depth=2
	v_clz_i32_u32_e32 v4, v5
	s_delay_alu instid0(VALU_DEP_1) | instskip(NEXT) | instid1(VALU_DEP_1)
	v_min_u32_e32 v4, 32, v4
	v_subrev_nc_u32_e32 v5, 29, v4
	s_delay_alu instid0(VALU_DEP_1) | instskip(NEXT) | instid1(VALU_DEP_1)
	v_lshlrev_b64_e32 v[62:63], v5, v[2:3]
	v_dual_sub_nc_u32 v4, 30, v4 :: v_dual_bitop2_b32 v5, 3, v62 bitop3:0x40
; %bb.12102:                            ;   in Loop: Header=BB6_8449 Depth=2
	s_or_b32 exec_lo, exec_lo, s40
	v_and_b32_e32 v0, 0x80000000, v0
	s_delay_alu instid0(VALU_DEP_1) | instskip(NEXT) | instid1(VALU_DEP_1)
	v_lshl_add_u32 v0, v4, 23, v0
	v_lshl_or_b32 v0, v5, 21, v0
                                        ; implicit-def: $vgpr5
	s_delay_alu instid0(VALU_DEP_1)
	v_add_nc_u32_e32 v4, 0x38000000, v0
.LBB6_12103:                            ;   in Loop: Header=BB6_8449 Depth=2
	s_and_not1_saveexec_b32 s40, s7
; %bb.12104:                            ;   in Loop: Header=BB6_8449 Depth=2
	v_cmp_lt_i32_e64 s7, -1, v0
	v_mov_b32_e32 v0, 0x7f800000
	v_cmp_eq_u32_e32 vcc_lo, 0, v5
	s_delay_alu instid0(VALU_DEP_2) | instskip(NEXT) | instid1(VALU_DEP_1)
	v_cndmask_b32_e64 v0, 0xff800000, v0, s7
	v_cndmask_b32_e32 v4, 0x7f800001, v0, vcc_lo
; %bb.12105:                            ;   in Loop: Header=BB6_8449 Depth=2
	s_or_b32 exec_lo, exec_lo, s40
.LBB6_12106:                            ;   in Loop: Header=BB6_8449 Depth=2
	s_delay_alu instid0(SALU_CYCLE_1)
	s_or_b32 exec_lo, exec_lo, s29
.LBB6_12107:                            ;   in Loop: Header=BB6_8449 Depth=2
	s_delay_alu instid0(SALU_CYCLE_1) | instskip(NEXT) | instid1(SALU_CYCLE_1)
	s_or_b32 exec_lo, exec_lo, s28
	s_mov_b32 s28, exec_lo
	v_cmpx_lt_u32_e32 0xffffff, v16
	s_cbranch_execz .LBB6_12117
; %bb.12108:                            ;   in Loop: Header=BB6_8449 Depth=2
	v_lshrrev_b32_e32 v0, 24, v16
	v_bfrev_b32_e32 v3, 1
	s_mov_b32 s29, exec_lo
	s_delay_alu instid0(VALU_DEP_2)
	v_cmpx_ne_u32_e32 0x80, v0
	s_cbranch_execz .LBB6_12116
; %bb.12109:                            ;   in Loop: Header=BB6_8449 Depth=2
	v_and_b32_e32 v3, 0x7c000000, v16
	v_bfe_u32 v2, v16, 24, 2
	s_delay_alu instid0(VALU_DEP_2) | instskip(SKIP_1) | instid1(SALU_CYCLE_1)
	v_cmp_ne_u32_e32 vcc_lo, 0x7c000000, v3
                                        ; implicit-def: $vgpr3
	s_and_saveexec_b32 s7, vcc_lo
	s_xor_b32 s7, exec_lo, s7
	s_cbranch_execz .LBB6_12113
; %bb.12110:                            ;   in Loop: Header=BB6_8449 Depth=2
	v_bfe_u32 v3, v16, 26, 5
	s_mov_b32 s40, exec_lo
	s_delay_alu instid0(VALU_DEP_1)
	v_cmpx_eq_u32_e32 0, v3
; %bb.12111:                            ;   in Loop: Header=BB6_8449 Depth=2
	v_clz_i32_u32_e32 v2, v2
	s_delay_alu instid0(VALU_DEP_1) | instskip(NEXT) | instid1(VALU_DEP_1)
	v_min_u32_e32 v5, 32, v2
	v_subrev_nc_u32_e32 v2, 29, v5
	s_delay_alu instid0(VALU_DEP_1) | instskip(NEXT) | instid1(VALU_DEP_1)
	v_lshlrev_b64_e32 v[2:3], v2, v[0:1]
	v_dual_sub_nc_u32 v3, 30, v5 :: v_dual_bitop2_b32 v2, 3, v2 bitop3:0x40
; %bb.12112:                            ;   in Loop: Header=BB6_8449 Depth=2
	s_or_b32 exec_lo, exec_lo, s40
	v_and_b32_e32 v0, 0x80000000, v16
	s_delay_alu instid0(VALU_DEP_1) | instskip(NEXT) | instid1(VALU_DEP_1)
	v_lshl_add_u32 v0, v3, 23, v0
	v_lshl_or_b32 v0, v2, 21, v0
                                        ; implicit-def: $vgpr2
	s_delay_alu instid0(VALU_DEP_1)
	v_add_nc_u32_e32 v3, 0x38000000, v0
.LBB6_12113:                            ;   in Loop: Header=BB6_8449 Depth=2
	s_and_not1_saveexec_b32 s40, s7
; %bb.12114:                            ;   in Loop: Header=BB6_8449 Depth=2
	v_cmp_lt_i32_e64 s7, -1, v16
	v_mov_b32_e32 v0, 0x7f800000
	v_cmp_eq_u32_e32 vcc_lo, 0, v2
	s_delay_alu instid0(VALU_DEP_2) | instskip(NEXT) | instid1(VALU_DEP_1)
	v_cndmask_b32_e64 v0, 0xff800000, v0, s7
	v_cndmask_b32_e32 v3, 0x7f800001, v0, vcc_lo
; %bb.12115:                            ;   in Loop: Header=BB6_8449 Depth=2
	s_or_b32 exec_lo, exec_lo, s40
.LBB6_12116:                            ;   in Loop: Header=BB6_8449 Depth=2
	s_delay_alu instid0(SALU_CYCLE_1)
	s_or_b32 exec_lo, exec_lo, s29
.LBB6_12117:                            ;   in Loop: Header=BB6_8449 Depth=2
	s_delay_alu instid0(SALU_CYCLE_1) | instskip(NEXT) | instid1(VALU_DEP_1)
	s_or_b32 exec_lo, exec_lo, s28
	v_dual_add_f32 v2, v4, v3 :: v_dual_mov_b32 v5, v1
                                        ; implicit-def: $vgpr69
	s_mov_b32 s7, exec_lo
	s_delay_alu instid0(VALU_DEP_1) | instskip(SKIP_2) | instid1(VALU_DEP_3)
	v_and_b32_e32 v4, 0x7f800000, v2
	v_and_b32_e32 v0, 0x7fffff, v2
	v_lshrrev_b32_e32 v3, 24, v2
	v_cmpx_ne_u64_e32 0x7f800000, v[4:5]
	s_xor_b32 s28, exec_lo, s7
	s_cbranch_execz .LBB6_12131
; %bb.12118:                            ;   in Loop: Header=BB6_8449 Depth=2
	v_and_b32_e32 v4, 0x7fffffff, v2
	v_mov_b32_e32 v5, v1
	v_and_b32_e32 v71, 0x80, v3
                                        ; implicit-def: $vgpr69
	s_mov_b32 s7, exec_lo
	s_delay_alu instid0(VALU_DEP_2)
	v_cmpx_gt_u64_e32 0x47600001, v[4:5]
	s_xor_b32 s29, exec_lo, s7
	s_cbranch_execz .LBB6_12128
; %bb.12119:                            ;   in Loop: Header=BB6_8449 Depth=2
	v_mov_b32_e32 v69, 0
	s_mov_b32 s40, exec_lo
	v_cmpx_ne_u32_e32 0, v2
	s_cbranch_execz .LBB6_12127
; %bb.12120:                            ;   in Loop: Header=BB6_8449 Depth=2
	v_bfe_u32 v69, v2, 23, 8
	v_or_b32_e32 v3, 0x800000, v0
	s_delay_alu instid0(VALU_DEP_2) | instskip(SKIP_2) | instid1(VALU_DEP_2)
	v_cmp_gt_u32_e64 s7, 0x72, v69
	v_sub_nc_u32_e32 v2, 0x71, v69
	v_cmp_eq_u32_e32 vcc_lo, 0, v69
	v_cndmask_b32_e64 v2, 0, v2, s7
	s_delay_alu instid0(VALU_DEP_1) | instskip(SKIP_1) | instid1(VALU_DEP_2)
	v_cndmask_b32_e64 v84, v2, 0x70, vcc_lo
	v_dual_cndmask_b32 v2, v3, v0 :: v_dual_mov_b32 v3, v1
	v_add_nc_u32_e32 v0, 21, v84
	s_delay_alu instid0(VALU_DEP_1) | instskip(SKIP_1) | instid1(VALU_DEP_1)
	v_lshlrev_b64_e64 v[4:5], v0, -1
	v_add_nc_u32_e32 v0, 20, v84
	v_lshlrev_b64_e64 v[62:63], v0, 1
	s_delay_alu instid0(VALU_DEP_3) | instskip(SKIP_2) | instid1(VALU_DEP_1)
	v_bfi_b32 v4, v4, 0, v2
	v_lshrrev_b64 v[2:3], v84, v[2:3]
	v_bfi_b32 v5, v5, 0, 0
	v_cmp_eq_u64_e64 s7, v[4:5], v[62:63]
	s_delay_alu instid0(VALU_DEP_3)
	v_mov_b64_e32 v[4:5], v[2:3]
	s_and_saveexec_b32 s41, s7
; %bb.12121:                            ;   in Loop: Header=BB6_8449 Depth=2
	v_bfe_u32 v4, v2, 21, 1
	v_mov_b32_e32 v5, v1
	s_delay_alu instid0(VALU_DEP_1) | instskip(NEXT) | instid1(VALU_DEP_1)
	v_add_nc_u64_e32 v[4:5], v[2:3], v[4:5]
	v_add_nc_u64_e32 v[4:5], -1, v[4:5]
; %bb.12122:                            ;   in Loop: Header=BB6_8449 Depth=2
	s_or_b32 exec_lo, exec_lo, s41
	v_add_nc_u32_e32 v0, 0xffffff81, v69
	s_delay_alu instid0(VALU_DEP_2) | instskip(SKIP_2) | instid1(VALU_DEP_3)
	v_and_b32_e32 v4, 0x1fffff, v4
	v_lshrrev_b32_e32 v3, 23, v2
	s_mov_b32 s7, exec_lo
	v_cndmask_b32_e64 v0, v0, 0xffffff82, vcc_lo
	s_delay_alu instid0(VALU_DEP_1) | instskip(SKIP_1) | instid1(VALU_DEP_2)
	v_add3_u32 v69, v84, v0, v3
	v_add_nc_u32_e32 v0, v4, v2
                                        ; implicit-def: $vgpr2_vgpr3
                                        ; implicit-def: $vgpr4
	v_add_nc_u32_e32 v5, 14, v69
	s_delay_alu instid0(VALU_DEP_1)
	v_cmpx_ne_u32_e32 0, v5
	s_xor_b32 s7, exec_lo, s7
; %bb.12123:                            ;   in Loop: Header=BB6_8449 Depth=2
	s_delay_alu instid0(VALU_DEP_3) | instskip(SKIP_1) | instid1(VALU_DEP_1)
	v_cmp_lt_u64_e32 vcc_lo, 0xffffff, v[0:1]
	v_add_nc_u32_e32 v2, 15, v69
	v_cndmask_b32_e32 v4, v5, v2, vcc_lo
	v_cndmask_b32_e64 v2, 0, 1, vcc_lo
	s_delay_alu instid0(VALU_DEP_1)
	v_lshrrev_b64 v[2:3], v2, v[0:1]
; %bb.12124:                            ;   in Loop: Header=BB6_8449 Depth=2
	s_and_not1_saveexec_b32 s7, s7
; %bb.12125:                            ;   in Loop: Header=BB6_8449 Depth=2
	v_mov_b64_e32 v[2:3], v[0:1]
	v_bfe_u32 v4, v0, 23, 1
; %bb.12126:                            ;   in Loop: Header=BB6_8449 Depth=2
	s_or_b32 exec_lo, exec_lo, s7
	s_delay_alu instid0(VALU_DEP_2) | instskip(NEXT) | instid1(VALU_DEP_2)
	v_lshrrev_b64 v[2:3], 21, v[2:3]
	v_cmp_gt_i32_e32 vcc_lo, 32, v4
	v_min_i32_e32 v0, 31, v4
	v_cmp_eq_u32_e64 s7, 0, v4
	s_delay_alu instid0(VALU_DEP_2) | instskip(SKIP_1) | instid1(VALU_DEP_2)
	v_dual_cndmask_b32 v3, 0, v3 :: v_dual_lshlrev_b32 v0, 2, v0
	v_cndmask_b32_e32 v2, 3, v2, vcc_lo
	v_and_b32_e32 v0, 0xfc, v0
	s_delay_alu instid0(VALU_DEP_2) | instskip(NEXT) | instid1(VALU_DEP_2)
	v_cmp_eq_u64_e32 vcc_lo, 0, v[2:3]
	v_and_or_b32 v0, v2, 3, v0
	s_and_b32 s7, s7, vcc_lo
	s_delay_alu instid0(VALU_DEP_1) | instid1(SALU_CYCLE_1)
	v_cndmask_b32_e64 v0, v0, 0, s7
	s_delay_alu instid0(VALU_DEP_1)
	v_or_b32_e32 v69, v0, v71
.LBB6_12127:                            ;   in Loop: Header=BB6_8449 Depth=2
	s_or_b32 exec_lo, exec_lo, s40
                                        ; implicit-def: $vgpr71
.LBB6_12128:                            ;   in Loop: Header=BB6_8449 Depth=2
	s_and_not1_saveexec_b32 s7, s29
; %bb.12129:                            ;   in Loop: Header=BB6_8449 Depth=2
	v_or_b32_e32 v69, 0x7b, v71
; %bb.12130:                            ;   in Loop: Header=BB6_8449 Depth=2
	s_or_b32 exec_lo, exec_lo, s7
                                        ; implicit-def: $vgpr2
                                        ; implicit-def: $vgpr3
.LBB6_12131:                            ;   in Loop: Header=BB6_8449 Depth=2
	s_and_not1_saveexec_b32 s7, s28
	s_cbranch_execz .LBB6_12137
; %bb.12132:                            ;   in Loop: Header=BB6_8449 Depth=2
	s_mov_b32 s28, exec_lo
                                        ; implicit-def: $vgpr69
	v_cmpx_ne_u64_e32 0, v[0:1]
	s_xor_b32 s28, exec_lo, s28
; %bb.12133:                            ;   in Loop: Header=BB6_8449 Depth=2
	v_or_b32_e32 v69, 0x7f, v3
                                        ; implicit-def: $vgpr2
; %bb.12134:                            ;   in Loop: Header=BB6_8449 Depth=2
	s_and_not1_saveexec_b32 s28, s28
; %bb.12135:                            ;   in Loop: Header=BB6_8449 Depth=2
	v_cmp_lt_i32_e32 vcc_lo, -1, v2
	v_mov_b32_e32 v0, 0x7c
	s_delay_alu instid0(VALU_DEP_1)
	v_cndmask_b32_e32 v69, 0xfc, v0, vcc_lo
; %bb.12136:                            ;   in Loop: Header=BB6_8449 Depth=2
	s_or_b32 exec_lo, exec_lo, s28
.LBB6_12137:                            ;   in Loop: Header=BB6_8449 Depth=2
	s_delay_alu instid0(SALU_CYCLE_1) | instskip(SKIP_4) | instid1(VALU_DEP_2)
	s_or_b32 exec_lo, exec_lo, s7
	v_dual_lshlrev_b32 v0, 24, v67 :: v_dual_lshlrev_b32 v2, 16, v65
	v_lshl_or_b32 v53, v53, 8, v49
	v_mov_b32_e32 v3, 0
	s_mov_b32 s28, exec_lo
	v_or3_b32 v0, v2, v0, v53
	v_mov_b32_e32 v2, 0
	v_cmpx_ne_u32_e32 0, v49
	s_cbranch_execz .LBB6_12147
; %bb.12138:                            ;   in Loop: Header=BB6_8449 Depth=2
	v_bfrev_b32_e32 v2, 1
	s_mov_b32 s29, exec_lo
	v_cmpx_ne_u32_e32 0x80, v49
	s_cbranch_execz .LBB6_12146
; %bb.12139:                            ;   in Loop: Header=BB6_8449 Depth=2
	v_and_b32_e32 v2, 0x7c, v49
	v_and_b32_e32 v4, 3, v49
	s_delay_alu instid0(VALU_DEP_2) | instskip(SKIP_1) | instid1(SALU_CYCLE_1)
	v_cmp_ne_u32_e32 vcc_lo, 0x7c, v2
                                        ; implicit-def: $vgpr2
	s_and_saveexec_b32 s7, vcc_lo
	s_xor_b32 s7, exec_lo, s7
	s_cbranch_execz .LBB6_12143
; %bb.12140:                            ;   in Loop: Header=BB6_8449 Depth=2
	v_bfe_u32 v2, v49, 2, 5
	s_mov_b32 s40, exec_lo
	s_delay_alu instid0(VALU_DEP_1)
	v_cmpx_eq_u32_e32 0, v2
; %bb.12141:                            ;   in Loop: Header=BB6_8449 Depth=2
	v_clz_i32_u32_e32 v2, v4
	s_delay_alu instid0(VALU_DEP_1) | instskip(NEXT) | instid1(VALU_DEP_1)
	v_min_u32_e32 v2, 32, v2
	v_subrev_nc_u32_e32 v4, 29, v2
	s_delay_alu instid0(VALU_DEP_1) | instskip(NEXT) | instid1(VALU_DEP_1)
	v_lshlrev_b64_e32 v[4:5], v4, v[0:1]
	v_dual_sub_nc_u32 v2, 30, v2 :: v_dual_bitop2_b32 v4, 3, v4 bitop3:0x40
; %bb.12142:                            ;   in Loop: Header=BB6_8449 Depth=2
	s_or_b32 exec_lo, exec_lo, s40
	v_lshlrev_b32_e32 v5, 24, v49
                                        ; implicit-def: $vgpr49
	s_delay_alu instid0(VALU_DEP_1) | instskip(NEXT) | instid1(VALU_DEP_1)
	v_and_b32_e32 v5, 0x80000000, v5
	v_lshl_add_u32 v2, v2, 23, v5
	s_delay_alu instid0(VALU_DEP_1) | instskip(NEXT) | instid1(VALU_DEP_1)
	v_lshl_or_b32 v2, v4, 21, v2
                                        ; implicit-def: $vgpr4
	v_add_nc_u32_e32 v2, 0x38000000, v2
.LBB6_12143:                            ;   in Loop: Header=BB6_8449 Depth=2
	s_and_not1_saveexec_b32 s40, s7
; %bb.12144:                            ;   in Loop: Header=BB6_8449 Depth=2
	v_and_b32_e32 v2, 0x80, v49
	v_cmp_eq_u32_e32 vcc_lo, 0, v4
	s_delay_alu instid0(VALU_DEP_2) | instskip(SKIP_1) | instid1(VALU_DEP_1)
	v_cmp_eq_u32_e64 s7, 0, v2
	v_mov_b32_e32 v2, 0x7f800000
	v_cndmask_b32_e64 v2, 0xff800000, v2, s7
	s_delay_alu instid0(VALU_DEP_1)
	v_cndmask_b32_e32 v2, 0x7f800001, v2, vcc_lo
; %bb.12145:                            ;   in Loop: Header=BB6_8449 Depth=2
	s_or_b32 exec_lo, exec_lo, s40
.LBB6_12146:                            ;   in Loop: Header=BB6_8449 Depth=2
	s_delay_alu instid0(SALU_CYCLE_1)
	s_or_b32 exec_lo, exec_lo, s29
.LBB6_12147:                            ;   in Loop: Header=BB6_8449 Depth=2
	s_delay_alu instid0(SALU_CYCLE_1) | instskip(SKIP_2) | instid1(VALU_DEP_1)
	s_or_b32 exec_lo, exec_lo, s28
	v_and_b32_e32 v4, 0xff, v17
	s_mov_b32 s28, exec_lo
	v_cmpx_ne_u16_e32 0, v4
	s_cbranch_execz .LBB6_12157
; %bb.12148:                            ;   in Loop: Header=BB6_8449 Depth=2
	v_bfrev_b32_e32 v3, 1
	s_mov_b32 s29, exec_lo
	v_cmpx_ne_u16_e32 0x80, v4
	s_cbranch_execz .LBB6_12156
; %bb.12149:                            ;   in Loop: Header=BB6_8449 Depth=2
	v_and_b32_e32 v3, 0x7c, v17
	v_and_b32_e32 v4, 3, v17
	s_delay_alu instid0(VALU_DEP_2) | instskip(SKIP_1) | instid1(SALU_CYCLE_1)
	v_cmp_ne_u32_e32 vcc_lo, 0x7c, v3
                                        ; implicit-def: $vgpr3
	s_and_saveexec_b32 s7, vcc_lo
	s_xor_b32 s7, exec_lo, s7
	s_cbranch_execz .LBB6_12153
; %bb.12150:                            ;   in Loop: Header=BB6_8449 Depth=2
	v_bfe_u32 v3, v17, 2, 5
	s_mov_b32 s40, exec_lo
	s_delay_alu instid0(VALU_DEP_1)
	v_cmpx_eq_u32_e32 0, v3
; %bb.12151:                            ;   in Loop: Header=BB6_8449 Depth=2
	v_clz_i32_u32_e32 v3, v4
	v_dual_mov_b32 v4, v17 :: v_dual_mov_b32 v5, v1
	s_delay_alu instid0(VALU_DEP_2) | instskip(NEXT) | instid1(VALU_DEP_1)
	v_min_u32_e32 v3, 32, v3
	v_subrev_nc_u32_e32 v49, 29, v3
	s_delay_alu instid0(VALU_DEP_1) | instskip(NEXT) | instid1(VALU_DEP_1)
	v_lshlrev_b64_e32 v[4:5], v49, v[4:5]
	v_dual_sub_nc_u32 v3, 30, v3 :: v_dual_bitop2_b32 v4, 3, v4 bitop3:0x40
; %bb.12152:                            ;   in Loop: Header=BB6_8449 Depth=2
	s_or_b32 exec_lo, exec_lo, s40
	v_lshlrev_b32_e32 v5, 24, v17
	s_delay_alu instid0(VALU_DEP_1) | instskip(NEXT) | instid1(VALU_DEP_1)
	v_and_b32_e32 v5, 0x80000000, v5
	v_lshl_add_u32 v3, v3, 23, v5
	s_delay_alu instid0(VALU_DEP_1) | instskip(NEXT) | instid1(VALU_DEP_1)
	v_lshl_or_b32 v3, v4, 21, v3
                                        ; implicit-def: $vgpr4
	v_add_nc_u32_e32 v3, 0x38000000, v3
.LBB6_12153:                            ;   in Loop: Header=BB6_8449 Depth=2
	s_and_not1_saveexec_b32 s40, s7
; %bb.12154:                            ;   in Loop: Header=BB6_8449 Depth=2
	v_bfe_i32 v3, v17, 0, 8
	v_cmp_eq_u32_e32 vcc_lo, 0, v4
	s_delay_alu instid0(VALU_DEP_2) | instskip(SKIP_1) | instid1(VALU_DEP_1)
	v_cmp_lt_i16_e64 s7, -1, v3
	v_mov_b32_e32 v3, 0x7f800000
	v_cndmask_b32_e64 v3, 0xff800000, v3, s7
	s_delay_alu instid0(VALU_DEP_1)
	v_cndmask_b32_e32 v3, 0x7f800001, v3, vcc_lo
; %bb.12155:                            ;   in Loop: Header=BB6_8449 Depth=2
	s_or_b32 exec_lo, exec_lo, s40
.LBB6_12156:                            ;   in Loop: Header=BB6_8449 Depth=2
	s_delay_alu instid0(SALU_CYCLE_1)
	s_or_b32 exec_lo, exec_lo, s29
.LBB6_12157:                            ;   in Loop: Header=BB6_8449 Depth=2
	s_delay_alu instid0(SALU_CYCLE_1) | instskip(NEXT) | instid1(VALU_DEP_1)
	s_or_b32 exec_lo, exec_lo, s28
	v_dual_add_f32 v4, v2, v3 :: v_dual_mov_b32 v63, v1
	v_mov_b32_e32 v3, v1
                                        ; implicit-def: $vgpr49
	s_mov_b32 s7, exec_lo
	s_delay_alu instid0(VALU_DEP_2) | instskip(SKIP_2) | instid1(VALU_DEP_3)
	v_and_b32_e32 v62, 0x7f800000, v4
	v_and_b32_e32 v2, 0x7fffff, v4
	v_lshrrev_b32_e32 v5, 24, v4
	v_cmpx_ne_u64_e32 0x7f800000, v[62:63]
	s_xor_b32 s28, exec_lo, s7
	s_cbranch_execz .LBB6_12171
; %bb.12158:                            ;   in Loop: Header=BB6_8449 Depth=2
	v_and_b32_e32 v62, 0x7fffffff, v4
	v_mov_b32_e32 v63, v1
	v_and_b32_e32 v65, 0x80, v5
                                        ; implicit-def: $vgpr49
	s_mov_b32 s7, exec_lo
	s_delay_alu instid0(VALU_DEP_2)
	v_cmpx_gt_u64_e32 0x47600001, v[62:63]
	s_xor_b32 s29, exec_lo, s7
	s_cbranch_execz .LBB6_12168
; %bb.12159:                            ;   in Loop: Header=BB6_8449 Depth=2
	v_mov_b32_e32 v49, 0
	s_mov_b32 s40, exec_lo
	v_cmpx_ne_u32_e32 0, v4
	s_cbranch_execz .LBB6_12167
; %bb.12160:                            ;   in Loop: Header=BB6_8449 Depth=2
	v_bfe_u32 v49, v4, 23, 8
	v_or_b32_e32 v5, 0x800000, v2
	s_delay_alu instid0(VALU_DEP_2) | instskip(SKIP_2) | instid1(VALU_DEP_2)
	v_cmp_gt_u32_e64 s7, 0x72, v49
	v_sub_nc_u32_e32 v4, 0x71, v49
	v_cmp_eq_u32_e32 vcc_lo, 0, v49
	v_dual_cndmask_b32 v4, 0, v4, s7 :: v_dual_cndmask_b32 v2, v5, v2, vcc_lo
	s_delay_alu instid0(VALU_DEP_1) | instskip(NEXT) | instid1(VALU_DEP_1)
	v_cndmask_b32_e64 v67, v4, 0x70, vcc_lo
	v_dual_add_nc_u32 v4, 21, v67 :: v_dual_add_nc_u32 v71, 20, v67
	s_delay_alu instid0(VALU_DEP_1) | instskip(NEXT) | instid1(VALU_DEP_2)
	v_lshlrev_b64_e64 v[4:5], v4, -1
	v_lshlrev_b64_e64 v[62:63], v71, 1
	s_delay_alu instid0(VALU_DEP_2) | instskip(SKIP_1) | instid1(VALU_DEP_4)
	v_bfi_b32 v4, v4, 0, v2
	v_lshrrev_b64 v[2:3], v67, v[2:3]
	v_bfi_b32 v5, v5, 0, 0
	s_delay_alu instid0(VALU_DEP_1) | instskip(NEXT) | instid1(VALU_DEP_3)
	v_cmp_eq_u64_e64 s7, v[4:5], v[62:63]
	v_mov_b64_e32 v[4:5], v[2:3]
	s_and_saveexec_b32 s41, s7
; %bb.12161:                            ;   in Loop: Header=BB6_8449 Depth=2
	v_bfe_u32 v4, v2, 21, 1
	v_mov_b32_e32 v5, v1
	s_delay_alu instid0(VALU_DEP_1) | instskip(NEXT) | instid1(VALU_DEP_1)
	v_add_nc_u64_e32 v[4:5], v[2:3], v[4:5]
	v_add_nc_u64_e32 v[4:5], -1, v[4:5]
; %bb.12162:                            ;   in Loop: Header=BB6_8449 Depth=2
	s_or_b32 exec_lo, exec_lo, s41
	v_add_nc_u32_e32 v3, 0xffffff81, v49
	v_lshrrev_b32_e32 v5, 23, v2
	s_mov_b32 s7, exec_lo
	s_delay_alu instid0(VALU_DEP_2) | instskip(NEXT) | instid1(VALU_DEP_1)
	v_cndmask_b32_e64 v3, v3, 0xffffff82, vcc_lo
	v_add3_u32 v49, v67, v3, v5
	v_and_b32_e32 v3, 0x1fffff, v4
                                        ; implicit-def: $vgpr4
	s_delay_alu instid0(VALU_DEP_1) | instskip(SKIP_1) | instid1(VALU_DEP_2)
	v_dual_add_nc_u32 v5, 14, v49 :: v_dual_add_nc_u32 v2, v3, v2
	v_mov_b32_e32 v3, v1
	v_cmpx_ne_u32_e32 0, v5
	s_xor_b32 s7, exec_lo, s7
; %bb.12163:                            ;   in Loop: Header=BB6_8449 Depth=2
	s_delay_alu instid0(VALU_DEP_2) | instskip(SKIP_1) | instid1(VALU_DEP_1)
	v_cmp_lt_u64_e32 vcc_lo, 0xffffff, v[2:3]
	v_add_nc_u32_e32 v4, 15, v49
	v_cndmask_b32_e32 v4, v5, v4, vcc_lo
	v_cndmask_b32_e64 v5, 0, 1, vcc_lo
	s_delay_alu instid0(VALU_DEP_1)
	v_lshrrev_b64 v[2:3], v5, v[2:3]
; %bb.12164:                            ;   in Loop: Header=BB6_8449 Depth=2
	s_and_not1_saveexec_b32 s7, s7
; %bb.12165:                            ;   in Loop: Header=BB6_8449 Depth=2
	s_delay_alu instid0(VALU_DEP_1)
	v_bfe_u32 v4, v2, 23, 1
; %bb.12166:                            ;   in Loop: Header=BB6_8449 Depth=2
	s_or_b32 exec_lo, exec_lo, s7
	s_delay_alu instid0(VALU_DEP_2) | instskip(NEXT) | instid1(VALU_DEP_2)
	v_lshrrev_b64 v[2:3], 21, v[2:3]
	v_cmp_gt_i32_e32 vcc_lo, 32, v4
	v_min_i32_e32 v5, 31, v4
	v_cmp_eq_u32_e64 s7, 0, v4
	s_delay_alu instid0(VALU_DEP_2) | instskip(SKIP_1) | instid1(VALU_DEP_2)
	v_dual_cndmask_b32 v3, 0, v3, vcc_lo :: v_dual_lshlrev_b32 v5, 2, v5
	v_cndmask_b32_e32 v2, 3, v2, vcc_lo
	v_and_b32_e32 v5, 0xfc, v5
	s_delay_alu instid0(VALU_DEP_2) | instskip(NEXT) | instid1(VALU_DEP_2)
	v_cmp_eq_u64_e32 vcc_lo, 0, v[2:3]
	v_and_or_b32 v2, v2, 3, v5
	s_and_b32 s7, s7, vcc_lo
	s_delay_alu instid0(VALU_DEP_1) | instid1(SALU_CYCLE_1)
	v_cndmask_b32_e64 v2, v2, 0, s7
	s_delay_alu instid0(VALU_DEP_1)
	v_or_b32_e32 v49, v2, v65
.LBB6_12167:                            ;   in Loop: Header=BB6_8449 Depth=2
	s_or_b32 exec_lo, exec_lo, s40
                                        ; implicit-def: $vgpr65
.LBB6_12168:                            ;   in Loop: Header=BB6_8449 Depth=2
	s_and_not1_saveexec_b32 s7, s29
; %bb.12169:                            ;   in Loop: Header=BB6_8449 Depth=2
	v_or_b32_e32 v49, 0x7b, v65
; %bb.12170:                            ;   in Loop: Header=BB6_8449 Depth=2
	s_or_b32 exec_lo, exec_lo, s7
                                        ; implicit-def: $vgpr4
                                        ; implicit-def: $vgpr2_vgpr3
                                        ; implicit-def: $vgpr5
.LBB6_12171:                            ;   in Loop: Header=BB6_8449 Depth=2
	s_and_not1_saveexec_b32 s7, s28
	s_cbranch_execz .LBB6_12177
; %bb.12172:                            ;   in Loop: Header=BB6_8449 Depth=2
	s_mov_b32 s28, exec_lo
                                        ; implicit-def: $vgpr49
	v_cmpx_ne_u64_e32 0, v[2:3]
	s_xor_b32 s28, exec_lo, s28
; %bb.12173:                            ;   in Loop: Header=BB6_8449 Depth=2
	v_or_b32_e32 v49, 0x7f, v5
                                        ; implicit-def: $vgpr4
; %bb.12174:                            ;   in Loop: Header=BB6_8449 Depth=2
	s_and_not1_saveexec_b32 s28, s28
; %bb.12175:                            ;   in Loop: Header=BB6_8449 Depth=2
	v_cmp_lt_i32_e32 vcc_lo, -1, v4
	v_mov_b32_e32 v2, 0x7c
	s_delay_alu instid0(VALU_DEP_1)
	v_cndmask_b32_e32 v49, 0xfc, v2, vcc_lo
; %bb.12176:                            ;   in Loop: Header=BB6_8449 Depth=2
	s_or_b32 exec_lo, exec_lo, s28
.LBB6_12177:                            ;   in Loop: Header=BB6_8449 Depth=2
	s_delay_alu instid0(SALU_CYCLE_1) | instskip(SKIP_3) | instid1(VALU_DEP_2)
	s_or_b32 exec_lo, exec_lo, s7
	v_lshrrev_b16 v2, 8, v53
	v_dual_mov_b32 v4, 0 :: v_dual_mov_b32 v5, 0
	s_mov_b32 s28, exec_lo
	v_cmpx_ne_u16_e32 0, v2
	s_cbranch_execz .LBB6_12187
; %bb.12178:                            ;   in Loop: Header=BB6_8449 Depth=2
	v_bfrev_b32_e32 v5, 1
	s_mov_b32 s29, exec_lo
	v_cmpx_ne_u16_e32 0x80, v2
	s_cbranch_execz .LBB6_12186
; %bb.12179:                            ;   in Loop: Header=BB6_8449 Depth=2
	v_and_b32_e32 v65, 0xffff, v2
	s_delay_alu instid0(VALU_DEP_1) | instskip(SKIP_1) | instid1(VALU_DEP_2)
	v_and_b32_e32 v5, 0x7c, v65
	v_and_b32_e32 v3, 3, v65
	v_cmp_ne_u32_e32 vcc_lo, 0x7c, v5
                                        ; implicit-def: $vgpr5
	s_and_saveexec_b32 s7, vcc_lo
	s_delay_alu instid0(SALU_CYCLE_1)
	s_xor_b32 s7, exec_lo, s7
	s_cbranch_execz .LBB6_12183
; %bb.12180:                            ;   in Loop: Header=BB6_8449 Depth=2
	v_bfe_u32 v5, v65, 2, 5
	s_mov_b32 s40, exec_lo
	s_delay_alu instid0(VALU_DEP_1)
	v_cmpx_eq_u32_e32 0, v5
	s_cbranch_execz .LBB6_12182
; %bb.12181:                            ;   in Loop: Header=BB6_8449 Depth=2
	v_clz_i32_u32_e32 v3, v3
	s_delay_alu instid0(VALU_DEP_1) | instskip(SKIP_1) | instid1(VALU_DEP_2)
	v_min_u32_e32 v5, 32, v3
	v_mov_b32_e32 v3, v1
	v_subrev_nc_u32_e32 v65, 29, v5
	v_sub_nc_u32_e32 v5, 30, v5
	s_delay_alu instid0(VALU_DEP_2) | instskip(NEXT) | instid1(VALU_DEP_1)
	v_lshlrev_b64_e32 v[2:3], v65, v[2:3]
	v_and_b32_e32 v3, 3, v2
.LBB6_12182:                            ;   in Loop: Header=BB6_8449 Depth=2
	s_or_b32 exec_lo, exec_lo, s40
	v_lshlrev_b32_e32 v2, 16, v53
                                        ; implicit-def: $vgpr53
	s_delay_alu instid0(VALU_DEP_1) | instskip(NEXT) | instid1(VALU_DEP_1)
	v_and_b32_e32 v2, 0x80000000, v2
	v_lshl_add_u32 v2, v5, 23, v2
	s_delay_alu instid0(VALU_DEP_1) | instskip(NEXT) | instid1(VALU_DEP_1)
	v_lshl_or_b32 v2, v3, 21, v2
                                        ; implicit-def: $vgpr3
	v_add_nc_u32_e32 v5, 0x38000000, v2
.LBB6_12183:                            ;   in Loop: Header=BB6_8449 Depth=2
	s_and_not1_saveexec_b32 s40, s7
; %bb.12184:                            ;   in Loop: Header=BB6_8449 Depth=2
	v_cmp_lt_i16_e64 s7, -1, v53
	v_mov_b32_e32 v2, 0x7f800000
	v_cmp_eq_u32_e32 vcc_lo, 0, v3
	s_delay_alu instid0(VALU_DEP_2) | instskip(NEXT) | instid1(VALU_DEP_1)
	v_cndmask_b32_e64 v2, 0xff800000, v2, s7
	v_cndmask_b32_e32 v5, 0x7f800001, v2, vcc_lo
; %bb.12185:                            ;   in Loop: Header=BB6_8449 Depth=2
	s_or_b32 exec_lo, exec_lo, s40
.LBB6_12186:                            ;   in Loop: Header=BB6_8449 Depth=2
	s_delay_alu instid0(SALU_CYCLE_1)
	s_or_b32 exec_lo, exec_lo, s29
.LBB6_12187:                            ;   in Loop: Header=BB6_8449 Depth=2
	s_delay_alu instid0(SALU_CYCLE_1) | instskip(SKIP_2) | instid1(VALU_DEP_1)
	s_or_b32 exec_lo, exec_lo, s28
	v_lshrrev_b16 v2, 8, v17
	s_mov_b32 s28, exec_lo
	v_cmpx_ne_u16_e32 0, v2
	s_cbranch_execz .LBB6_12197
; %bb.12188:                            ;   in Loop: Header=BB6_8449 Depth=2
	v_bfrev_b32_e32 v4, 1
	s_mov_b32 s29, exec_lo
	v_cmpx_ne_u16_e32 0x80, v2
	s_cbranch_execz .LBB6_12196
; %bb.12189:                            ;   in Loop: Header=BB6_8449 Depth=2
	v_and_b32_e32 v53, 0xffff, v2
	s_delay_alu instid0(VALU_DEP_1) | instskip(SKIP_1) | instid1(VALU_DEP_2)
	v_and_b32_e32 v4, 0x7c, v53
	v_and_b32_e32 v3, 3, v53
	v_cmp_ne_u32_e32 vcc_lo, 0x7c, v4
                                        ; implicit-def: $vgpr4
	s_and_saveexec_b32 s7, vcc_lo
	s_delay_alu instid0(SALU_CYCLE_1)
	s_xor_b32 s7, exec_lo, s7
	s_cbranch_execz .LBB6_12193
; %bb.12190:                            ;   in Loop: Header=BB6_8449 Depth=2
	v_bfe_u32 v4, v53, 2, 5
	s_mov_b32 s40, exec_lo
	s_delay_alu instid0(VALU_DEP_1)
	v_cmpx_eq_u32_e32 0, v4
	s_cbranch_execz .LBB6_12192
; %bb.12191:                            ;   in Loop: Header=BB6_8449 Depth=2
	v_clz_i32_u32_e32 v3, v3
	s_delay_alu instid0(VALU_DEP_1) | instskip(SKIP_1) | instid1(VALU_DEP_2)
	v_min_u32_e32 v4, 32, v3
	v_mov_b32_e32 v3, v1
	v_subrev_nc_u32_e32 v53, 29, v4
	v_sub_nc_u32_e32 v4, 30, v4
	s_delay_alu instid0(VALU_DEP_2) | instskip(NEXT) | instid1(VALU_DEP_1)
	v_lshlrev_b64_e32 v[2:3], v53, v[2:3]
	v_and_b32_e32 v3, 3, v2
.LBB6_12192:                            ;   in Loop: Header=BB6_8449 Depth=2
	s_or_b32 exec_lo, exec_lo, s40
	v_lshlrev_b32_e32 v2, 16, v17
	s_delay_alu instid0(VALU_DEP_1) | instskip(NEXT) | instid1(VALU_DEP_1)
	v_and_b32_e32 v2, 0x80000000, v2
	v_lshl_add_u32 v2, v4, 23, v2
	s_delay_alu instid0(VALU_DEP_1) | instskip(NEXT) | instid1(VALU_DEP_1)
	v_lshl_or_b32 v2, v3, 21, v2
                                        ; implicit-def: $vgpr3
	v_add_nc_u32_e32 v4, 0x38000000, v2
.LBB6_12193:                            ;   in Loop: Header=BB6_8449 Depth=2
	s_and_not1_saveexec_b32 s40, s7
; %bb.12194:                            ;   in Loop: Header=BB6_8449 Depth=2
	v_cmp_lt_i16_e64 s7, -1, v17
	v_mov_b32_e32 v2, 0x7f800000
	v_cmp_eq_u32_e32 vcc_lo, 0, v3
	s_delay_alu instid0(VALU_DEP_2) | instskip(NEXT) | instid1(VALU_DEP_1)
	v_cndmask_b32_e64 v2, 0xff800000, v2, s7
	v_cndmask_b32_e32 v4, 0x7f800001, v2, vcc_lo
; %bb.12195:                            ;   in Loop: Header=BB6_8449 Depth=2
	s_or_b32 exec_lo, exec_lo, s40
.LBB6_12196:                            ;   in Loop: Header=BB6_8449 Depth=2
	s_delay_alu instid0(SALU_CYCLE_1)
	s_or_b32 exec_lo, exec_lo, s29
.LBB6_12197:                            ;   in Loop: Header=BB6_8449 Depth=2
	s_delay_alu instid0(SALU_CYCLE_1) | instskip(NEXT) | instid1(VALU_DEP_1)
	s_or_b32 exec_lo, exec_lo, s28
	v_add_f32_e32 v4, v5, v4
	v_dual_mov_b32 v63, v1 :: v_dual_mov_b32 v3, v1
                                        ; implicit-def: $vgpr53
	s_mov_b32 s7, exec_lo
	s_delay_alu instid0(VALU_DEP_2) | instskip(SKIP_2) | instid1(VALU_DEP_3)
	v_and_b32_e32 v62, 0x7f800000, v4
	v_and_b32_e32 v2, 0x7fffff, v4
	v_lshrrev_b32_e32 v5, 24, v4
	v_cmpx_ne_u64_e32 0x7f800000, v[62:63]
	s_xor_b32 s28, exec_lo, s7
	s_cbranch_execz .LBB6_12211
; %bb.12198:                            ;   in Loop: Header=BB6_8449 Depth=2
	v_and_b32_e32 v62, 0x7fffffff, v4
	v_mov_b32_e32 v63, v1
	v_and_b32_e32 v65, 0x80, v5
                                        ; implicit-def: $vgpr53
	s_mov_b32 s7, exec_lo
	s_delay_alu instid0(VALU_DEP_2)
	v_cmpx_gt_u64_e32 0x47600001, v[62:63]
	s_xor_b32 s29, exec_lo, s7
	s_cbranch_execz .LBB6_12208
; %bb.12199:                            ;   in Loop: Header=BB6_8449 Depth=2
	v_mov_b32_e32 v53, 0
	s_mov_b32 s40, exec_lo
	v_cmpx_ne_u32_e32 0, v4
	s_cbranch_execz .LBB6_12207
; %bb.12200:                            ;   in Loop: Header=BB6_8449 Depth=2
	v_bfe_u32 v53, v4, 23, 8
	v_or_b32_e32 v5, 0x800000, v2
	s_delay_alu instid0(VALU_DEP_2) | instskip(SKIP_2) | instid1(VALU_DEP_2)
	v_cmp_gt_u32_e64 s7, 0x72, v53
	v_sub_nc_u32_e32 v4, 0x71, v53
	v_cmp_eq_u32_e32 vcc_lo, 0, v53
	v_dual_cndmask_b32 v4, 0, v4, s7 :: v_dual_cndmask_b32 v2, v5, v2, vcc_lo
	s_delay_alu instid0(VALU_DEP_1) | instskip(NEXT) | instid1(VALU_DEP_1)
	v_cndmask_b32_e64 v67, v4, 0x70, vcc_lo
	v_dual_add_nc_u32 v4, 21, v67 :: v_dual_add_nc_u32 v71, 20, v67
	s_delay_alu instid0(VALU_DEP_1) | instskip(NEXT) | instid1(VALU_DEP_2)
	v_lshlrev_b64_e64 v[4:5], v4, -1
	v_lshlrev_b64_e64 v[62:63], v71, 1
	s_delay_alu instid0(VALU_DEP_2) | instskip(SKIP_1) | instid1(VALU_DEP_4)
	v_bfi_b32 v4, v4, 0, v2
	v_lshrrev_b64 v[2:3], v67, v[2:3]
	v_bfi_b32 v5, v5, 0, 0
	s_delay_alu instid0(VALU_DEP_1) | instskip(NEXT) | instid1(VALU_DEP_3)
	v_cmp_eq_u64_e64 s7, v[4:5], v[62:63]
	v_mov_b64_e32 v[4:5], v[2:3]
	s_and_saveexec_b32 s41, s7
; %bb.12201:                            ;   in Loop: Header=BB6_8449 Depth=2
	v_bfe_u32 v4, v2, 21, 1
	v_mov_b32_e32 v5, v1
	s_delay_alu instid0(VALU_DEP_1) | instskip(NEXT) | instid1(VALU_DEP_1)
	v_add_nc_u64_e32 v[4:5], v[2:3], v[4:5]
	v_add_nc_u64_e32 v[4:5], -1, v[4:5]
; %bb.12202:                            ;   in Loop: Header=BB6_8449 Depth=2
	s_or_b32 exec_lo, exec_lo, s41
	v_add_nc_u32_e32 v3, 0xffffff81, v53
	v_lshrrev_b32_e32 v5, 23, v2
	s_mov_b32 s7, exec_lo
	s_delay_alu instid0(VALU_DEP_2) | instskip(NEXT) | instid1(VALU_DEP_1)
	v_cndmask_b32_e64 v3, v3, 0xffffff82, vcc_lo
	v_add3_u32 v53, v67, v3, v5
	v_and_b32_e32 v3, 0x1fffff, v4
                                        ; implicit-def: $vgpr4
	s_delay_alu instid0(VALU_DEP_1) | instskip(SKIP_1) | instid1(VALU_DEP_2)
	v_dual_add_nc_u32 v5, 14, v53 :: v_dual_add_nc_u32 v2, v3, v2
	v_mov_b32_e32 v3, v1
	v_cmpx_ne_u32_e32 0, v5
	s_xor_b32 s7, exec_lo, s7
; %bb.12203:                            ;   in Loop: Header=BB6_8449 Depth=2
	s_delay_alu instid0(VALU_DEP_2) | instskip(SKIP_1) | instid1(VALU_DEP_1)
	v_cmp_lt_u64_e32 vcc_lo, 0xffffff, v[2:3]
	v_add_nc_u32_e32 v4, 15, v53
	v_cndmask_b32_e32 v4, v5, v4, vcc_lo
	v_cndmask_b32_e64 v5, 0, 1, vcc_lo
	s_delay_alu instid0(VALU_DEP_1)
	v_lshrrev_b64 v[2:3], v5, v[2:3]
; %bb.12204:                            ;   in Loop: Header=BB6_8449 Depth=2
	s_and_not1_saveexec_b32 s7, s7
; %bb.12205:                            ;   in Loop: Header=BB6_8449 Depth=2
	s_delay_alu instid0(VALU_DEP_1)
	v_bfe_u32 v4, v2, 23, 1
; %bb.12206:                            ;   in Loop: Header=BB6_8449 Depth=2
	s_or_b32 exec_lo, exec_lo, s7
	s_delay_alu instid0(VALU_DEP_2) | instskip(NEXT) | instid1(VALU_DEP_2)
	v_lshrrev_b64 v[2:3], 21, v[2:3]
	v_cmp_gt_i32_e32 vcc_lo, 32, v4
	v_min_i32_e32 v5, 31, v4
	v_cmp_eq_u32_e64 s7, 0, v4
	s_delay_alu instid0(VALU_DEP_2) | instskip(SKIP_1) | instid1(VALU_DEP_2)
	v_dual_cndmask_b32 v3, 0, v3, vcc_lo :: v_dual_lshlrev_b32 v5, 2, v5
	v_cndmask_b32_e32 v2, 3, v2, vcc_lo
	v_and_b32_e32 v5, 0xfc, v5
	s_delay_alu instid0(VALU_DEP_2) | instskip(NEXT) | instid1(VALU_DEP_2)
	v_cmp_eq_u64_e32 vcc_lo, 0, v[2:3]
	v_and_or_b32 v2, v2, 3, v5
	s_and_b32 s7, s7, vcc_lo
	s_delay_alu instid0(VALU_DEP_1) | instid1(SALU_CYCLE_1)
	v_cndmask_b32_e64 v2, v2, 0, s7
	s_delay_alu instid0(VALU_DEP_1)
	v_or_b32_e32 v53, v2, v65
.LBB6_12207:                            ;   in Loop: Header=BB6_8449 Depth=2
	s_or_b32 exec_lo, exec_lo, s40
                                        ; implicit-def: $vgpr65
.LBB6_12208:                            ;   in Loop: Header=BB6_8449 Depth=2
	s_and_not1_saveexec_b32 s7, s29
; %bb.12209:                            ;   in Loop: Header=BB6_8449 Depth=2
	v_or_b32_e32 v53, 0x7b, v65
; %bb.12210:                            ;   in Loop: Header=BB6_8449 Depth=2
	s_or_b32 exec_lo, exec_lo, s7
                                        ; implicit-def: $vgpr4
                                        ; implicit-def: $vgpr2_vgpr3
                                        ; implicit-def: $vgpr5
.LBB6_12211:                            ;   in Loop: Header=BB6_8449 Depth=2
	s_and_not1_saveexec_b32 s7, s28
	s_cbranch_execz .LBB6_12217
; %bb.12212:                            ;   in Loop: Header=BB6_8449 Depth=2
	s_mov_b32 s28, exec_lo
                                        ; implicit-def: $vgpr53
	v_cmpx_ne_u64_e32 0, v[2:3]
	s_xor_b32 s28, exec_lo, s28
; %bb.12213:                            ;   in Loop: Header=BB6_8449 Depth=2
	v_or_b32_e32 v53, 0x7f, v5
                                        ; implicit-def: $vgpr4
; %bb.12214:                            ;   in Loop: Header=BB6_8449 Depth=2
	s_and_not1_saveexec_b32 s28, s28
; %bb.12215:                            ;   in Loop: Header=BB6_8449 Depth=2
	v_cmp_lt_i32_e32 vcc_lo, -1, v4
	v_mov_b32_e32 v2, 0x7c
	s_delay_alu instid0(VALU_DEP_1)
	v_cndmask_b32_e32 v53, 0xfc, v2, vcc_lo
; %bb.12216:                            ;   in Loop: Header=BB6_8449 Depth=2
	s_or_b32 exec_lo, exec_lo, s28
.LBB6_12217:                            ;   in Loop: Header=BB6_8449 Depth=2
	s_delay_alu instid0(SALU_CYCLE_1) | instskip(SKIP_3) | instid1(VALU_DEP_2)
	s_or_b32 exec_lo, exec_lo, s7
	v_dual_mov_b32 v3, 0 :: v_dual_lshrrev_b32 v2, 16, v0
	v_mov_b32_e32 v4, 0
	s_mov_b32 s28, exec_lo
	v_and_b32_e32 v5, 0xff, v2
	s_delay_alu instid0(VALU_DEP_1)
	v_cmpx_ne_u16_e32 0, v5
	s_cbranch_execz .LBB6_12227
; %bb.12218:                            ;   in Loop: Header=BB6_8449 Depth=2
	v_bfrev_b32_e32 v4, 1
	s_mov_b32 s29, exec_lo
	v_cmpx_ne_u16_e32 0x80, v5
	s_cbranch_execz .LBB6_12226
; %bb.12219:                            ;   in Loop: Header=BB6_8449 Depth=2
	v_and_b32_e32 v4, 0x7c0000, v0
	v_bfe_u32 v5, v0, 16, 2
	s_delay_alu instid0(VALU_DEP_2) | instskip(SKIP_1) | instid1(SALU_CYCLE_1)
	v_cmp_ne_u32_e32 vcc_lo, 0x7c0000, v4
                                        ; implicit-def: $vgpr4
	s_and_saveexec_b32 s7, vcc_lo
	s_xor_b32 s7, exec_lo, s7
	s_cbranch_execz .LBB6_12223
; %bb.12220:                            ;   in Loop: Header=BB6_8449 Depth=2
	v_bfe_u32 v4, v0, 18, 5
	s_mov_b32 s40, exec_lo
	s_delay_alu instid0(VALU_DEP_1)
	v_cmpx_eq_u32_e32 0, v4
; %bb.12221:                            ;   in Loop: Header=BB6_8449 Depth=2
	v_clz_i32_u32_e32 v4, v5
	s_delay_alu instid0(VALU_DEP_1) | instskip(NEXT) | instid1(VALU_DEP_1)
	v_min_u32_e32 v4, 32, v4
	v_subrev_nc_u32_e32 v5, 29, v4
	s_delay_alu instid0(VALU_DEP_1) | instskip(NEXT) | instid1(VALU_DEP_1)
	v_lshlrev_b64_e32 v[62:63], v5, v[2:3]
	v_dual_sub_nc_u32 v4, 30, v4 :: v_dual_bitop2_b32 v5, 3, v62 bitop3:0x40
; %bb.12222:                            ;   in Loop: Header=BB6_8449 Depth=2
	s_or_b32 exec_lo, exec_lo, s40
	v_lshlrev_b32_e32 v2, 24, v2
	s_delay_alu instid0(VALU_DEP_1) | instskip(NEXT) | instid1(VALU_DEP_1)
	v_and_b32_e32 v2, 0x80000000, v2
	v_lshl_add_u32 v2, v4, 23, v2
	s_delay_alu instid0(VALU_DEP_1) | instskip(NEXT) | instid1(VALU_DEP_1)
	v_lshl_or_b32 v2, v5, 21, v2
                                        ; implicit-def: $vgpr5
	v_add_nc_u32_e32 v4, 0x38000000, v2
                                        ; implicit-def: $vgpr2
.LBB6_12223:                            ;   in Loop: Header=BB6_8449 Depth=2
	s_and_not1_saveexec_b32 s40, s7
; %bb.12224:                            ;   in Loop: Header=BB6_8449 Depth=2
	v_bfe_i32 v2, v2, 0, 8
	v_cmp_eq_u32_e32 vcc_lo, 0, v5
	s_delay_alu instid0(VALU_DEP_2) | instskip(SKIP_1) | instid1(VALU_DEP_1)
	v_cmp_lt_i16_e64 s7, -1, v2
	v_mov_b32_e32 v2, 0x7f800000
	v_cndmask_b32_e64 v2, 0xff800000, v2, s7
	s_delay_alu instid0(VALU_DEP_1)
	v_cndmask_b32_e32 v4, 0x7f800001, v2, vcc_lo
; %bb.12225:                            ;   in Loop: Header=BB6_8449 Depth=2
	s_or_b32 exec_lo, exec_lo, s40
.LBB6_12226:                            ;   in Loop: Header=BB6_8449 Depth=2
	s_delay_alu instid0(SALU_CYCLE_1)
	s_or_b32 exec_lo, exec_lo, s29
.LBB6_12227:                            ;   in Loop: Header=BB6_8449 Depth=2
	s_delay_alu instid0(SALU_CYCLE_1) | instskip(SKIP_2) | instid1(VALU_DEP_1)
	s_or_b32 exec_lo, exec_lo, s28
	v_lshrrev_b32_e32 v2, 16, v17
	s_mov_b32 s28, exec_lo
	v_and_b32_e32 v5, 0xff, v2
	s_delay_alu instid0(VALU_DEP_1)
	v_cmpx_ne_u16_e32 0, v5
	s_cbranch_execz .LBB6_12237
; %bb.12228:                            ;   in Loop: Header=BB6_8449 Depth=2
	v_bfrev_b32_e32 v3, 1
	s_mov_b32 s29, exec_lo
	v_cmpx_ne_u16_e32 0x80, v5
	s_cbranch_execz .LBB6_12236
; %bb.12229:                            ;   in Loop: Header=BB6_8449 Depth=2
	v_and_b32_e32 v3, 0x7c0000, v17
	v_bfe_u32 v5, v17, 16, 2
	s_delay_alu instid0(VALU_DEP_2) | instskip(SKIP_1) | instid1(SALU_CYCLE_1)
	v_cmp_ne_u32_e32 vcc_lo, 0x7c0000, v3
                                        ; implicit-def: $vgpr3
	s_and_saveexec_b32 s7, vcc_lo
	s_xor_b32 s7, exec_lo, s7
	s_cbranch_execz .LBB6_12233
; %bb.12230:                            ;   in Loop: Header=BB6_8449 Depth=2
	v_bfe_u32 v3, v17, 18, 5
	s_mov_b32 s40, exec_lo
	s_delay_alu instid0(VALU_DEP_1)
	v_cmpx_eq_u32_e32 0, v3
; %bb.12231:                            ;   in Loop: Header=BB6_8449 Depth=2
	v_clz_i32_u32_e32 v3, v5
	s_delay_alu instid0(VALU_DEP_1) | instskip(NEXT) | instid1(VALU_DEP_1)
	v_min_u32_e32 v3, 32, v3
	v_subrev_nc_u32_e32 v5, 29, v3
	s_delay_alu instid0(VALU_DEP_1) | instskip(NEXT) | instid1(VALU_DEP_1)
	v_lshlrev_b64_e32 v[62:63], v5, v[2:3]
	v_dual_sub_nc_u32 v3, 30, v3 :: v_dual_bitop2_b32 v5, 3, v62 bitop3:0x40
; %bb.12232:                            ;   in Loop: Header=BB6_8449 Depth=2
	s_or_b32 exec_lo, exec_lo, s40
	v_lshlrev_b32_e32 v2, 24, v2
	s_delay_alu instid0(VALU_DEP_1) | instskip(NEXT) | instid1(VALU_DEP_1)
	v_and_b32_e32 v2, 0x80000000, v2
	v_lshl_add_u32 v2, v3, 23, v2
	s_delay_alu instid0(VALU_DEP_1) | instskip(NEXT) | instid1(VALU_DEP_1)
	v_lshl_or_b32 v2, v5, 21, v2
                                        ; implicit-def: $vgpr5
	v_add_nc_u32_e32 v3, 0x38000000, v2
                                        ; implicit-def: $vgpr2
.LBB6_12233:                            ;   in Loop: Header=BB6_8449 Depth=2
	s_and_not1_saveexec_b32 s40, s7
; %bb.12234:                            ;   in Loop: Header=BB6_8449 Depth=2
	v_bfe_i32 v2, v2, 0, 8
	v_cmp_eq_u32_e32 vcc_lo, 0, v5
	s_delay_alu instid0(VALU_DEP_2) | instskip(SKIP_1) | instid1(VALU_DEP_1)
	v_cmp_lt_i16_e64 s7, -1, v2
	v_mov_b32_e32 v2, 0x7f800000
	v_cndmask_b32_e64 v2, 0xff800000, v2, s7
	s_delay_alu instid0(VALU_DEP_1)
	v_cndmask_b32_e32 v3, 0x7f800001, v2, vcc_lo
; %bb.12235:                            ;   in Loop: Header=BB6_8449 Depth=2
	s_or_b32 exec_lo, exec_lo, s40
.LBB6_12236:                            ;   in Loop: Header=BB6_8449 Depth=2
	s_delay_alu instid0(SALU_CYCLE_1)
	s_or_b32 exec_lo, exec_lo, s29
.LBB6_12237:                            ;   in Loop: Header=BB6_8449 Depth=2
	s_delay_alu instid0(SALU_CYCLE_1) | instskip(NEXT) | instid1(VALU_DEP_1)
	s_or_b32 exec_lo, exec_lo, s28
	v_dual_add_f32 v4, v4, v3 :: v_dual_mov_b32 v63, v1
	v_mov_b32_e32 v3, v1
                                        ; implicit-def: $vgpr65
	s_mov_b32 s7, exec_lo
	s_delay_alu instid0(VALU_DEP_2) | instskip(SKIP_2) | instid1(VALU_DEP_3)
	v_and_b32_e32 v62, 0x7f800000, v4
	v_and_b32_e32 v2, 0x7fffff, v4
	v_lshrrev_b32_e32 v5, 24, v4
	v_cmpx_ne_u64_e32 0x7f800000, v[62:63]
	s_xor_b32 s28, exec_lo, s7
	s_cbranch_execz .LBB6_12251
; %bb.12238:                            ;   in Loop: Header=BB6_8449 Depth=2
	v_and_b32_e32 v62, 0x7fffffff, v4
	v_mov_b32_e32 v63, v1
	v_and_b32_e32 v67, 0x80, v5
                                        ; implicit-def: $vgpr65
	s_mov_b32 s7, exec_lo
	s_delay_alu instid0(VALU_DEP_2)
	v_cmpx_gt_u64_e32 0x47600001, v[62:63]
	s_xor_b32 s29, exec_lo, s7
	s_cbranch_execz .LBB6_12248
; %bb.12239:                            ;   in Loop: Header=BB6_8449 Depth=2
	v_mov_b32_e32 v65, 0
	s_mov_b32 s40, exec_lo
	v_cmpx_ne_u32_e32 0, v4
	s_cbranch_execz .LBB6_12247
; %bb.12240:                            ;   in Loop: Header=BB6_8449 Depth=2
	v_bfe_u32 v65, v4, 23, 8
	v_or_b32_e32 v5, 0x800000, v2
	s_delay_alu instid0(VALU_DEP_2) | instskip(SKIP_2) | instid1(VALU_DEP_2)
	v_cmp_gt_u32_e64 s7, 0x72, v65
	v_sub_nc_u32_e32 v4, 0x71, v65
	v_cmp_eq_u32_e32 vcc_lo, 0, v65
	v_dual_cndmask_b32 v4, 0, v4, s7 :: v_dual_cndmask_b32 v2, v5, v2, vcc_lo
	s_delay_alu instid0(VALU_DEP_1) | instskip(NEXT) | instid1(VALU_DEP_1)
	v_cndmask_b32_e64 v71, v4, 0x70, vcc_lo
	v_dual_add_nc_u32 v4, 21, v71 :: v_dual_add_nc_u32 v84, 20, v71
	s_delay_alu instid0(VALU_DEP_1) | instskip(NEXT) | instid1(VALU_DEP_2)
	v_lshlrev_b64_e64 v[4:5], v4, -1
	v_lshlrev_b64_e64 v[62:63], v84, 1
	s_delay_alu instid0(VALU_DEP_2) | instskip(SKIP_1) | instid1(VALU_DEP_4)
	v_bfi_b32 v4, v4, 0, v2
	v_lshrrev_b64 v[2:3], v71, v[2:3]
	v_bfi_b32 v5, v5, 0, 0
	s_delay_alu instid0(VALU_DEP_1) | instskip(NEXT) | instid1(VALU_DEP_3)
	v_cmp_eq_u64_e64 s7, v[4:5], v[62:63]
	v_mov_b64_e32 v[4:5], v[2:3]
	s_and_saveexec_b32 s41, s7
; %bb.12241:                            ;   in Loop: Header=BB6_8449 Depth=2
	v_bfe_u32 v4, v2, 21, 1
	v_mov_b32_e32 v5, v1
	s_delay_alu instid0(VALU_DEP_1) | instskip(NEXT) | instid1(VALU_DEP_1)
	v_add_nc_u64_e32 v[4:5], v[2:3], v[4:5]
	v_add_nc_u64_e32 v[4:5], -1, v[4:5]
; %bb.12242:                            ;   in Loop: Header=BB6_8449 Depth=2
	s_or_b32 exec_lo, exec_lo, s41
	v_add_nc_u32_e32 v3, 0xffffff81, v65
	v_lshrrev_b32_e32 v5, 23, v2
	s_mov_b32 s7, exec_lo
	s_delay_alu instid0(VALU_DEP_2) | instskip(NEXT) | instid1(VALU_DEP_1)
	v_cndmask_b32_e64 v3, v3, 0xffffff82, vcc_lo
	v_add3_u32 v65, v71, v3, v5
	v_and_b32_e32 v3, 0x1fffff, v4
                                        ; implicit-def: $vgpr4
	s_delay_alu instid0(VALU_DEP_1) | instskip(SKIP_1) | instid1(VALU_DEP_2)
	v_dual_add_nc_u32 v5, 14, v65 :: v_dual_add_nc_u32 v2, v3, v2
	v_mov_b32_e32 v3, v1
	v_cmpx_ne_u32_e32 0, v5
	s_xor_b32 s7, exec_lo, s7
; %bb.12243:                            ;   in Loop: Header=BB6_8449 Depth=2
	s_delay_alu instid0(VALU_DEP_2) | instskip(SKIP_1) | instid1(VALU_DEP_1)
	v_cmp_lt_u64_e32 vcc_lo, 0xffffff, v[2:3]
	v_add_nc_u32_e32 v4, 15, v65
	v_cndmask_b32_e32 v4, v5, v4, vcc_lo
	v_cndmask_b32_e64 v5, 0, 1, vcc_lo
	s_delay_alu instid0(VALU_DEP_1)
	v_lshrrev_b64 v[2:3], v5, v[2:3]
; %bb.12244:                            ;   in Loop: Header=BB6_8449 Depth=2
	s_and_not1_saveexec_b32 s7, s7
; %bb.12245:                            ;   in Loop: Header=BB6_8449 Depth=2
	s_delay_alu instid0(VALU_DEP_1)
	v_bfe_u32 v4, v2, 23, 1
; %bb.12246:                            ;   in Loop: Header=BB6_8449 Depth=2
	s_or_b32 exec_lo, exec_lo, s7
	s_delay_alu instid0(VALU_DEP_2) | instskip(NEXT) | instid1(VALU_DEP_2)
	v_lshrrev_b64 v[2:3], 21, v[2:3]
	v_cmp_gt_i32_e32 vcc_lo, 32, v4
	v_min_i32_e32 v5, 31, v4
	v_cmp_eq_u32_e64 s7, 0, v4
	s_delay_alu instid0(VALU_DEP_2) | instskip(SKIP_1) | instid1(VALU_DEP_2)
	v_dual_cndmask_b32 v3, 0, v3, vcc_lo :: v_dual_lshlrev_b32 v5, 2, v5
	v_cndmask_b32_e32 v2, 3, v2, vcc_lo
	v_and_b32_e32 v5, 0xfc, v5
	s_delay_alu instid0(VALU_DEP_2) | instskip(NEXT) | instid1(VALU_DEP_2)
	v_cmp_eq_u64_e32 vcc_lo, 0, v[2:3]
	v_and_or_b32 v2, v2, 3, v5
	s_and_b32 s7, s7, vcc_lo
	s_delay_alu instid0(VALU_DEP_1) | instid1(SALU_CYCLE_1)
	v_cndmask_b32_e64 v2, v2, 0, s7
	s_delay_alu instid0(VALU_DEP_1)
	v_or_b32_e32 v65, v2, v67
.LBB6_12247:                            ;   in Loop: Header=BB6_8449 Depth=2
	s_or_b32 exec_lo, exec_lo, s40
                                        ; implicit-def: $vgpr67
.LBB6_12248:                            ;   in Loop: Header=BB6_8449 Depth=2
	s_and_not1_saveexec_b32 s7, s29
; %bb.12249:                            ;   in Loop: Header=BB6_8449 Depth=2
	v_or_b32_e32 v65, 0x7b, v67
; %bb.12250:                            ;   in Loop: Header=BB6_8449 Depth=2
	s_or_b32 exec_lo, exec_lo, s7
                                        ; implicit-def: $vgpr4
                                        ; implicit-def: $vgpr2_vgpr3
                                        ; implicit-def: $vgpr5
.LBB6_12251:                            ;   in Loop: Header=BB6_8449 Depth=2
	s_and_not1_saveexec_b32 s7, s28
	s_cbranch_execz .LBB6_12257
; %bb.12252:                            ;   in Loop: Header=BB6_8449 Depth=2
	s_mov_b32 s28, exec_lo
                                        ; implicit-def: $vgpr65
	v_cmpx_ne_u64_e32 0, v[2:3]
	s_xor_b32 s28, exec_lo, s28
; %bb.12253:                            ;   in Loop: Header=BB6_8449 Depth=2
	v_or_b32_e32 v65, 0x7f, v5
                                        ; implicit-def: $vgpr4
; %bb.12254:                            ;   in Loop: Header=BB6_8449 Depth=2
	s_and_not1_saveexec_b32 s28, s28
; %bb.12255:                            ;   in Loop: Header=BB6_8449 Depth=2
	v_cmp_lt_i32_e32 vcc_lo, -1, v4
	v_mov_b32_e32 v2, 0x7c
	s_delay_alu instid0(VALU_DEP_1)
	v_cndmask_b32_e32 v65, 0xfc, v2, vcc_lo
; %bb.12256:                            ;   in Loop: Header=BB6_8449 Depth=2
	s_or_b32 exec_lo, exec_lo, s28
.LBB6_12257:                            ;   in Loop: Header=BB6_8449 Depth=2
	s_delay_alu instid0(SALU_CYCLE_1)
	s_or_b32 exec_lo, exec_lo, s7
	v_dual_mov_b32 v3, 0 :: v_dual_mov_b32 v4, 0
	s_mov_b32 s28, exec_lo
	v_cmpx_lt_u32_e32 0xffffff, v0
	s_cbranch_execz .LBB6_12267
; %bb.12258:                            ;   in Loop: Header=BB6_8449 Depth=2
	v_lshrrev_b32_e32 v2, 24, v0
	v_bfrev_b32_e32 v4, 1
	s_mov_b32 s29, exec_lo
	s_delay_alu instid0(VALU_DEP_2)
	v_cmpx_ne_u32_e32 0x80, v2
	s_cbranch_execz .LBB6_12266
; %bb.12259:                            ;   in Loop: Header=BB6_8449 Depth=2
	v_and_b32_e32 v4, 0x7c000000, v0
	v_bfe_u32 v5, v0, 24, 2
	s_delay_alu instid0(VALU_DEP_2) | instskip(SKIP_1) | instid1(SALU_CYCLE_1)
	v_cmp_ne_u32_e32 vcc_lo, 0x7c000000, v4
                                        ; implicit-def: $vgpr4
	s_and_saveexec_b32 s7, vcc_lo
	s_xor_b32 s7, exec_lo, s7
	s_cbranch_execz .LBB6_12263
; %bb.12260:                            ;   in Loop: Header=BB6_8449 Depth=2
	v_bfe_u32 v4, v0, 26, 5
	s_mov_b32 s40, exec_lo
	s_delay_alu instid0(VALU_DEP_1)
	v_cmpx_eq_u32_e32 0, v4
; %bb.12261:                            ;   in Loop: Header=BB6_8449 Depth=2
	v_clz_i32_u32_e32 v4, v5
	s_delay_alu instid0(VALU_DEP_1) | instskip(NEXT) | instid1(VALU_DEP_1)
	v_min_u32_e32 v4, 32, v4
	v_subrev_nc_u32_e32 v5, 29, v4
	s_delay_alu instid0(VALU_DEP_1) | instskip(NEXT) | instid1(VALU_DEP_1)
	v_lshlrev_b64_e32 v[62:63], v5, v[2:3]
	v_dual_sub_nc_u32 v4, 30, v4 :: v_dual_bitop2_b32 v5, 3, v62 bitop3:0x40
; %bb.12262:                            ;   in Loop: Header=BB6_8449 Depth=2
	s_or_b32 exec_lo, exec_lo, s40
	v_and_b32_e32 v0, 0x80000000, v0
	s_delay_alu instid0(VALU_DEP_1) | instskip(NEXT) | instid1(VALU_DEP_1)
	v_lshl_add_u32 v0, v4, 23, v0
	v_lshl_or_b32 v0, v5, 21, v0
                                        ; implicit-def: $vgpr5
	s_delay_alu instid0(VALU_DEP_1)
	v_add_nc_u32_e32 v4, 0x38000000, v0
.LBB6_12263:                            ;   in Loop: Header=BB6_8449 Depth=2
	s_and_not1_saveexec_b32 s40, s7
; %bb.12264:                            ;   in Loop: Header=BB6_8449 Depth=2
	v_cmp_lt_i32_e64 s7, -1, v0
	v_mov_b32_e32 v0, 0x7f800000
	v_cmp_eq_u32_e32 vcc_lo, 0, v5
	s_delay_alu instid0(VALU_DEP_2) | instskip(NEXT) | instid1(VALU_DEP_1)
	v_cndmask_b32_e64 v0, 0xff800000, v0, s7
	v_cndmask_b32_e32 v4, 0x7f800001, v0, vcc_lo
; %bb.12265:                            ;   in Loop: Header=BB6_8449 Depth=2
	s_or_b32 exec_lo, exec_lo, s40
.LBB6_12266:                            ;   in Loop: Header=BB6_8449 Depth=2
	s_delay_alu instid0(SALU_CYCLE_1)
	s_or_b32 exec_lo, exec_lo, s29
.LBB6_12267:                            ;   in Loop: Header=BB6_8449 Depth=2
	s_delay_alu instid0(SALU_CYCLE_1) | instskip(NEXT) | instid1(SALU_CYCLE_1)
	s_or_b32 exec_lo, exec_lo, s28
	s_mov_b32 s28, exec_lo
	v_cmpx_lt_u64_e64 s[12:13], v[16:17]
	s_cbranch_execz .LBB6_12277
; %bb.12268:                            ;   in Loop: Header=BB6_8449 Depth=2
	v_lshrrev_b32_e32 v0, 24, v17
	v_bfrev_b32_e32 v3, 1
	s_mov_b32 s29, exec_lo
	s_delay_alu instid0(VALU_DEP_2)
	v_cmpx_ne_u32_e32 0x80, v0
	s_cbranch_execz .LBB6_12276
; %bb.12269:                            ;   in Loop: Header=BB6_8449 Depth=2
	v_and_b32_e32 v3, 0x7c000000, v17
	v_bfe_u32 v2, v17, 24, 2
	s_delay_alu instid0(VALU_DEP_2) | instskip(SKIP_1) | instid1(SALU_CYCLE_1)
	v_cmp_ne_u32_e32 vcc_lo, 0x7c000000, v3
                                        ; implicit-def: $vgpr3
	s_and_saveexec_b32 s7, vcc_lo
	s_xor_b32 s7, exec_lo, s7
	s_cbranch_execz .LBB6_12273
; %bb.12270:                            ;   in Loop: Header=BB6_8449 Depth=2
	v_bfe_u32 v3, v17, 26, 5
	s_mov_b32 s40, exec_lo
	s_delay_alu instid0(VALU_DEP_1)
	v_cmpx_eq_u32_e32 0, v3
; %bb.12271:                            ;   in Loop: Header=BB6_8449 Depth=2
	v_clz_i32_u32_e32 v2, v2
	s_delay_alu instid0(VALU_DEP_1) | instskip(NEXT) | instid1(VALU_DEP_1)
	v_min_u32_e32 v5, 32, v2
	v_subrev_nc_u32_e32 v2, 29, v5
	s_delay_alu instid0(VALU_DEP_1) | instskip(NEXT) | instid1(VALU_DEP_1)
	v_lshlrev_b64_e32 v[2:3], v2, v[0:1]
	v_dual_sub_nc_u32 v3, 30, v5 :: v_dual_bitop2_b32 v2, 3, v2 bitop3:0x40
; %bb.12272:                            ;   in Loop: Header=BB6_8449 Depth=2
	s_or_b32 exec_lo, exec_lo, s40
	v_and_b32_e32 v0, 0x80000000, v17
                                        ; implicit-def: $vgpr16_vgpr17
	s_delay_alu instid0(VALU_DEP_1) | instskip(NEXT) | instid1(VALU_DEP_1)
	v_lshl_add_u32 v0, v3, 23, v0
	v_lshl_or_b32 v0, v2, 21, v0
                                        ; implicit-def: $vgpr2
	s_delay_alu instid0(VALU_DEP_1)
	v_add_nc_u32_e32 v3, 0x38000000, v0
.LBB6_12273:                            ;   in Loop: Header=BB6_8449 Depth=2
	s_and_not1_saveexec_b32 s40, s7
; %bb.12274:                            ;   in Loop: Header=BB6_8449 Depth=2
	v_cmp_lt_i64_e64 s7, -1, v[16:17]
	v_mov_b32_e32 v0, 0x7f800000
	v_cmp_eq_u32_e32 vcc_lo, 0, v2
	s_delay_alu instid0(VALU_DEP_2) | instskip(NEXT) | instid1(VALU_DEP_1)
	v_cndmask_b32_e64 v0, 0xff800000, v0, s7
	v_cndmask_b32_e32 v3, 0x7f800001, v0, vcc_lo
; %bb.12275:                            ;   in Loop: Header=BB6_8449 Depth=2
	s_or_b32 exec_lo, exec_lo, s40
.LBB6_12276:                            ;   in Loop: Header=BB6_8449 Depth=2
	s_delay_alu instid0(SALU_CYCLE_1)
	s_or_b32 exec_lo, exec_lo, s29
.LBB6_12277:                            ;   in Loop: Header=BB6_8449 Depth=2
	s_delay_alu instid0(SALU_CYCLE_1) | instskip(NEXT) | instid1(VALU_DEP_1)
	s_or_b32 exec_lo, exec_lo, s28
	v_dual_add_f32 v2, v4, v3 :: v_dual_mov_b32 v5, v1
                                        ; implicit-def: $vgpr16
	s_mov_b32 s7, exec_lo
	s_delay_alu instid0(VALU_DEP_1) | instskip(SKIP_2) | instid1(VALU_DEP_3)
	v_and_b32_e32 v4, 0x7f800000, v2
	v_and_b32_e32 v0, 0x7fffff, v2
	v_lshrrev_b32_e32 v3, 24, v2
	v_cmpx_ne_u64_e32 0x7f800000, v[4:5]
	s_xor_b32 s28, exec_lo, s7
	s_cbranch_execz .LBB6_12291
; %bb.12278:                            ;   in Loop: Header=BB6_8449 Depth=2
	v_and_b32_e32 v4, 0x7fffffff, v2
	v_mov_b32_e32 v5, v1
	v_and_b32_e32 v17, 0x80, v3
                                        ; implicit-def: $vgpr16
	s_mov_b32 s7, exec_lo
	s_delay_alu instid0(VALU_DEP_2)
	v_cmpx_gt_u64_e32 0x47600001, v[4:5]
	s_xor_b32 s29, exec_lo, s7
	s_cbranch_execz .LBB6_12288
; %bb.12279:                            ;   in Loop: Header=BB6_8449 Depth=2
	v_mov_b32_e32 v16, 0
	s_mov_b32 s40, exec_lo
	v_cmpx_ne_u32_e32 0, v2
	s_cbranch_execz .LBB6_12287
; %bb.12280:                            ;   in Loop: Header=BB6_8449 Depth=2
	v_bfe_u32 v16, v2, 23, 8
	v_or_b32_e32 v3, 0x800000, v0
	s_delay_alu instid0(VALU_DEP_2) | instskip(SKIP_2) | instid1(VALU_DEP_2)
	v_cmp_gt_u32_e64 s7, 0x72, v16
	v_sub_nc_u32_e32 v2, 0x71, v16
	v_cmp_eq_u32_e32 vcc_lo, 0, v16
	v_cndmask_b32_e64 v2, 0, v2, s7
	s_delay_alu instid0(VALU_DEP_1) | instskip(SKIP_1) | instid1(VALU_DEP_2)
	v_cndmask_b32_e64 v67, v2, 0x70, vcc_lo
	v_dual_cndmask_b32 v2, v3, v0 :: v_dual_mov_b32 v3, v1
	v_add_nc_u32_e32 v0, 21, v67
	s_delay_alu instid0(VALU_DEP_1) | instskip(SKIP_1) | instid1(VALU_DEP_1)
	v_lshlrev_b64_e64 v[4:5], v0, -1
	v_add_nc_u32_e32 v0, 20, v67
	v_lshlrev_b64_e64 v[62:63], v0, 1
	s_delay_alu instid0(VALU_DEP_3) | instskip(SKIP_2) | instid1(VALU_DEP_1)
	v_bfi_b32 v4, v4, 0, v2
	v_lshrrev_b64 v[2:3], v67, v[2:3]
	v_bfi_b32 v5, v5, 0, 0
	v_cmp_eq_u64_e64 s7, v[4:5], v[62:63]
	s_delay_alu instid0(VALU_DEP_3)
	v_mov_b64_e32 v[4:5], v[2:3]
	s_and_saveexec_b32 s41, s7
; %bb.12281:                            ;   in Loop: Header=BB6_8449 Depth=2
	v_bfe_u32 v4, v2, 21, 1
	v_mov_b32_e32 v5, v1
	s_delay_alu instid0(VALU_DEP_1) | instskip(NEXT) | instid1(VALU_DEP_1)
	v_add_nc_u64_e32 v[4:5], v[2:3], v[4:5]
	v_add_nc_u64_e32 v[4:5], -1, v[4:5]
; %bb.12282:                            ;   in Loop: Header=BB6_8449 Depth=2
	s_or_b32 exec_lo, exec_lo, s41
	v_add_nc_u32_e32 v0, 0xffffff81, v16
	s_delay_alu instid0(VALU_DEP_2) | instskip(SKIP_2) | instid1(VALU_DEP_3)
	v_and_b32_e32 v4, 0x1fffff, v4
	v_lshrrev_b32_e32 v3, 23, v2
	s_mov_b32 s7, exec_lo
	v_cndmask_b32_e64 v0, v0, 0xffffff82, vcc_lo
	s_delay_alu instid0(VALU_DEP_1) | instskip(SKIP_1) | instid1(VALU_DEP_2)
	v_add3_u32 v16, v67, v0, v3
	v_add_nc_u32_e32 v0, v4, v2
                                        ; implicit-def: $vgpr2_vgpr3
                                        ; implicit-def: $vgpr4
	v_add_nc_u32_e32 v5, 14, v16
	s_delay_alu instid0(VALU_DEP_1)
	v_cmpx_ne_u32_e32 0, v5
	s_xor_b32 s7, exec_lo, s7
; %bb.12283:                            ;   in Loop: Header=BB6_8449 Depth=2
	s_delay_alu instid0(VALU_DEP_3) | instskip(SKIP_1) | instid1(VALU_DEP_1)
	v_cmp_lt_u64_e32 vcc_lo, 0xffffff, v[0:1]
	v_add_nc_u32_e32 v2, 15, v16
	v_cndmask_b32_e32 v4, v5, v2, vcc_lo
	v_cndmask_b32_e64 v2, 0, 1, vcc_lo
	s_delay_alu instid0(VALU_DEP_1)
	v_lshrrev_b64 v[2:3], v2, v[0:1]
; %bb.12284:                            ;   in Loop: Header=BB6_8449 Depth=2
	s_and_not1_saveexec_b32 s7, s7
; %bb.12285:                            ;   in Loop: Header=BB6_8449 Depth=2
	v_mov_b64_e32 v[2:3], v[0:1]
	v_bfe_u32 v4, v0, 23, 1
; %bb.12286:                            ;   in Loop: Header=BB6_8449 Depth=2
	s_or_b32 exec_lo, exec_lo, s7
	s_delay_alu instid0(VALU_DEP_2) | instskip(NEXT) | instid1(VALU_DEP_2)
	v_lshrrev_b64 v[2:3], 21, v[2:3]
	v_cmp_gt_i32_e32 vcc_lo, 32, v4
	v_min_i32_e32 v0, 31, v4
	v_cmp_eq_u32_e64 s7, 0, v4
	s_delay_alu instid0(VALU_DEP_2) | instskip(SKIP_1) | instid1(VALU_DEP_2)
	v_dual_cndmask_b32 v3, 0, v3 :: v_dual_lshlrev_b32 v0, 2, v0
	v_cndmask_b32_e32 v2, 3, v2, vcc_lo
	v_and_b32_e32 v0, 0xfc, v0
	s_delay_alu instid0(VALU_DEP_2) | instskip(NEXT) | instid1(VALU_DEP_2)
	v_cmp_eq_u64_e32 vcc_lo, 0, v[2:3]
	v_and_or_b32 v0, v2, 3, v0
	s_and_b32 s7, s7, vcc_lo
	s_delay_alu instid0(VALU_DEP_1) | instid1(SALU_CYCLE_1)
	v_cndmask_b32_e64 v0, v0, 0, s7
	s_delay_alu instid0(VALU_DEP_1)
	v_or_b32_e32 v16, v0, v17
.LBB6_12287:                            ;   in Loop: Header=BB6_8449 Depth=2
	s_or_b32 exec_lo, exec_lo, s40
                                        ; implicit-def: $vgpr17
.LBB6_12288:                            ;   in Loop: Header=BB6_8449 Depth=2
	s_and_not1_saveexec_b32 s7, s29
; %bb.12289:                            ;   in Loop: Header=BB6_8449 Depth=2
	v_or_b32_e32 v16, 0x7b, v17
; %bb.12290:                            ;   in Loop: Header=BB6_8449 Depth=2
	s_or_b32 exec_lo, exec_lo, s7
                                        ; implicit-def: $vgpr2
                                        ; implicit-def: $vgpr3
.LBB6_12291:                            ;   in Loop: Header=BB6_8449 Depth=2
	s_and_not1_saveexec_b32 s7, s28
	s_cbranch_execz .LBB6_12297
; %bb.12292:                            ;   in Loop: Header=BB6_8449 Depth=2
	s_mov_b32 s28, exec_lo
                                        ; implicit-def: $vgpr16
	v_cmpx_ne_u64_e32 0, v[0:1]
	s_xor_b32 s28, exec_lo, s28
; %bb.12293:                            ;   in Loop: Header=BB6_8449 Depth=2
	v_or_b32_e32 v16, 0x7f, v3
                                        ; implicit-def: $vgpr2
; %bb.12294:                            ;   in Loop: Header=BB6_8449 Depth=2
	s_and_not1_saveexec_b32 s28, s28
; %bb.12295:                            ;   in Loop: Header=BB6_8449 Depth=2
	v_cmp_lt_i32_e32 vcc_lo, -1, v2
	v_mov_b32_e32 v0, 0x7c
	s_delay_alu instid0(VALU_DEP_1)
	v_cndmask_b32_e32 v16, 0xfc, v0, vcc_lo
; %bb.12296:                            ;   in Loop: Header=BB6_8449 Depth=2
	s_or_b32 exec_lo, exec_lo, s28
.LBB6_12297:                            ;   in Loop: Header=BB6_8449 Depth=2
	s_delay_alu instid0(SALU_CYCLE_1) | instskip(SKIP_4) | instid1(VALU_DEP_2)
	s_or_b32 exec_lo, exec_lo, s7
	v_lshl_or_b32 v48, v48, 8, v36
	v_dual_lshlrev_b32 v0, 16, v51 :: v_dual_lshlrev_b32 v2, 24, v54
	s_mov_b32 s28, exec_lo
	v_mov_b32_e32 v3, 0
	v_or3_b32 v0, v0, v2, v48
	v_mov_b32_e32 v2, 0
	v_cmpx_ne_u32_e32 0, v36
	s_cbranch_execz .LBB6_12307
; %bb.12298:                            ;   in Loop: Header=BB6_8449 Depth=2
	v_bfrev_b32_e32 v3, 1
	s_mov_b32 s29, exec_lo
	v_cmpx_ne_u32_e32 0x80, v36
	s_cbranch_execz .LBB6_12306
; %bb.12299:                            ;   in Loop: Header=BB6_8449 Depth=2
	v_and_b32_e32 v3, 0x7c, v36
	v_and_b32_e32 v4, 3, v36
	s_delay_alu instid0(VALU_DEP_2) | instskip(SKIP_1) | instid1(SALU_CYCLE_1)
	v_cmp_ne_u32_e32 vcc_lo, 0x7c, v3
                                        ; implicit-def: $vgpr3
	s_and_saveexec_b32 s7, vcc_lo
	s_xor_b32 s7, exec_lo, s7
	s_cbranch_execz .LBB6_12303
; %bb.12300:                            ;   in Loop: Header=BB6_8449 Depth=2
	v_bfe_u32 v3, v36, 2, 5
	s_mov_b32 s40, exec_lo
	s_delay_alu instid0(VALU_DEP_1)
	v_cmpx_eq_u32_e32 0, v3
; %bb.12301:                            ;   in Loop: Header=BB6_8449 Depth=2
	v_clz_i32_u32_e32 v3, v4
	s_delay_alu instid0(VALU_DEP_1) | instskip(NEXT) | instid1(VALU_DEP_1)
	v_min_u32_e32 v3, 32, v3
	v_subrev_nc_u32_e32 v4, 29, v3
	s_delay_alu instid0(VALU_DEP_1) | instskip(NEXT) | instid1(VALU_DEP_1)
	v_lshlrev_b64_e32 v[4:5], v4, v[0:1]
	v_dual_sub_nc_u32 v3, 30, v3 :: v_dual_bitop2_b32 v4, 3, v4 bitop3:0x40
; %bb.12302:                            ;   in Loop: Header=BB6_8449 Depth=2
	s_or_b32 exec_lo, exec_lo, s40
	v_lshlrev_b32_e32 v5, 24, v36
                                        ; implicit-def: $vgpr36
	s_delay_alu instid0(VALU_DEP_1) | instskip(NEXT) | instid1(VALU_DEP_1)
	v_and_b32_e32 v5, 0x80000000, v5
	v_lshl_add_u32 v3, v3, 23, v5
	s_delay_alu instid0(VALU_DEP_1) | instskip(NEXT) | instid1(VALU_DEP_1)
	v_lshl_or_b32 v3, v4, 21, v3
                                        ; implicit-def: $vgpr4
	v_add_nc_u32_e32 v3, 0x38000000, v3
.LBB6_12303:                            ;   in Loop: Header=BB6_8449 Depth=2
	s_and_not1_saveexec_b32 s40, s7
; %bb.12304:                            ;   in Loop: Header=BB6_8449 Depth=2
	v_and_b32_e32 v3, 0x80, v36
	v_cmp_eq_u32_e32 vcc_lo, 0, v4
	s_delay_alu instid0(VALU_DEP_2) | instskip(SKIP_1) | instid1(VALU_DEP_1)
	v_cmp_eq_u32_e64 s7, 0, v3
	v_mov_b32_e32 v3, 0x7f800000
	v_cndmask_b32_e64 v3, 0xff800000, v3, s7
	s_delay_alu instid0(VALU_DEP_1)
	v_cndmask_b32_e32 v3, 0x7f800001, v3, vcc_lo
; %bb.12305:                            ;   in Loop: Header=BB6_8449 Depth=2
	s_or_b32 exec_lo, exec_lo, s40
.LBB6_12306:                            ;   in Loop: Header=BB6_8449 Depth=2
	s_delay_alu instid0(SALU_CYCLE_1)
	s_or_b32 exec_lo, exec_lo, s29
.LBB6_12307:                            ;   in Loop: Header=BB6_8449 Depth=2
	s_delay_alu instid0(SALU_CYCLE_1) | instskip(SKIP_3) | instid1(VALU_DEP_1)
	s_or_b32 exec_lo, exec_lo, s28
	s_wait_loadcnt 0x0
	v_and_b32_e32 v4, 0xff, v10
	s_mov_b32 s28, exec_lo
	v_cmpx_ne_u16_e32 0, v4
	s_cbranch_execz .LBB6_12317
; %bb.12308:                            ;   in Loop: Header=BB6_8449 Depth=2
	v_bfe_i32 v5, v10, 0, 8
	v_bfrev_b32_e32 v2, 1
	s_mov_b32 s29, exec_lo
	s_delay_alu instid0(VALU_DEP_2)
	v_cmpx_ne_u16_e32 0xff80, v5
	s_cbranch_execz .LBB6_12316
; %bb.12309:                            ;   in Loop: Header=BB6_8449 Depth=2
	v_and_b32_e32 v2, 0x7c, v10
	v_and_b32_e32 v4, 3, v10
	s_delay_alu instid0(VALU_DEP_2) | instskip(SKIP_1) | instid1(SALU_CYCLE_1)
	v_cmp_ne_u32_e32 vcc_lo, 0x7c, v2
                                        ; implicit-def: $vgpr2
	s_and_saveexec_b32 s7, vcc_lo
	s_xor_b32 s7, exec_lo, s7
	s_cbranch_execz .LBB6_12313
; %bb.12310:                            ;   in Loop: Header=BB6_8449 Depth=2
	v_bfe_u32 v2, v10, 2, 5
	s_mov_b32 s40, exec_lo
	s_delay_alu instid0(VALU_DEP_1)
	v_cmpx_eq_u32_e32 0, v2
; %bb.12311:                            ;   in Loop: Header=BB6_8449 Depth=2
	v_clz_i32_u32_e32 v2, v4
	s_delay_alu instid0(VALU_DEP_1) | instskip(NEXT) | instid1(VALU_DEP_1)
	v_min_u32_e32 v2, 32, v2
	v_subrev_nc_u32_e32 v4, 29, v2
	s_delay_alu instid0(VALU_DEP_1) | instskip(NEXT) | instid1(VALU_DEP_1)
	v_lshlrev_b64_e32 v[4:5], v4, v[10:11]
	v_dual_sub_nc_u32 v2, 30, v2 :: v_dual_bitop2_b32 v4, 3, v4 bitop3:0x40
; %bb.12312:                            ;   in Loop: Header=BB6_8449 Depth=2
	s_or_b32 exec_lo, exec_lo, s40
	v_lshlrev_b32_e32 v5, 24, v10
	s_delay_alu instid0(VALU_DEP_1) | instskip(NEXT) | instid1(VALU_DEP_1)
	v_and_b32_e32 v5, 0x80000000, v5
	v_lshl_add_u32 v2, v2, 23, v5
                                        ; implicit-def: $vgpr5
	s_delay_alu instid0(VALU_DEP_1) | instskip(NEXT) | instid1(VALU_DEP_1)
	v_lshl_or_b32 v2, v4, 21, v2
                                        ; implicit-def: $vgpr4
	v_add_nc_u32_e32 v2, 0x38000000, v2
.LBB6_12313:                            ;   in Loop: Header=BB6_8449 Depth=2
	s_and_not1_saveexec_b32 s40, s7
; %bb.12314:                            ;   in Loop: Header=BB6_8449 Depth=2
	v_cmp_lt_i16_e64 s7, -1, v5
	v_mov_b32_e32 v2, 0x7f800000
	v_cmp_eq_u32_e32 vcc_lo, 0, v4
	s_delay_alu instid0(VALU_DEP_2) | instskip(NEXT) | instid1(VALU_DEP_1)
	v_cndmask_b32_e64 v2, 0xff800000, v2, s7
	v_cndmask_b32_e32 v2, 0x7f800001, v2, vcc_lo
; %bb.12315:                            ;   in Loop: Header=BB6_8449 Depth=2
	s_or_b32 exec_lo, exec_lo, s40
.LBB6_12316:                            ;   in Loop: Header=BB6_8449 Depth=2
	s_delay_alu instid0(SALU_CYCLE_1)
	s_or_b32 exec_lo, exec_lo, s29
.LBB6_12317:                            ;   in Loop: Header=BB6_8449 Depth=2
	s_delay_alu instid0(SALU_CYCLE_1) | instskip(NEXT) | instid1(VALU_DEP_1)
	s_or_b32 exec_lo, exec_lo, s28
	v_dual_add_f32 v4, v3, v2 :: v_dual_mov_b32 v63, v1
	v_mov_b32_e32 v3, v1
                                        ; implicit-def: $vgpr17
	s_mov_b32 s7, exec_lo
	s_delay_alu instid0(VALU_DEP_2) | instskip(SKIP_2) | instid1(VALU_DEP_3)
	v_and_b32_e32 v62, 0x7f800000, v4
	v_and_b32_e32 v2, 0x7fffff, v4
	v_lshrrev_b32_e32 v5, 24, v4
	v_cmpx_ne_u64_e32 0x7f800000, v[62:63]
	s_xor_b32 s28, exec_lo, s7
	s_cbranch_execz .LBB6_12331
; %bb.12318:                            ;   in Loop: Header=BB6_8449 Depth=2
	v_and_b32_e32 v62, 0x7fffffff, v4
	v_mov_b32_e32 v63, v1
	v_and_b32_e32 v36, 0x80, v5
                                        ; implicit-def: $vgpr17
	s_mov_b32 s7, exec_lo
	s_delay_alu instid0(VALU_DEP_2)
	v_cmpx_gt_u64_e32 0x47600001, v[62:63]
	s_xor_b32 s29, exec_lo, s7
	s_cbranch_execz .LBB6_12328
; %bb.12319:                            ;   in Loop: Header=BB6_8449 Depth=2
	v_mov_b32_e32 v17, 0
	s_mov_b32 s40, exec_lo
	v_cmpx_ne_u32_e32 0, v4
	s_cbranch_execz .LBB6_12327
; %bb.12320:                            ;   in Loop: Header=BB6_8449 Depth=2
	v_bfe_u32 v17, v4, 23, 8
	v_or_b32_e32 v5, 0x800000, v2
	s_delay_alu instid0(VALU_DEP_2) | instskip(SKIP_2) | instid1(VALU_DEP_2)
	v_cmp_gt_u32_e64 s7, 0x72, v17
	v_sub_nc_u32_e32 v4, 0x71, v17
	v_cmp_eq_u32_e32 vcc_lo, 0, v17
	v_dual_cndmask_b32 v4, 0, v4, s7 :: v_dual_cndmask_b32 v2, v5, v2, vcc_lo
	s_delay_alu instid0(VALU_DEP_1) | instskip(NEXT) | instid1(VALU_DEP_1)
	v_cndmask_b32_e64 v51, v4, 0x70, vcc_lo
	v_dual_add_nc_u32 v4, 21, v51 :: v_dual_add_nc_u32 v54, 20, v51
	s_delay_alu instid0(VALU_DEP_1) | instskip(NEXT) | instid1(VALU_DEP_2)
	v_lshlrev_b64_e64 v[4:5], v4, -1
	v_lshlrev_b64_e64 v[62:63], v54, 1
	s_delay_alu instid0(VALU_DEP_2) | instskip(SKIP_1) | instid1(VALU_DEP_4)
	v_bfi_b32 v4, v4, 0, v2
	v_lshrrev_b64 v[2:3], v51, v[2:3]
	v_bfi_b32 v5, v5, 0, 0
	s_delay_alu instid0(VALU_DEP_1) | instskip(NEXT) | instid1(VALU_DEP_3)
	v_cmp_eq_u64_e64 s7, v[4:5], v[62:63]
	v_mov_b64_e32 v[4:5], v[2:3]
	s_and_saveexec_b32 s41, s7
; %bb.12321:                            ;   in Loop: Header=BB6_8449 Depth=2
	v_bfe_u32 v4, v2, 21, 1
	v_mov_b32_e32 v5, v1
	s_delay_alu instid0(VALU_DEP_1) | instskip(NEXT) | instid1(VALU_DEP_1)
	v_add_nc_u64_e32 v[4:5], v[2:3], v[4:5]
	v_add_nc_u64_e32 v[4:5], -1, v[4:5]
; %bb.12322:                            ;   in Loop: Header=BB6_8449 Depth=2
	s_or_b32 exec_lo, exec_lo, s41
	v_add_nc_u32_e32 v3, 0xffffff81, v17
	v_lshrrev_b32_e32 v5, 23, v2
	s_mov_b32 s7, exec_lo
	s_delay_alu instid0(VALU_DEP_2) | instskip(NEXT) | instid1(VALU_DEP_1)
	v_cndmask_b32_e64 v3, v3, 0xffffff82, vcc_lo
	v_add3_u32 v17, v51, v3, v5
	v_and_b32_e32 v3, 0x1fffff, v4
                                        ; implicit-def: $vgpr4
	s_delay_alu instid0(VALU_DEP_1) | instskip(SKIP_1) | instid1(VALU_DEP_2)
	v_dual_add_nc_u32 v5, 14, v17 :: v_dual_add_nc_u32 v2, v3, v2
	v_mov_b32_e32 v3, v1
	v_cmpx_ne_u32_e32 0, v5
	s_xor_b32 s7, exec_lo, s7
; %bb.12323:                            ;   in Loop: Header=BB6_8449 Depth=2
	s_delay_alu instid0(VALU_DEP_2) | instskip(SKIP_1) | instid1(VALU_DEP_1)
	v_cmp_lt_u64_e32 vcc_lo, 0xffffff, v[2:3]
	v_add_nc_u32_e32 v4, 15, v17
	v_cndmask_b32_e32 v4, v5, v4, vcc_lo
	v_cndmask_b32_e64 v5, 0, 1, vcc_lo
	s_delay_alu instid0(VALU_DEP_1)
	v_lshrrev_b64 v[2:3], v5, v[2:3]
; %bb.12324:                            ;   in Loop: Header=BB6_8449 Depth=2
	s_and_not1_saveexec_b32 s7, s7
; %bb.12325:                            ;   in Loop: Header=BB6_8449 Depth=2
	s_delay_alu instid0(VALU_DEP_1)
	v_bfe_u32 v4, v2, 23, 1
; %bb.12326:                            ;   in Loop: Header=BB6_8449 Depth=2
	s_or_b32 exec_lo, exec_lo, s7
	s_delay_alu instid0(VALU_DEP_2) | instskip(NEXT) | instid1(VALU_DEP_2)
	v_lshrrev_b64 v[2:3], 21, v[2:3]
	v_cmp_gt_i32_e32 vcc_lo, 32, v4
	v_min_i32_e32 v5, 31, v4
	v_cmp_eq_u32_e64 s7, 0, v4
	s_delay_alu instid0(VALU_DEP_2) | instskip(SKIP_1) | instid1(VALU_DEP_2)
	v_dual_cndmask_b32 v3, 0, v3, vcc_lo :: v_dual_lshlrev_b32 v5, 2, v5
	v_cndmask_b32_e32 v2, 3, v2, vcc_lo
	v_and_b32_e32 v5, 0xfc, v5
	s_delay_alu instid0(VALU_DEP_2) | instskip(NEXT) | instid1(VALU_DEP_2)
	v_cmp_eq_u64_e32 vcc_lo, 0, v[2:3]
	v_and_or_b32 v2, v2, 3, v5
	s_and_b32 s7, s7, vcc_lo
	s_delay_alu instid0(VALU_DEP_1) | instid1(SALU_CYCLE_1)
	v_cndmask_b32_e64 v2, v2, 0, s7
	s_delay_alu instid0(VALU_DEP_1)
	v_or_b32_e32 v17, v2, v36
.LBB6_12327:                            ;   in Loop: Header=BB6_8449 Depth=2
	s_or_b32 exec_lo, exec_lo, s40
                                        ; implicit-def: $vgpr36
.LBB6_12328:                            ;   in Loop: Header=BB6_8449 Depth=2
	s_and_not1_saveexec_b32 s7, s29
; %bb.12329:                            ;   in Loop: Header=BB6_8449 Depth=2
	v_or_b32_e32 v17, 0x7b, v36
; %bb.12330:                            ;   in Loop: Header=BB6_8449 Depth=2
	s_or_b32 exec_lo, exec_lo, s7
                                        ; implicit-def: $vgpr4
                                        ; implicit-def: $vgpr2_vgpr3
                                        ; implicit-def: $vgpr5
.LBB6_12331:                            ;   in Loop: Header=BB6_8449 Depth=2
	s_and_not1_saveexec_b32 s7, s28
	s_cbranch_execz .LBB6_12337
; %bb.12332:                            ;   in Loop: Header=BB6_8449 Depth=2
	s_mov_b32 s28, exec_lo
                                        ; implicit-def: $vgpr17
	v_cmpx_ne_u64_e32 0, v[2:3]
	s_xor_b32 s28, exec_lo, s28
; %bb.12333:                            ;   in Loop: Header=BB6_8449 Depth=2
	v_or_b32_e32 v17, 0x7f, v5
                                        ; implicit-def: $vgpr4
; %bb.12334:                            ;   in Loop: Header=BB6_8449 Depth=2
	s_and_not1_saveexec_b32 s28, s28
; %bb.12335:                            ;   in Loop: Header=BB6_8449 Depth=2
	v_cmp_lt_i32_e32 vcc_lo, -1, v4
	v_mov_b32_e32 v2, 0x7c
	s_delay_alu instid0(VALU_DEP_1)
	v_cndmask_b32_e32 v17, 0xfc, v2, vcc_lo
; %bb.12336:                            ;   in Loop: Header=BB6_8449 Depth=2
	s_or_b32 exec_lo, exec_lo, s28
.LBB6_12337:                            ;   in Loop: Header=BB6_8449 Depth=2
	s_delay_alu instid0(SALU_CYCLE_1) | instskip(SKIP_3) | instid1(VALU_DEP_2)
	s_or_b32 exec_lo, exec_lo, s7
	v_lshrrev_b16 v2, 8, v48
	v_dual_mov_b32 v4, 0 :: v_dual_mov_b32 v5, 0
	s_mov_b32 s28, exec_lo
	v_cmpx_ne_u16_e32 0, v2
	s_cbranch_execz .LBB6_12347
; %bb.12338:                            ;   in Loop: Header=BB6_8449 Depth=2
	v_bfrev_b32_e32 v5, 1
	s_mov_b32 s29, exec_lo
	v_cmpx_ne_u16_e32 0x80, v2
	s_cbranch_execz .LBB6_12346
; %bb.12339:                            ;   in Loop: Header=BB6_8449 Depth=2
	v_and_b32_e32 v36, 0xffff, v2
	s_delay_alu instid0(VALU_DEP_1) | instskip(SKIP_1) | instid1(VALU_DEP_2)
	v_and_b32_e32 v5, 0x7c, v36
	v_and_b32_e32 v3, 3, v36
	v_cmp_ne_u32_e32 vcc_lo, 0x7c, v5
                                        ; implicit-def: $vgpr5
	s_and_saveexec_b32 s7, vcc_lo
	s_delay_alu instid0(SALU_CYCLE_1)
	s_xor_b32 s7, exec_lo, s7
	s_cbranch_execz .LBB6_12343
; %bb.12340:                            ;   in Loop: Header=BB6_8449 Depth=2
	v_bfe_u32 v5, v36, 2, 5
	s_mov_b32 s40, exec_lo
	s_delay_alu instid0(VALU_DEP_1)
	v_cmpx_eq_u32_e32 0, v5
	s_cbranch_execz .LBB6_12342
; %bb.12341:                            ;   in Loop: Header=BB6_8449 Depth=2
	v_clz_i32_u32_e32 v3, v3
	s_delay_alu instid0(VALU_DEP_1) | instskip(SKIP_1) | instid1(VALU_DEP_2)
	v_min_u32_e32 v5, 32, v3
	v_mov_b32_e32 v3, v1
	v_subrev_nc_u32_e32 v36, 29, v5
	v_sub_nc_u32_e32 v5, 30, v5
	s_delay_alu instid0(VALU_DEP_2) | instskip(NEXT) | instid1(VALU_DEP_1)
	v_lshlrev_b64_e32 v[2:3], v36, v[2:3]
	v_and_b32_e32 v3, 3, v2
.LBB6_12342:                            ;   in Loop: Header=BB6_8449 Depth=2
	s_or_b32 exec_lo, exec_lo, s40
	v_lshlrev_b32_e32 v2, 16, v48
                                        ; implicit-def: $vgpr48
	s_delay_alu instid0(VALU_DEP_1) | instskip(NEXT) | instid1(VALU_DEP_1)
	v_and_b32_e32 v2, 0x80000000, v2
	v_lshl_add_u32 v2, v5, 23, v2
	s_delay_alu instid0(VALU_DEP_1) | instskip(NEXT) | instid1(VALU_DEP_1)
	v_lshl_or_b32 v2, v3, 21, v2
                                        ; implicit-def: $vgpr3
	v_add_nc_u32_e32 v5, 0x38000000, v2
.LBB6_12343:                            ;   in Loop: Header=BB6_8449 Depth=2
	s_and_not1_saveexec_b32 s40, s7
; %bb.12344:                            ;   in Loop: Header=BB6_8449 Depth=2
	v_cmp_lt_i16_e64 s7, -1, v48
	v_mov_b32_e32 v2, 0x7f800000
	v_cmp_eq_u32_e32 vcc_lo, 0, v3
	s_delay_alu instid0(VALU_DEP_2) | instskip(NEXT) | instid1(VALU_DEP_1)
	v_cndmask_b32_e64 v2, 0xff800000, v2, s7
	v_cndmask_b32_e32 v5, 0x7f800001, v2, vcc_lo
; %bb.12345:                            ;   in Loop: Header=BB6_8449 Depth=2
	s_or_b32 exec_lo, exec_lo, s40
.LBB6_12346:                            ;   in Loop: Header=BB6_8449 Depth=2
	s_delay_alu instid0(SALU_CYCLE_1)
	s_or_b32 exec_lo, exec_lo, s29
.LBB6_12347:                            ;   in Loop: Header=BB6_8449 Depth=2
	s_delay_alu instid0(SALU_CYCLE_1) | instskip(SKIP_2) | instid1(VALU_DEP_1)
	s_or_b32 exec_lo, exec_lo, s28
	v_lshrrev_b16 v2, 8, v10
	s_mov_b32 s28, exec_lo
	v_cmpx_ne_u16_e32 0, v2
	s_cbranch_execz .LBB6_12357
; %bb.12348:                            ;   in Loop: Header=BB6_8449 Depth=2
	v_bfrev_b32_e32 v4, 1
	s_mov_b32 s29, exec_lo
	v_cmpx_ne_u16_e32 0x80, v2
	s_cbranch_execz .LBB6_12356
; %bb.12349:                            ;   in Loop: Header=BB6_8449 Depth=2
	v_and_b32_e32 v36, 0xffff, v2
	s_delay_alu instid0(VALU_DEP_1) | instskip(SKIP_1) | instid1(VALU_DEP_2)
	v_and_b32_e32 v4, 0x7c, v36
	v_and_b32_e32 v3, 3, v36
	v_cmp_ne_u32_e32 vcc_lo, 0x7c, v4
                                        ; implicit-def: $vgpr4
	s_and_saveexec_b32 s7, vcc_lo
	s_delay_alu instid0(SALU_CYCLE_1)
	s_xor_b32 s7, exec_lo, s7
	s_cbranch_execz .LBB6_12353
; %bb.12350:                            ;   in Loop: Header=BB6_8449 Depth=2
	v_bfe_u32 v4, v36, 2, 5
	s_mov_b32 s40, exec_lo
	s_delay_alu instid0(VALU_DEP_1)
	v_cmpx_eq_u32_e32 0, v4
	s_cbranch_execz .LBB6_12352
; %bb.12351:                            ;   in Loop: Header=BB6_8449 Depth=2
	v_clz_i32_u32_e32 v3, v3
	s_delay_alu instid0(VALU_DEP_1) | instskip(SKIP_1) | instid1(VALU_DEP_2)
	v_min_u32_e32 v4, 32, v3
	v_mov_b32_e32 v3, v1
	v_subrev_nc_u32_e32 v36, 29, v4
	v_sub_nc_u32_e32 v4, 30, v4
	s_delay_alu instid0(VALU_DEP_2) | instskip(NEXT) | instid1(VALU_DEP_1)
	v_lshlrev_b64_e32 v[2:3], v36, v[2:3]
	v_and_b32_e32 v3, 3, v2
.LBB6_12352:                            ;   in Loop: Header=BB6_8449 Depth=2
	s_or_b32 exec_lo, exec_lo, s40
	v_lshlrev_b32_e32 v2, 16, v10
	s_delay_alu instid0(VALU_DEP_1) | instskip(NEXT) | instid1(VALU_DEP_1)
	v_and_b32_e32 v2, 0x80000000, v2
	v_lshl_add_u32 v2, v4, 23, v2
	s_delay_alu instid0(VALU_DEP_1) | instskip(NEXT) | instid1(VALU_DEP_1)
	v_lshl_or_b32 v2, v3, 21, v2
                                        ; implicit-def: $vgpr3
	v_add_nc_u32_e32 v4, 0x38000000, v2
.LBB6_12353:                            ;   in Loop: Header=BB6_8449 Depth=2
	s_and_not1_saveexec_b32 s40, s7
; %bb.12354:                            ;   in Loop: Header=BB6_8449 Depth=2
	v_cmp_lt_i16_e64 s7, -1, v10
	v_mov_b32_e32 v2, 0x7f800000
	v_cmp_eq_u32_e32 vcc_lo, 0, v3
	s_delay_alu instid0(VALU_DEP_2) | instskip(NEXT) | instid1(VALU_DEP_1)
	v_cndmask_b32_e64 v2, 0xff800000, v2, s7
	v_cndmask_b32_e32 v4, 0x7f800001, v2, vcc_lo
; %bb.12355:                            ;   in Loop: Header=BB6_8449 Depth=2
	s_or_b32 exec_lo, exec_lo, s40
.LBB6_12356:                            ;   in Loop: Header=BB6_8449 Depth=2
	s_delay_alu instid0(SALU_CYCLE_1)
	s_or_b32 exec_lo, exec_lo, s29
.LBB6_12357:                            ;   in Loop: Header=BB6_8449 Depth=2
	s_delay_alu instid0(SALU_CYCLE_1) | instskip(NEXT) | instid1(VALU_DEP_1)
	s_or_b32 exec_lo, exec_lo, s28
	v_add_f32_e32 v4, v5, v4
	v_dual_mov_b32 v63, v1 :: v_dual_mov_b32 v3, v1
                                        ; implicit-def: $vgpr36
	s_mov_b32 s7, exec_lo
	s_delay_alu instid0(VALU_DEP_2) | instskip(SKIP_2) | instid1(VALU_DEP_3)
	v_and_b32_e32 v62, 0x7f800000, v4
	v_and_b32_e32 v2, 0x7fffff, v4
	v_lshrrev_b32_e32 v5, 24, v4
	v_cmpx_ne_u64_e32 0x7f800000, v[62:63]
	s_xor_b32 s28, exec_lo, s7
	s_cbranch_execz .LBB6_12371
; %bb.12358:                            ;   in Loop: Header=BB6_8449 Depth=2
	v_and_b32_e32 v62, 0x7fffffff, v4
	v_mov_b32_e32 v63, v1
	v_and_b32_e32 v48, 0x80, v5
                                        ; implicit-def: $vgpr36
	s_mov_b32 s7, exec_lo
	s_delay_alu instid0(VALU_DEP_2)
	v_cmpx_gt_u64_e32 0x47600001, v[62:63]
	s_xor_b32 s29, exec_lo, s7
	s_cbranch_execz .LBB6_12368
; %bb.12359:                            ;   in Loop: Header=BB6_8449 Depth=2
	v_mov_b32_e32 v36, 0
	s_mov_b32 s40, exec_lo
	v_cmpx_ne_u32_e32 0, v4
	s_cbranch_execz .LBB6_12367
; %bb.12360:                            ;   in Loop: Header=BB6_8449 Depth=2
	v_bfe_u32 v36, v4, 23, 8
	v_or_b32_e32 v5, 0x800000, v2
	s_delay_alu instid0(VALU_DEP_2) | instskip(SKIP_2) | instid1(VALU_DEP_2)
	v_cmp_gt_u32_e64 s7, 0x72, v36
	v_sub_nc_u32_e32 v4, 0x71, v36
	v_cmp_eq_u32_e32 vcc_lo, 0, v36
	v_dual_cndmask_b32 v4, 0, v4, s7 :: v_dual_cndmask_b32 v2, v5, v2, vcc_lo
	s_delay_alu instid0(VALU_DEP_1) | instskip(NEXT) | instid1(VALU_DEP_1)
	v_cndmask_b32_e64 v51, v4, 0x70, vcc_lo
	v_dual_add_nc_u32 v4, 21, v51 :: v_dual_add_nc_u32 v54, 20, v51
	s_delay_alu instid0(VALU_DEP_1) | instskip(NEXT) | instid1(VALU_DEP_2)
	v_lshlrev_b64_e64 v[4:5], v4, -1
	v_lshlrev_b64_e64 v[62:63], v54, 1
	s_delay_alu instid0(VALU_DEP_2) | instskip(SKIP_1) | instid1(VALU_DEP_4)
	v_bfi_b32 v4, v4, 0, v2
	v_lshrrev_b64 v[2:3], v51, v[2:3]
	v_bfi_b32 v5, v5, 0, 0
	s_delay_alu instid0(VALU_DEP_1) | instskip(NEXT) | instid1(VALU_DEP_3)
	v_cmp_eq_u64_e64 s7, v[4:5], v[62:63]
	v_mov_b64_e32 v[4:5], v[2:3]
	s_and_saveexec_b32 s41, s7
; %bb.12361:                            ;   in Loop: Header=BB6_8449 Depth=2
	v_bfe_u32 v4, v2, 21, 1
	v_mov_b32_e32 v5, v1
	s_delay_alu instid0(VALU_DEP_1) | instskip(NEXT) | instid1(VALU_DEP_1)
	v_add_nc_u64_e32 v[4:5], v[2:3], v[4:5]
	v_add_nc_u64_e32 v[4:5], -1, v[4:5]
; %bb.12362:                            ;   in Loop: Header=BB6_8449 Depth=2
	s_or_b32 exec_lo, exec_lo, s41
	v_add_nc_u32_e32 v3, 0xffffff81, v36
	v_lshrrev_b32_e32 v5, 23, v2
	s_mov_b32 s7, exec_lo
	s_delay_alu instid0(VALU_DEP_2) | instskip(NEXT) | instid1(VALU_DEP_1)
	v_cndmask_b32_e64 v3, v3, 0xffffff82, vcc_lo
	v_add3_u32 v36, v51, v3, v5
	v_and_b32_e32 v3, 0x1fffff, v4
                                        ; implicit-def: $vgpr4
	s_delay_alu instid0(VALU_DEP_1) | instskip(SKIP_1) | instid1(VALU_DEP_2)
	v_dual_add_nc_u32 v5, 14, v36 :: v_dual_add_nc_u32 v2, v3, v2
	v_mov_b32_e32 v3, v1
	v_cmpx_ne_u32_e32 0, v5
	s_xor_b32 s7, exec_lo, s7
; %bb.12363:                            ;   in Loop: Header=BB6_8449 Depth=2
	s_delay_alu instid0(VALU_DEP_2) | instskip(SKIP_1) | instid1(VALU_DEP_1)
	v_cmp_lt_u64_e32 vcc_lo, 0xffffff, v[2:3]
	v_add_nc_u32_e32 v4, 15, v36
	v_cndmask_b32_e32 v4, v5, v4, vcc_lo
	v_cndmask_b32_e64 v5, 0, 1, vcc_lo
	s_delay_alu instid0(VALU_DEP_1)
	v_lshrrev_b64 v[2:3], v5, v[2:3]
; %bb.12364:                            ;   in Loop: Header=BB6_8449 Depth=2
	s_and_not1_saveexec_b32 s7, s7
; %bb.12365:                            ;   in Loop: Header=BB6_8449 Depth=2
	s_delay_alu instid0(VALU_DEP_1)
	v_bfe_u32 v4, v2, 23, 1
; %bb.12366:                            ;   in Loop: Header=BB6_8449 Depth=2
	s_or_b32 exec_lo, exec_lo, s7
	s_delay_alu instid0(VALU_DEP_2) | instskip(NEXT) | instid1(VALU_DEP_2)
	v_lshrrev_b64 v[2:3], 21, v[2:3]
	v_cmp_gt_i32_e32 vcc_lo, 32, v4
	v_min_i32_e32 v5, 31, v4
	v_cmp_eq_u32_e64 s7, 0, v4
	s_delay_alu instid0(VALU_DEP_2) | instskip(SKIP_1) | instid1(VALU_DEP_2)
	v_dual_cndmask_b32 v3, 0, v3, vcc_lo :: v_dual_lshlrev_b32 v5, 2, v5
	v_cndmask_b32_e32 v2, 3, v2, vcc_lo
	v_and_b32_e32 v5, 0xfc, v5
	s_delay_alu instid0(VALU_DEP_2) | instskip(NEXT) | instid1(VALU_DEP_2)
	v_cmp_eq_u64_e32 vcc_lo, 0, v[2:3]
	v_and_or_b32 v2, v2, 3, v5
	s_and_b32 s7, s7, vcc_lo
	s_delay_alu instid0(VALU_DEP_1) | instid1(SALU_CYCLE_1)
	v_cndmask_b32_e64 v2, v2, 0, s7
	s_delay_alu instid0(VALU_DEP_1)
	v_or_b32_e32 v36, v2, v48
.LBB6_12367:                            ;   in Loop: Header=BB6_8449 Depth=2
	s_or_b32 exec_lo, exec_lo, s40
                                        ; implicit-def: $vgpr48
.LBB6_12368:                            ;   in Loop: Header=BB6_8449 Depth=2
	s_and_not1_saveexec_b32 s7, s29
; %bb.12369:                            ;   in Loop: Header=BB6_8449 Depth=2
	v_or_b32_e32 v36, 0x7b, v48
; %bb.12370:                            ;   in Loop: Header=BB6_8449 Depth=2
	s_or_b32 exec_lo, exec_lo, s7
                                        ; implicit-def: $vgpr4
                                        ; implicit-def: $vgpr2_vgpr3
                                        ; implicit-def: $vgpr5
.LBB6_12371:                            ;   in Loop: Header=BB6_8449 Depth=2
	s_and_not1_saveexec_b32 s7, s28
	s_cbranch_execz .LBB6_12377
; %bb.12372:                            ;   in Loop: Header=BB6_8449 Depth=2
	s_mov_b32 s28, exec_lo
                                        ; implicit-def: $vgpr36
	v_cmpx_ne_u64_e32 0, v[2:3]
	s_xor_b32 s28, exec_lo, s28
; %bb.12373:                            ;   in Loop: Header=BB6_8449 Depth=2
	v_or_b32_e32 v36, 0x7f, v5
                                        ; implicit-def: $vgpr4
; %bb.12374:                            ;   in Loop: Header=BB6_8449 Depth=2
	s_and_not1_saveexec_b32 s28, s28
; %bb.12375:                            ;   in Loop: Header=BB6_8449 Depth=2
	v_cmp_lt_i32_e32 vcc_lo, -1, v4
	v_mov_b32_e32 v2, 0x7c
	s_delay_alu instid0(VALU_DEP_1)
	v_cndmask_b32_e32 v36, 0xfc, v2, vcc_lo
; %bb.12376:                            ;   in Loop: Header=BB6_8449 Depth=2
	s_or_b32 exec_lo, exec_lo, s28
.LBB6_12377:                            ;   in Loop: Header=BB6_8449 Depth=2
	s_delay_alu instid0(SALU_CYCLE_1) | instskip(SKIP_3) | instid1(VALU_DEP_2)
	s_or_b32 exec_lo, exec_lo, s7
	v_dual_mov_b32 v3, 0 :: v_dual_lshrrev_b32 v2, 16, v0
	v_mov_b32_e32 v4, 0
	s_mov_b32 s28, exec_lo
	v_and_b32_e32 v5, 0xff, v2
	s_delay_alu instid0(VALU_DEP_1)
	v_cmpx_ne_u16_e32 0, v5
	s_cbranch_execz .LBB6_12387
; %bb.12378:                            ;   in Loop: Header=BB6_8449 Depth=2
	v_bfrev_b32_e32 v4, 1
	s_mov_b32 s29, exec_lo
	v_cmpx_ne_u16_e32 0x80, v5
	s_cbranch_execz .LBB6_12386
; %bb.12379:                            ;   in Loop: Header=BB6_8449 Depth=2
	v_and_b32_e32 v4, 0x7c0000, v0
	v_bfe_u32 v5, v0, 16, 2
	s_delay_alu instid0(VALU_DEP_2) | instskip(SKIP_1) | instid1(SALU_CYCLE_1)
	v_cmp_ne_u32_e32 vcc_lo, 0x7c0000, v4
                                        ; implicit-def: $vgpr4
	s_and_saveexec_b32 s7, vcc_lo
	s_xor_b32 s7, exec_lo, s7
	s_cbranch_execz .LBB6_12383
; %bb.12380:                            ;   in Loop: Header=BB6_8449 Depth=2
	v_bfe_u32 v4, v0, 18, 5
	s_mov_b32 s40, exec_lo
	s_delay_alu instid0(VALU_DEP_1)
	v_cmpx_eq_u32_e32 0, v4
; %bb.12381:                            ;   in Loop: Header=BB6_8449 Depth=2
	v_clz_i32_u32_e32 v4, v5
	s_delay_alu instid0(VALU_DEP_1) | instskip(NEXT) | instid1(VALU_DEP_1)
	v_min_u32_e32 v4, 32, v4
	v_subrev_nc_u32_e32 v5, 29, v4
	s_delay_alu instid0(VALU_DEP_1) | instskip(NEXT) | instid1(VALU_DEP_1)
	v_lshlrev_b64_e32 v[62:63], v5, v[2:3]
	v_dual_sub_nc_u32 v4, 30, v4 :: v_dual_bitop2_b32 v5, 3, v62 bitop3:0x40
; %bb.12382:                            ;   in Loop: Header=BB6_8449 Depth=2
	s_or_b32 exec_lo, exec_lo, s40
	v_lshlrev_b32_e32 v2, 24, v2
	s_delay_alu instid0(VALU_DEP_1) | instskip(NEXT) | instid1(VALU_DEP_1)
	v_and_b32_e32 v2, 0x80000000, v2
	v_lshl_add_u32 v2, v4, 23, v2
	s_delay_alu instid0(VALU_DEP_1) | instskip(NEXT) | instid1(VALU_DEP_1)
	v_lshl_or_b32 v2, v5, 21, v2
                                        ; implicit-def: $vgpr5
	v_add_nc_u32_e32 v4, 0x38000000, v2
                                        ; implicit-def: $vgpr2
.LBB6_12383:                            ;   in Loop: Header=BB6_8449 Depth=2
	s_and_not1_saveexec_b32 s40, s7
; %bb.12384:                            ;   in Loop: Header=BB6_8449 Depth=2
	v_bfe_i32 v2, v2, 0, 8
	v_cmp_eq_u32_e32 vcc_lo, 0, v5
	s_delay_alu instid0(VALU_DEP_2) | instskip(SKIP_1) | instid1(VALU_DEP_1)
	v_cmp_lt_i16_e64 s7, -1, v2
	v_mov_b32_e32 v2, 0x7f800000
	v_cndmask_b32_e64 v2, 0xff800000, v2, s7
	s_delay_alu instid0(VALU_DEP_1)
	v_cndmask_b32_e32 v4, 0x7f800001, v2, vcc_lo
; %bb.12385:                            ;   in Loop: Header=BB6_8449 Depth=2
	s_or_b32 exec_lo, exec_lo, s40
.LBB6_12386:                            ;   in Loop: Header=BB6_8449 Depth=2
	s_delay_alu instid0(SALU_CYCLE_1)
	s_or_b32 exec_lo, exec_lo, s29
.LBB6_12387:                            ;   in Loop: Header=BB6_8449 Depth=2
	s_delay_alu instid0(SALU_CYCLE_1) | instskip(SKIP_2) | instid1(VALU_DEP_1)
	s_or_b32 exec_lo, exec_lo, s28
	v_lshrrev_b32_e32 v2, 16, v10
	s_mov_b32 s28, exec_lo
	v_and_b32_e32 v5, 0xff, v2
	s_delay_alu instid0(VALU_DEP_1)
	v_cmpx_ne_u16_e32 0, v5
	s_cbranch_execz .LBB6_12397
; %bb.12388:                            ;   in Loop: Header=BB6_8449 Depth=2
	v_bfrev_b32_e32 v3, 1
	s_mov_b32 s29, exec_lo
	v_cmpx_ne_u16_e32 0x80, v5
	s_cbranch_execz .LBB6_12396
; %bb.12389:                            ;   in Loop: Header=BB6_8449 Depth=2
	v_and_b32_e32 v3, 0x7c0000, v10
	v_bfe_u32 v5, v10, 16, 2
	s_delay_alu instid0(VALU_DEP_2) | instskip(SKIP_1) | instid1(SALU_CYCLE_1)
	v_cmp_ne_u32_e32 vcc_lo, 0x7c0000, v3
                                        ; implicit-def: $vgpr3
	s_and_saveexec_b32 s7, vcc_lo
	s_xor_b32 s7, exec_lo, s7
	s_cbranch_execz .LBB6_12393
; %bb.12390:                            ;   in Loop: Header=BB6_8449 Depth=2
	v_bfe_u32 v3, v10, 18, 5
	s_mov_b32 s40, exec_lo
	s_delay_alu instid0(VALU_DEP_1)
	v_cmpx_eq_u32_e32 0, v3
; %bb.12391:                            ;   in Loop: Header=BB6_8449 Depth=2
	v_clz_i32_u32_e32 v3, v5
	s_delay_alu instid0(VALU_DEP_1) | instskip(NEXT) | instid1(VALU_DEP_1)
	v_min_u32_e32 v3, 32, v3
	v_subrev_nc_u32_e32 v5, 29, v3
	s_delay_alu instid0(VALU_DEP_1) | instskip(NEXT) | instid1(VALU_DEP_1)
	v_lshlrev_b64_e32 v[62:63], v5, v[2:3]
	v_dual_sub_nc_u32 v3, 30, v3 :: v_dual_bitop2_b32 v5, 3, v62 bitop3:0x40
; %bb.12392:                            ;   in Loop: Header=BB6_8449 Depth=2
	s_or_b32 exec_lo, exec_lo, s40
	v_lshlrev_b32_e32 v2, 24, v2
	s_delay_alu instid0(VALU_DEP_1) | instskip(NEXT) | instid1(VALU_DEP_1)
	v_and_b32_e32 v2, 0x80000000, v2
	v_lshl_add_u32 v2, v3, 23, v2
	s_delay_alu instid0(VALU_DEP_1) | instskip(NEXT) | instid1(VALU_DEP_1)
	v_lshl_or_b32 v2, v5, 21, v2
                                        ; implicit-def: $vgpr5
	v_add_nc_u32_e32 v3, 0x38000000, v2
                                        ; implicit-def: $vgpr2
.LBB6_12393:                            ;   in Loop: Header=BB6_8449 Depth=2
	s_and_not1_saveexec_b32 s40, s7
; %bb.12394:                            ;   in Loop: Header=BB6_8449 Depth=2
	v_bfe_i32 v2, v2, 0, 8
	v_cmp_eq_u32_e32 vcc_lo, 0, v5
	s_delay_alu instid0(VALU_DEP_2) | instskip(SKIP_1) | instid1(VALU_DEP_1)
	v_cmp_lt_i16_e64 s7, -1, v2
	v_mov_b32_e32 v2, 0x7f800000
	v_cndmask_b32_e64 v2, 0xff800000, v2, s7
	s_delay_alu instid0(VALU_DEP_1)
	v_cndmask_b32_e32 v3, 0x7f800001, v2, vcc_lo
; %bb.12395:                            ;   in Loop: Header=BB6_8449 Depth=2
	s_or_b32 exec_lo, exec_lo, s40
.LBB6_12396:                            ;   in Loop: Header=BB6_8449 Depth=2
	s_delay_alu instid0(SALU_CYCLE_1)
	s_or_b32 exec_lo, exec_lo, s29
.LBB6_12397:                            ;   in Loop: Header=BB6_8449 Depth=2
	s_delay_alu instid0(SALU_CYCLE_1) | instskip(NEXT) | instid1(VALU_DEP_1)
	s_or_b32 exec_lo, exec_lo, s28
	v_dual_add_f32 v4, v4, v3 :: v_dual_mov_b32 v63, v1
	v_mov_b32_e32 v3, v1
                                        ; implicit-def: $vgpr48
	s_mov_b32 s7, exec_lo
	s_delay_alu instid0(VALU_DEP_2) | instskip(SKIP_2) | instid1(VALU_DEP_3)
	v_and_b32_e32 v62, 0x7f800000, v4
	v_and_b32_e32 v2, 0x7fffff, v4
	v_lshrrev_b32_e32 v5, 24, v4
	v_cmpx_ne_u64_e32 0x7f800000, v[62:63]
	s_xor_b32 s28, exec_lo, s7
	s_cbranch_execz .LBB6_12411
; %bb.12398:                            ;   in Loop: Header=BB6_8449 Depth=2
	v_and_b32_e32 v62, 0x7fffffff, v4
	v_mov_b32_e32 v63, v1
	v_and_b32_e32 v51, 0x80, v5
                                        ; implicit-def: $vgpr48
	s_mov_b32 s7, exec_lo
	s_delay_alu instid0(VALU_DEP_2)
	v_cmpx_gt_u64_e32 0x47600001, v[62:63]
	s_xor_b32 s29, exec_lo, s7
	s_cbranch_execz .LBB6_12408
; %bb.12399:                            ;   in Loop: Header=BB6_8449 Depth=2
	v_mov_b32_e32 v48, 0
	s_mov_b32 s40, exec_lo
	v_cmpx_ne_u32_e32 0, v4
	s_cbranch_execz .LBB6_12407
; %bb.12400:                            ;   in Loop: Header=BB6_8449 Depth=2
	v_bfe_u32 v48, v4, 23, 8
	v_or_b32_e32 v5, 0x800000, v2
	s_delay_alu instid0(VALU_DEP_2) | instskip(SKIP_2) | instid1(VALU_DEP_2)
	v_cmp_gt_u32_e64 s7, 0x72, v48
	v_sub_nc_u32_e32 v4, 0x71, v48
	v_cmp_eq_u32_e32 vcc_lo, 0, v48
	v_dual_cndmask_b32 v4, 0, v4, s7 :: v_dual_cndmask_b32 v2, v5, v2, vcc_lo
	s_delay_alu instid0(VALU_DEP_1) | instskip(NEXT) | instid1(VALU_DEP_1)
	v_cndmask_b32_e64 v54, v4, 0x70, vcc_lo
	v_dual_add_nc_u32 v4, 21, v54 :: v_dual_add_nc_u32 v67, 20, v54
	s_delay_alu instid0(VALU_DEP_1) | instskip(NEXT) | instid1(VALU_DEP_2)
	v_lshlrev_b64_e64 v[4:5], v4, -1
	v_lshlrev_b64_e64 v[62:63], v67, 1
	s_delay_alu instid0(VALU_DEP_2) | instskip(SKIP_1) | instid1(VALU_DEP_4)
	v_bfi_b32 v4, v4, 0, v2
	v_lshrrev_b64 v[2:3], v54, v[2:3]
	v_bfi_b32 v5, v5, 0, 0
	s_delay_alu instid0(VALU_DEP_1) | instskip(NEXT) | instid1(VALU_DEP_3)
	v_cmp_eq_u64_e64 s7, v[4:5], v[62:63]
	v_mov_b64_e32 v[4:5], v[2:3]
	s_and_saveexec_b32 s41, s7
; %bb.12401:                            ;   in Loop: Header=BB6_8449 Depth=2
	v_bfe_u32 v4, v2, 21, 1
	v_mov_b32_e32 v5, v1
	s_delay_alu instid0(VALU_DEP_1) | instskip(NEXT) | instid1(VALU_DEP_1)
	v_add_nc_u64_e32 v[4:5], v[2:3], v[4:5]
	v_add_nc_u64_e32 v[4:5], -1, v[4:5]
; %bb.12402:                            ;   in Loop: Header=BB6_8449 Depth=2
	s_or_b32 exec_lo, exec_lo, s41
	v_add_nc_u32_e32 v3, 0xffffff81, v48
	v_lshrrev_b32_e32 v5, 23, v2
	s_mov_b32 s7, exec_lo
	s_delay_alu instid0(VALU_DEP_2) | instskip(NEXT) | instid1(VALU_DEP_1)
	v_cndmask_b32_e64 v3, v3, 0xffffff82, vcc_lo
	v_add3_u32 v48, v54, v3, v5
	v_and_b32_e32 v3, 0x1fffff, v4
                                        ; implicit-def: $vgpr4
	s_delay_alu instid0(VALU_DEP_1) | instskip(SKIP_1) | instid1(VALU_DEP_2)
	v_dual_add_nc_u32 v5, 14, v48 :: v_dual_add_nc_u32 v2, v3, v2
	v_mov_b32_e32 v3, v1
	v_cmpx_ne_u32_e32 0, v5
	s_xor_b32 s7, exec_lo, s7
; %bb.12403:                            ;   in Loop: Header=BB6_8449 Depth=2
	s_delay_alu instid0(VALU_DEP_2) | instskip(SKIP_1) | instid1(VALU_DEP_1)
	v_cmp_lt_u64_e32 vcc_lo, 0xffffff, v[2:3]
	v_add_nc_u32_e32 v4, 15, v48
	v_cndmask_b32_e32 v4, v5, v4, vcc_lo
	v_cndmask_b32_e64 v5, 0, 1, vcc_lo
	s_delay_alu instid0(VALU_DEP_1)
	v_lshrrev_b64 v[2:3], v5, v[2:3]
; %bb.12404:                            ;   in Loop: Header=BB6_8449 Depth=2
	s_and_not1_saveexec_b32 s7, s7
; %bb.12405:                            ;   in Loop: Header=BB6_8449 Depth=2
	s_delay_alu instid0(VALU_DEP_1)
	v_bfe_u32 v4, v2, 23, 1
; %bb.12406:                            ;   in Loop: Header=BB6_8449 Depth=2
	s_or_b32 exec_lo, exec_lo, s7
	s_delay_alu instid0(VALU_DEP_2) | instskip(NEXT) | instid1(VALU_DEP_2)
	v_lshrrev_b64 v[2:3], 21, v[2:3]
	v_cmp_gt_i32_e32 vcc_lo, 32, v4
	v_min_i32_e32 v5, 31, v4
	v_cmp_eq_u32_e64 s7, 0, v4
	s_delay_alu instid0(VALU_DEP_2) | instskip(SKIP_1) | instid1(VALU_DEP_2)
	v_dual_cndmask_b32 v3, 0, v3, vcc_lo :: v_dual_lshlrev_b32 v5, 2, v5
	v_cndmask_b32_e32 v2, 3, v2, vcc_lo
	v_and_b32_e32 v5, 0xfc, v5
	s_delay_alu instid0(VALU_DEP_2) | instskip(NEXT) | instid1(VALU_DEP_2)
	v_cmp_eq_u64_e32 vcc_lo, 0, v[2:3]
	v_and_or_b32 v2, v2, 3, v5
	s_and_b32 s7, s7, vcc_lo
	s_delay_alu instid0(VALU_DEP_1) | instid1(SALU_CYCLE_1)
	v_cndmask_b32_e64 v2, v2, 0, s7
	s_delay_alu instid0(VALU_DEP_1)
	v_or_b32_e32 v48, v2, v51
.LBB6_12407:                            ;   in Loop: Header=BB6_8449 Depth=2
	s_or_b32 exec_lo, exec_lo, s40
                                        ; implicit-def: $vgpr51
.LBB6_12408:                            ;   in Loop: Header=BB6_8449 Depth=2
	s_and_not1_saveexec_b32 s7, s29
; %bb.12409:                            ;   in Loop: Header=BB6_8449 Depth=2
	v_or_b32_e32 v48, 0x7b, v51
; %bb.12410:                            ;   in Loop: Header=BB6_8449 Depth=2
	s_or_b32 exec_lo, exec_lo, s7
                                        ; implicit-def: $vgpr4
                                        ; implicit-def: $vgpr2_vgpr3
                                        ; implicit-def: $vgpr5
.LBB6_12411:                            ;   in Loop: Header=BB6_8449 Depth=2
	s_and_not1_saveexec_b32 s7, s28
	s_cbranch_execz .LBB6_12417
; %bb.12412:                            ;   in Loop: Header=BB6_8449 Depth=2
	s_mov_b32 s28, exec_lo
                                        ; implicit-def: $vgpr48
	v_cmpx_ne_u64_e32 0, v[2:3]
	s_xor_b32 s28, exec_lo, s28
; %bb.12413:                            ;   in Loop: Header=BB6_8449 Depth=2
	v_or_b32_e32 v48, 0x7f, v5
                                        ; implicit-def: $vgpr4
; %bb.12414:                            ;   in Loop: Header=BB6_8449 Depth=2
	s_and_not1_saveexec_b32 s28, s28
; %bb.12415:                            ;   in Loop: Header=BB6_8449 Depth=2
	v_cmp_lt_i32_e32 vcc_lo, -1, v4
	v_mov_b32_e32 v2, 0x7c
	s_delay_alu instid0(VALU_DEP_1)
	v_cndmask_b32_e32 v48, 0xfc, v2, vcc_lo
; %bb.12416:                            ;   in Loop: Header=BB6_8449 Depth=2
	s_or_b32 exec_lo, exec_lo, s28
.LBB6_12417:                            ;   in Loop: Header=BB6_8449 Depth=2
	s_delay_alu instid0(SALU_CYCLE_1)
	s_or_b32 exec_lo, exec_lo, s7
	v_dual_mov_b32 v3, 0 :: v_dual_mov_b32 v4, 0
	s_mov_b32 s28, exec_lo
	v_cmpx_lt_u32_e32 0xffffff, v0
	s_cbranch_execz .LBB6_12427
; %bb.12418:                            ;   in Loop: Header=BB6_8449 Depth=2
	v_lshrrev_b32_e32 v2, 24, v0
	v_bfrev_b32_e32 v4, 1
	s_mov_b32 s29, exec_lo
	s_delay_alu instid0(VALU_DEP_2)
	v_cmpx_ne_u32_e32 0x80, v2
	s_cbranch_execz .LBB6_12426
; %bb.12419:                            ;   in Loop: Header=BB6_8449 Depth=2
	v_and_b32_e32 v4, 0x7c000000, v0
	v_bfe_u32 v5, v0, 24, 2
	s_delay_alu instid0(VALU_DEP_2) | instskip(SKIP_1) | instid1(SALU_CYCLE_1)
	v_cmp_ne_u32_e32 vcc_lo, 0x7c000000, v4
                                        ; implicit-def: $vgpr4
	s_and_saveexec_b32 s7, vcc_lo
	s_xor_b32 s7, exec_lo, s7
	s_cbranch_execz .LBB6_12423
; %bb.12420:                            ;   in Loop: Header=BB6_8449 Depth=2
	v_bfe_u32 v4, v0, 26, 5
	s_mov_b32 s40, exec_lo
	s_delay_alu instid0(VALU_DEP_1)
	v_cmpx_eq_u32_e32 0, v4
; %bb.12421:                            ;   in Loop: Header=BB6_8449 Depth=2
	v_clz_i32_u32_e32 v4, v5
	s_delay_alu instid0(VALU_DEP_1) | instskip(NEXT) | instid1(VALU_DEP_1)
	v_min_u32_e32 v4, 32, v4
	v_subrev_nc_u32_e32 v5, 29, v4
	s_delay_alu instid0(VALU_DEP_1) | instskip(NEXT) | instid1(VALU_DEP_1)
	v_lshlrev_b64_e32 v[62:63], v5, v[2:3]
	v_dual_sub_nc_u32 v4, 30, v4 :: v_dual_bitop2_b32 v5, 3, v62 bitop3:0x40
; %bb.12422:                            ;   in Loop: Header=BB6_8449 Depth=2
	s_or_b32 exec_lo, exec_lo, s40
	v_and_b32_e32 v0, 0x80000000, v0
	s_delay_alu instid0(VALU_DEP_1) | instskip(NEXT) | instid1(VALU_DEP_1)
	v_lshl_add_u32 v0, v4, 23, v0
	v_lshl_or_b32 v0, v5, 21, v0
                                        ; implicit-def: $vgpr5
	s_delay_alu instid0(VALU_DEP_1)
	v_add_nc_u32_e32 v4, 0x38000000, v0
.LBB6_12423:                            ;   in Loop: Header=BB6_8449 Depth=2
	s_and_not1_saveexec_b32 s40, s7
; %bb.12424:                            ;   in Loop: Header=BB6_8449 Depth=2
	v_cmp_lt_i32_e64 s7, -1, v0
	v_mov_b32_e32 v0, 0x7f800000
	v_cmp_eq_u32_e32 vcc_lo, 0, v5
	s_delay_alu instid0(VALU_DEP_2) | instskip(NEXT) | instid1(VALU_DEP_1)
	v_cndmask_b32_e64 v0, 0xff800000, v0, s7
	v_cndmask_b32_e32 v4, 0x7f800001, v0, vcc_lo
; %bb.12425:                            ;   in Loop: Header=BB6_8449 Depth=2
	s_or_b32 exec_lo, exec_lo, s40
.LBB6_12426:                            ;   in Loop: Header=BB6_8449 Depth=2
	s_delay_alu instid0(SALU_CYCLE_1)
	s_or_b32 exec_lo, exec_lo, s29
.LBB6_12427:                            ;   in Loop: Header=BB6_8449 Depth=2
	s_delay_alu instid0(SALU_CYCLE_1) | instskip(NEXT) | instid1(SALU_CYCLE_1)
	s_or_b32 exec_lo, exec_lo, s28
	s_mov_b32 s28, exec_lo
	v_cmpx_lt_u32_e32 0xffffff, v10
	s_cbranch_execz .LBB6_12437
; %bb.12428:                            ;   in Loop: Header=BB6_8449 Depth=2
	v_lshrrev_b32_e32 v0, 24, v10
	v_bfrev_b32_e32 v3, 1
	s_mov_b32 s29, exec_lo
	s_delay_alu instid0(VALU_DEP_2)
	v_cmpx_ne_u32_e32 0x80, v0
	s_cbranch_execz .LBB6_12436
; %bb.12429:                            ;   in Loop: Header=BB6_8449 Depth=2
	v_and_b32_e32 v3, 0x7c000000, v10
	v_bfe_u32 v2, v10, 24, 2
	s_delay_alu instid0(VALU_DEP_2) | instskip(SKIP_1) | instid1(SALU_CYCLE_1)
	v_cmp_ne_u32_e32 vcc_lo, 0x7c000000, v3
                                        ; implicit-def: $vgpr3
	s_and_saveexec_b32 s7, vcc_lo
	s_xor_b32 s7, exec_lo, s7
	s_cbranch_execz .LBB6_12433
; %bb.12430:                            ;   in Loop: Header=BB6_8449 Depth=2
	v_bfe_u32 v3, v10, 26, 5
	s_mov_b32 s40, exec_lo
	s_delay_alu instid0(VALU_DEP_1)
	v_cmpx_eq_u32_e32 0, v3
; %bb.12431:                            ;   in Loop: Header=BB6_8449 Depth=2
	v_clz_i32_u32_e32 v2, v2
	s_delay_alu instid0(VALU_DEP_1) | instskip(NEXT) | instid1(VALU_DEP_1)
	v_min_u32_e32 v5, 32, v2
	v_subrev_nc_u32_e32 v2, 29, v5
	s_delay_alu instid0(VALU_DEP_1) | instskip(NEXT) | instid1(VALU_DEP_1)
	v_lshlrev_b64_e32 v[2:3], v2, v[0:1]
	v_dual_sub_nc_u32 v3, 30, v5 :: v_dual_bitop2_b32 v2, 3, v2 bitop3:0x40
; %bb.12432:                            ;   in Loop: Header=BB6_8449 Depth=2
	s_or_b32 exec_lo, exec_lo, s40
	v_and_b32_e32 v0, 0x80000000, v10
	s_delay_alu instid0(VALU_DEP_1) | instskip(NEXT) | instid1(VALU_DEP_1)
	v_lshl_add_u32 v0, v3, 23, v0
	v_lshl_or_b32 v0, v2, 21, v0
                                        ; implicit-def: $vgpr2
	s_delay_alu instid0(VALU_DEP_1)
	v_add_nc_u32_e32 v3, 0x38000000, v0
.LBB6_12433:                            ;   in Loop: Header=BB6_8449 Depth=2
	s_and_not1_saveexec_b32 s40, s7
; %bb.12434:                            ;   in Loop: Header=BB6_8449 Depth=2
	v_cmp_lt_i32_e64 s7, -1, v10
	v_mov_b32_e32 v0, 0x7f800000
	v_cmp_eq_u32_e32 vcc_lo, 0, v2
	s_delay_alu instid0(VALU_DEP_2) | instskip(NEXT) | instid1(VALU_DEP_1)
	v_cndmask_b32_e64 v0, 0xff800000, v0, s7
	v_cndmask_b32_e32 v3, 0x7f800001, v0, vcc_lo
; %bb.12435:                            ;   in Loop: Header=BB6_8449 Depth=2
	s_or_b32 exec_lo, exec_lo, s40
.LBB6_12436:                            ;   in Loop: Header=BB6_8449 Depth=2
	s_delay_alu instid0(SALU_CYCLE_1)
	s_or_b32 exec_lo, exec_lo, s29
.LBB6_12437:                            ;   in Loop: Header=BB6_8449 Depth=2
	s_delay_alu instid0(SALU_CYCLE_1) | instskip(NEXT) | instid1(VALU_DEP_1)
	s_or_b32 exec_lo, exec_lo, s28
	v_dual_add_f32 v2, v4, v3 :: v_dual_mov_b32 v5, v1
                                        ; implicit-def: $vgpr51
	s_mov_b32 s7, exec_lo
	s_delay_alu instid0(VALU_DEP_1) | instskip(SKIP_2) | instid1(VALU_DEP_3)
	v_and_b32_e32 v4, 0x7f800000, v2
	v_and_b32_e32 v0, 0x7fffff, v2
	v_lshrrev_b32_e32 v3, 24, v2
	v_cmpx_ne_u64_e32 0x7f800000, v[4:5]
	s_xor_b32 s28, exec_lo, s7
	s_cbranch_execz .LBB6_12451
; %bb.12438:                            ;   in Loop: Header=BB6_8449 Depth=2
	v_and_b32_e32 v4, 0x7fffffff, v2
	v_mov_b32_e32 v5, v1
	v_and_b32_e32 v54, 0x80, v3
                                        ; implicit-def: $vgpr51
	s_mov_b32 s7, exec_lo
	s_delay_alu instid0(VALU_DEP_2)
	v_cmpx_gt_u64_e32 0x47600001, v[4:5]
	s_xor_b32 s29, exec_lo, s7
	s_cbranch_execz .LBB6_12448
; %bb.12439:                            ;   in Loop: Header=BB6_8449 Depth=2
	v_mov_b32_e32 v51, 0
	s_mov_b32 s40, exec_lo
	v_cmpx_ne_u32_e32 0, v2
	s_cbranch_execz .LBB6_12447
; %bb.12440:                            ;   in Loop: Header=BB6_8449 Depth=2
	v_bfe_u32 v51, v2, 23, 8
	v_or_b32_e32 v3, 0x800000, v0
	s_delay_alu instid0(VALU_DEP_2) | instskip(SKIP_2) | instid1(VALU_DEP_2)
	v_cmp_gt_u32_e64 s7, 0x72, v51
	v_sub_nc_u32_e32 v2, 0x71, v51
	v_cmp_eq_u32_e32 vcc_lo, 0, v51
	v_cndmask_b32_e64 v2, 0, v2, s7
	s_delay_alu instid0(VALU_DEP_1) | instskip(SKIP_1) | instid1(VALU_DEP_2)
	v_cndmask_b32_e64 v67, v2, 0x70, vcc_lo
	v_dual_cndmask_b32 v2, v3, v0 :: v_dual_mov_b32 v3, v1
	v_add_nc_u32_e32 v0, 21, v67
	s_delay_alu instid0(VALU_DEP_1) | instskip(SKIP_1) | instid1(VALU_DEP_1)
	v_lshlrev_b64_e64 v[4:5], v0, -1
	v_add_nc_u32_e32 v0, 20, v67
	v_lshlrev_b64_e64 v[62:63], v0, 1
	s_delay_alu instid0(VALU_DEP_3) | instskip(SKIP_2) | instid1(VALU_DEP_1)
	v_bfi_b32 v4, v4, 0, v2
	v_lshrrev_b64 v[2:3], v67, v[2:3]
	v_bfi_b32 v5, v5, 0, 0
	v_cmp_eq_u64_e64 s7, v[4:5], v[62:63]
	s_delay_alu instid0(VALU_DEP_3)
	v_mov_b64_e32 v[4:5], v[2:3]
	s_and_saveexec_b32 s41, s7
; %bb.12441:                            ;   in Loop: Header=BB6_8449 Depth=2
	v_bfe_u32 v4, v2, 21, 1
	v_mov_b32_e32 v5, v1
	s_delay_alu instid0(VALU_DEP_1) | instskip(NEXT) | instid1(VALU_DEP_1)
	v_add_nc_u64_e32 v[4:5], v[2:3], v[4:5]
	v_add_nc_u64_e32 v[4:5], -1, v[4:5]
; %bb.12442:                            ;   in Loop: Header=BB6_8449 Depth=2
	s_or_b32 exec_lo, exec_lo, s41
	v_add_nc_u32_e32 v0, 0xffffff81, v51
	s_delay_alu instid0(VALU_DEP_2) | instskip(SKIP_2) | instid1(VALU_DEP_3)
	v_and_b32_e32 v4, 0x1fffff, v4
	v_lshrrev_b32_e32 v3, 23, v2
	s_mov_b32 s7, exec_lo
	v_cndmask_b32_e64 v0, v0, 0xffffff82, vcc_lo
	s_delay_alu instid0(VALU_DEP_1) | instskip(SKIP_1) | instid1(VALU_DEP_2)
	v_add3_u32 v51, v67, v0, v3
	v_add_nc_u32_e32 v0, v4, v2
                                        ; implicit-def: $vgpr2_vgpr3
                                        ; implicit-def: $vgpr4
	v_add_nc_u32_e32 v5, 14, v51
	s_delay_alu instid0(VALU_DEP_1)
	v_cmpx_ne_u32_e32 0, v5
	s_xor_b32 s7, exec_lo, s7
; %bb.12443:                            ;   in Loop: Header=BB6_8449 Depth=2
	s_delay_alu instid0(VALU_DEP_3) | instskip(SKIP_1) | instid1(VALU_DEP_1)
	v_cmp_lt_u64_e32 vcc_lo, 0xffffff, v[0:1]
	v_add_nc_u32_e32 v2, 15, v51
	v_cndmask_b32_e32 v4, v5, v2, vcc_lo
	v_cndmask_b32_e64 v2, 0, 1, vcc_lo
	s_delay_alu instid0(VALU_DEP_1)
	v_lshrrev_b64 v[2:3], v2, v[0:1]
; %bb.12444:                            ;   in Loop: Header=BB6_8449 Depth=2
	s_and_not1_saveexec_b32 s7, s7
; %bb.12445:                            ;   in Loop: Header=BB6_8449 Depth=2
	v_mov_b64_e32 v[2:3], v[0:1]
	v_bfe_u32 v4, v0, 23, 1
; %bb.12446:                            ;   in Loop: Header=BB6_8449 Depth=2
	s_or_b32 exec_lo, exec_lo, s7
	s_delay_alu instid0(VALU_DEP_2) | instskip(NEXT) | instid1(VALU_DEP_2)
	v_lshrrev_b64 v[2:3], 21, v[2:3]
	v_cmp_gt_i32_e32 vcc_lo, 32, v4
	v_min_i32_e32 v0, 31, v4
	v_cmp_eq_u32_e64 s7, 0, v4
	s_delay_alu instid0(VALU_DEP_2) | instskip(SKIP_1) | instid1(VALU_DEP_2)
	v_dual_cndmask_b32 v3, 0, v3 :: v_dual_lshlrev_b32 v0, 2, v0
	v_cndmask_b32_e32 v2, 3, v2, vcc_lo
	v_and_b32_e32 v0, 0xfc, v0
	s_delay_alu instid0(VALU_DEP_2) | instskip(NEXT) | instid1(VALU_DEP_2)
	v_cmp_eq_u64_e32 vcc_lo, 0, v[2:3]
	v_and_or_b32 v0, v2, 3, v0
	s_and_b32 s7, s7, vcc_lo
	s_delay_alu instid0(VALU_DEP_1) | instid1(SALU_CYCLE_1)
	v_cndmask_b32_e64 v0, v0, 0, s7
	s_delay_alu instid0(VALU_DEP_1)
	v_or_b32_e32 v51, v0, v54
.LBB6_12447:                            ;   in Loop: Header=BB6_8449 Depth=2
	s_or_b32 exec_lo, exec_lo, s40
                                        ; implicit-def: $vgpr54
.LBB6_12448:                            ;   in Loop: Header=BB6_8449 Depth=2
	s_and_not1_saveexec_b32 s7, s29
; %bb.12449:                            ;   in Loop: Header=BB6_8449 Depth=2
	v_or_b32_e32 v51, 0x7b, v54
; %bb.12450:                            ;   in Loop: Header=BB6_8449 Depth=2
	s_or_b32 exec_lo, exec_lo, s7
                                        ; implicit-def: $vgpr2
                                        ; implicit-def: $vgpr3
.LBB6_12451:                            ;   in Loop: Header=BB6_8449 Depth=2
	s_and_not1_saveexec_b32 s7, s28
	s_cbranch_execz .LBB6_12457
; %bb.12452:                            ;   in Loop: Header=BB6_8449 Depth=2
	s_mov_b32 s28, exec_lo
                                        ; implicit-def: $vgpr51
	v_cmpx_ne_u64_e32 0, v[0:1]
	s_xor_b32 s28, exec_lo, s28
; %bb.12453:                            ;   in Loop: Header=BB6_8449 Depth=2
	v_or_b32_e32 v51, 0x7f, v3
                                        ; implicit-def: $vgpr2
; %bb.12454:                            ;   in Loop: Header=BB6_8449 Depth=2
	s_and_not1_saveexec_b32 s28, s28
; %bb.12455:                            ;   in Loop: Header=BB6_8449 Depth=2
	v_cmp_lt_i32_e32 vcc_lo, -1, v2
	v_mov_b32_e32 v0, 0x7c
	s_delay_alu instid0(VALU_DEP_1)
	v_cndmask_b32_e32 v51, 0xfc, v0, vcc_lo
; %bb.12456:                            ;   in Loop: Header=BB6_8449 Depth=2
	s_or_b32 exec_lo, exec_lo, s28
.LBB6_12457:                            ;   in Loop: Header=BB6_8449 Depth=2
	s_delay_alu instid0(SALU_CYCLE_1) | instskip(SKIP_4) | instid1(VALU_DEP_1)
	s_or_b32 exec_lo, exec_lo, s7
	v_lshl_or_b32 v35, v35, 8, v30
	v_dual_mov_b32 v3, 0 :: v_dual_lshlrev_b32 v0, 16, v38
	v_lshlrev_b32_e32 v2, 24, v50
	s_mov_b32 s28, exec_lo
	v_or3_b32 v0, v0, v2, v35
	v_mov_b32_e32 v2, 0
	v_cmpx_ne_u32_e32 0, v30
	s_cbranch_execz .LBB6_12467
; %bb.12458:                            ;   in Loop: Header=BB6_8449 Depth=2
	v_bfrev_b32_e32 v2, 1
	s_mov_b32 s29, exec_lo
	v_cmpx_ne_u32_e32 0x80, v30
	s_cbranch_execz .LBB6_12466
; %bb.12459:                            ;   in Loop: Header=BB6_8449 Depth=2
	v_and_b32_e32 v2, 0x7c, v30
	v_and_b32_e32 v4, 3, v30
	s_delay_alu instid0(VALU_DEP_2) | instskip(SKIP_1) | instid1(SALU_CYCLE_1)
	v_cmp_ne_u32_e32 vcc_lo, 0x7c, v2
                                        ; implicit-def: $vgpr2
	s_and_saveexec_b32 s7, vcc_lo
	s_xor_b32 s7, exec_lo, s7
	s_cbranch_execz .LBB6_12463
; %bb.12460:                            ;   in Loop: Header=BB6_8449 Depth=2
	v_bfe_u32 v2, v30, 2, 5
	s_mov_b32 s40, exec_lo
	s_delay_alu instid0(VALU_DEP_1)
	v_cmpx_eq_u32_e32 0, v2
; %bb.12461:                            ;   in Loop: Header=BB6_8449 Depth=2
	v_clz_i32_u32_e32 v2, v4
	s_delay_alu instid0(VALU_DEP_1) | instskip(NEXT) | instid1(VALU_DEP_1)
	v_min_u32_e32 v2, 32, v2
	v_subrev_nc_u32_e32 v4, 29, v2
	s_delay_alu instid0(VALU_DEP_1) | instskip(NEXT) | instid1(VALU_DEP_1)
	v_lshlrev_b64_e32 v[4:5], v4, v[0:1]
	v_dual_sub_nc_u32 v2, 30, v2 :: v_dual_bitop2_b32 v4, 3, v4 bitop3:0x40
; %bb.12462:                            ;   in Loop: Header=BB6_8449 Depth=2
	s_or_b32 exec_lo, exec_lo, s40
	v_lshlrev_b32_e32 v5, 24, v30
                                        ; implicit-def: $vgpr30
	s_delay_alu instid0(VALU_DEP_1) | instskip(NEXT) | instid1(VALU_DEP_1)
	v_and_b32_e32 v5, 0x80000000, v5
	v_lshl_add_u32 v2, v2, 23, v5
	s_delay_alu instid0(VALU_DEP_1) | instskip(NEXT) | instid1(VALU_DEP_1)
	v_lshl_or_b32 v2, v4, 21, v2
                                        ; implicit-def: $vgpr4
	v_add_nc_u32_e32 v2, 0x38000000, v2
.LBB6_12463:                            ;   in Loop: Header=BB6_8449 Depth=2
	s_and_not1_saveexec_b32 s40, s7
; %bb.12464:                            ;   in Loop: Header=BB6_8449 Depth=2
	v_and_b32_e32 v2, 0x80, v30
	v_cmp_eq_u32_e32 vcc_lo, 0, v4
	s_delay_alu instid0(VALU_DEP_2) | instskip(SKIP_1) | instid1(VALU_DEP_1)
	v_cmp_eq_u32_e64 s7, 0, v2
	v_mov_b32_e32 v2, 0x7f800000
	v_cndmask_b32_e64 v2, 0xff800000, v2, s7
	s_delay_alu instid0(VALU_DEP_1)
	v_cndmask_b32_e32 v2, 0x7f800001, v2, vcc_lo
; %bb.12465:                            ;   in Loop: Header=BB6_8449 Depth=2
	s_or_b32 exec_lo, exec_lo, s40
.LBB6_12466:                            ;   in Loop: Header=BB6_8449 Depth=2
	s_delay_alu instid0(SALU_CYCLE_1)
	s_or_b32 exec_lo, exec_lo, s29
.LBB6_12467:                            ;   in Loop: Header=BB6_8449 Depth=2
	s_delay_alu instid0(SALU_CYCLE_1) | instskip(SKIP_2) | instid1(VALU_DEP_1)
	s_or_b32 exec_lo, exec_lo, s28
	v_and_b32_e32 v4, 0xff, v11
	s_mov_b32 s28, exec_lo
	v_cmpx_ne_u16_e32 0, v4
	s_cbranch_execz .LBB6_12477
; %bb.12468:                            ;   in Loop: Header=BB6_8449 Depth=2
	v_bfrev_b32_e32 v3, 1
	s_mov_b32 s29, exec_lo
	v_cmpx_ne_u16_e32 0x80, v4
	s_cbranch_execz .LBB6_12476
; %bb.12469:                            ;   in Loop: Header=BB6_8449 Depth=2
	v_and_b32_e32 v3, 0x7c, v11
	v_and_b32_e32 v4, 3, v11
	s_delay_alu instid0(VALU_DEP_2) | instskip(SKIP_1) | instid1(SALU_CYCLE_1)
	v_cmp_ne_u32_e32 vcc_lo, 0x7c, v3
                                        ; implicit-def: $vgpr3
	s_and_saveexec_b32 s7, vcc_lo
	s_xor_b32 s7, exec_lo, s7
	s_cbranch_execz .LBB6_12473
; %bb.12470:                            ;   in Loop: Header=BB6_8449 Depth=2
	v_bfe_u32 v3, v11, 2, 5
	s_mov_b32 s40, exec_lo
	s_delay_alu instid0(VALU_DEP_1)
	v_cmpx_eq_u32_e32 0, v3
; %bb.12471:                            ;   in Loop: Header=BB6_8449 Depth=2
	v_clz_i32_u32_e32 v3, v4
	v_dual_mov_b32 v4, v11 :: v_dual_mov_b32 v5, v1
	s_delay_alu instid0(VALU_DEP_2) | instskip(NEXT) | instid1(VALU_DEP_1)
	v_min_u32_e32 v3, 32, v3
	v_subrev_nc_u32_e32 v30, 29, v3
	s_delay_alu instid0(VALU_DEP_1) | instskip(NEXT) | instid1(VALU_DEP_1)
	v_lshlrev_b64_e32 v[4:5], v30, v[4:5]
	v_dual_sub_nc_u32 v3, 30, v3 :: v_dual_bitop2_b32 v4, 3, v4 bitop3:0x40
; %bb.12472:                            ;   in Loop: Header=BB6_8449 Depth=2
	s_or_b32 exec_lo, exec_lo, s40
	v_lshlrev_b32_e32 v5, 24, v11
	s_delay_alu instid0(VALU_DEP_1) | instskip(NEXT) | instid1(VALU_DEP_1)
	v_and_b32_e32 v5, 0x80000000, v5
	v_lshl_add_u32 v3, v3, 23, v5
	s_delay_alu instid0(VALU_DEP_1) | instskip(NEXT) | instid1(VALU_DEP_1)
	v_lshl_or_b32 v3, v4, 21, v3
                                        ; implicit-def: $vgpr4
	v_add_nc_u32_e32 v3, 0x38000000, v3
.LBB6_12473:                            ;   in Loop: Header=BB6_8449 Depth=2
	s_and_not1_saveexec_b32 s40, s7
; %bb.12474:                            ;   in Loop: Header=BB6_8449 Depth=2
	v_bfe_i32 v3, v11, 0, 8
	v_cmp_eq_u32_e32 vcc_lo, 0, v4
	s_delay_alu instid0(VALU_DEP_2) | instskip(SKIP_1) | instid1(VALU_DEP_1)
	v_cmp_lt_i16_e64 s7, -1, v3
	v_mov_b32_e32 v3, 0x7f800000
	v_cndmask_b32_e64 v3, 0xff800000, v3, s7
	s_delay_alu instid0(VALU_DEP_1)
	v_cndmask_b32_e32 v3, 0x7f800001, v3, vcc_lo
; %bb.12475:                            ;   in Loop: Header=BB6_8449 Depth=2
	s_or_b32 exec_lo, exec_lo, s40
.LBB6_12476:                            ;   in Loop: Header=BB6_8449 Depth=2
	s_delay_alu instid0(SALU_CYCLE_1)
	s_or_b32 exec_lo, exec_lo, s29
.LBB6_12477:                            ;   in Loop: Header=BB6_8449 Depth=2
	s_delay_alu instid0(SALU_CYCLE_1) | instskip(NEXT) | instid1(VALU_DEP_1)
	s_or_b32 exec_lo, exec_lo, s28
	v_dual_add_f32 v4, v2, v3 :: v_dual_mov_b32 v63, v1
	v_mov_b32_e32 v3, v1
                                        ; implicit-def: $vgpr30
	s_mov_b32 s7, exec_lo
	s_delay_alu instid0(VALU_DEP_2) | instskip(SKIP_2) | instid1(VALU_DEP_3)
	v_and_b32_e32 v62, 0x7f800000, v4
	v_and_b32_e32 v2, 0x7fffff, v4
	v_lshrrev_b32_e32 v5, 24, v4
	v_cmpx_ne_u64_e32 0x7f800000, v[62:63]
	s_xor_b32 s28, exec_lo, s7
	s_cbranch_execz .LBB6_12491
; %bb.12478:                            ;   in Loop: Header=BB6_8449 Depth=2
	v_and_b32_e32 v62, 0x7fffffff, v4
	v_mov_b32_e32 v63, v1
	v_and_b32_e32 v38, 0x80, v5
                                        ; implicit-def: $vgpr30
	s_mov_b32 s7, exec_lo
	s_delay_alu instid0(VALU_DEP_2)
	v_cmpx_gt_u64_e32 0x47600001, v[62:63]
	s_xor_b32 s29, exec_lo, s7
	s_cbranch_execz .LBB6_12488
; %bb.12479:                            ;   in Loop: Header=BB6_8449 Depth=2
	v_mov_b32_e32 v30, 0
	s_mov_b32 s40, exec_lo
	v_cmpx_ne_u32_e32 0, v4
	s_cbranch_execz .LBB6_12487
; %bb.12480:                            ;   in Loop: Header=BB6_8449 Depth=2
	v_bfe_u32 v30, v4, 23, 8
	v_or_b32_e32 v5, 0x800000, v2
	s_delay_alu instid0(VALU_DEP_2) | instskip(SKIP_2) | instid1(VALU_DEP_2)
	v_cmp_gt_u32_e64 s7, 0x72, v30
	v_sub_nc_u32_e32 v4, 0x71, v30
	v_cmp_eq_u32_e32 vcc_lo, 0, v30
	v_dual_cndmask_b32 v4, 0, v4, s7 :: v_dual_cndmask_b32 v2, v5, v2, vcc_lo
	s_delay_alu instid0(VALU_DEP_1) | instskip(NEXT) | instid1(VALU_DEP_1)
	v_cndmask_b32_e64 v50, v4, 0x70, vcc_lo
	v_dual_add_nc_u32 v4, 21, v50 :: v_dual_add_nc_u32 v54, 20, v50
	s_delay_alu instid0(VALU_DEP_1) | instskip(NEXT) | instid1(VALU_DEP_2)
	v_lshlrev_b64_e64 v[4:5], v4, -1
	v_lshlrev_b64_e64 v[62:63], v54, 1
	s_delay_alu instid0(VALU_DEP_2) | instskip(SKIP_1) | instid1(VALU_DEP_4)
	v_bfi_b32 v4, v4, 0, v2
	v_lshrrev_b64 v[2:3], v50, v[2:3]
	v_bfi_b32 v5, v5, 0, 0
	s_delay_alu instid0(VALU_DEP_1) | instskip(NEXT) | instid1(VALU_DEP_3)
	v_cmp_eq_u64_e64 s7, v[4:5], v[62:63]
	v_mov_b64_e32 v[4:5], v[2:3]
	s_and_saveexec_b32 s41, s7
; %bb.12481:                            ;   in Loop: Header=BB6_8449 Depth=2
	v_bfe_u32 v4, v2, 21, 1
	v_mov_b32_e32 v5, v1
	s_delay_alu instid0(VALU_DEP_1) | instskip(NEXT) | instid1(VALU_DEP_1)
	v_add_nc_u64_e32 v[4:5], v[2:3], v[4:5]
	v_add_nc_u64_e32 v[4:5], -1, v[4:5]
; %bb.12482:                            ;   in Loop: Header=BB6_8449 Depth=2
	s_or_b32 exec_lo, exec_lo, s41
	v_add_nc_u32_e32 v3, 0xffffff81, v30
	v_lshrrev_b32_e32 v5, 23, v2
	s_mov_b32 s7, exec_lo
	s_delay_alu instid0(VALU_DEP_2) | instskip(NEXT) | instid1(VALU_DEP_1)
	v_cndmask_b32_e64 v3, v3, 0xffffff82, vcc_lo
	v_add3_u32 v30, v50, v3, v5
	v_and_b32_e32 v3, 0x1fffff, v4
                                        ; implicit-def: $vgpr4
	s_delay_alu instid0(VALU_DEP_2) | instskip(NEXT) | instid1(VALU_DEP_2)
	v_add_nc_u32_e32 v5, 14, v30
	v_dual_mov_b32 v3, v1 :: v_dual_add_nc_u32 v2, v3, v2
	s_delay_alu instid0(VALU_DEP_2)
	v_cmpx_ne_u32_e32 0, v5
	s_xor_b32 s7, exec_lo, s7
; %bb.12483:                            ;   in Loop: Header=BB6_8449 Depth=2
	s_delay_alu instid0(VALU_DEP_2) | instskip(SKIP_1) | instid1(VALU_DEP_1)
	v_cmp_lt_u64_e32 vcc_lo, 0xffffff, v[2:3]
	v_add_nc_u32_e32 v4, 15, v30
	v_cndmask_b32_e32 v4, v5, v4, vcc_lo
	v_cndmask_b32_e64 v5, 0, 1, vcc_lo
	s_delay_alu instid0(VALU_DEP_1)
	v_lshrrev_b64 v[2:3], v5, v[2:3]
; %bb.12484:                            ;   in Loop: Header=BB6_8449 Depth=2
	s_and_not1_saveexec_b32 s7, s7
; %bb.12485:                            ;   in Loop: Header=BB6_8449 Depth=2
	s_delay_alu instid0(VALU_DEP_1)
	v_bfe_u32 v4, v2, 23, 1
; %bb.12486:                            ;   in Loop: Header=BB6_8449 Depth=2
	s_or_b32 exec_lo, exec_lo, s7
	s_delay_alu instid0(VALU_DEP_2) | instskip(NEXT) | instid1(VALU_DEP_2)
	v_lshrrev_b64 v[2:3], 21, v[2:3]
	v_cmp_gt_i32_e32 vcc_lo, 32, v4
	v_min_i32_e32 v5, 31, v4
	v_cmp_eq_u32_e64 s7, 0, v4
	s_delay_alu instid0(VALU_DEP_2) | instskip(SKIP_1) | instid1(VALU_DEP_2)
	v_dual_cndmask_b32 v3, 0, v3, vcc_lo :: v_dual_lshlrev_b32 v5, 2, v5
	v_cndmask_b32_e32 v2, 3, v2, vcc_lo
	v_and_b32_e32 v5, 0xfc, v5
	s_delay_alu instid0(VALU_DEP_2) | instskip(NEXT) | instid1(VALU_DEP_2)
	v_cmp_eq_u64_e32 vcc_lo, 0, v[2:3]
	v_and_or_b32 v2, v2, 3, v5
	s_and_b32 s7, s7, vcc_lo
	s_delay_alu instid0(VALU_DEP_1) | instid1(SALU_CYCLE_1)
	v_cndmask_b32_e64 v2, v2, 0, s7
	s_delay_alu instid0(VALU_DEP_1)
	v_or_b32_e32 v30, v2, v38
.LBB6_12487:                            ;   in Loop: Header=BB6_8449 Depth=2
	s_or_b32 exec_lo, exec_lo, s40
                                        ; implicit-def: $vgpr38
.LBB6_12488:                            ;   in Loop: Header=BB6_8449 Depth=2
	s_and_not1_saveexec_b32 s7, s29
; %bb.12489:                            ;   in Loop: Header=BB6_8449 Depth=2
	v_or_b32_e32 v30, 0x7b, v38
; %bb.12490:                            ;   in Loop: Header=BB6_8449 Depth=2
	s_or_b32 exec_lo, exec_lo, s7
                                        ; implicit-def: $vgpr4
                                        ; implicit-def: $vgpr2_vgpr3
                                        ; implicit-def: $vgpr5
.LBB6_12491:                            ;   in Loop: Header=BB6_8449 Depth=2
	s_and_not1_saveexec_b32 s7, s28
	s_cbranch_execz .LBB6_12497
; %bb.12492:                            ;   in Loop: Header=BB6_8449 Depth=2
	s_mov_b32 s28, exec_lo
                                        ; implicit-def: $vgpr30
	v_cmpx_ne_u64_e32 0, v[2:3]
	s_xor_b32 s28, exec_lo, s28
; %bb.12493:                            ;   in Loop: Header=BB6_8449 Depth=2
	v_or_b32_e32 v30, 0x7f, v5
                                        ; implicit-def: $vgpr4
; %bb.12494:                            ;   in Loop: Header=BB6_8449 Depth=2
	s_and_not1_saveexec_b32 s28, s28
; %bb.12495:                            ;   in Loop: Header=BB6_8449 Depth=2
	v_cmp_lt_i32_e32 vcc_lo, -1, v4
	v_mov_b32_e32 v2, 0x7c
	s_delay_alu instid0(VALU_DEP_1)
	v_cndmask_b32_e32 v30, 0xfc, v2, vcc_lo
; %bb.12496:                            ;   in Loop: Header=BB6_8449 Depth=2
	s_or_b32 exec_lo, exec_lo, s28
.LBB6_12497:                            ;   in Loop: Header=BB6_8449 Depth=2
	s_delay_alu instid0(SALU_CYCLE_1) | instskip(SKIP_3) | instid1(VALU_DEP_2)
	s_or_b32 exec_lo, exec_lo, s7
	v_lshrrev_b16 v2, 8, v35
	v_dual_mov_b32 v4, 0 :: v_dual_mov_b32 v5, 0
	s_mov_b32 s28, exec_lo
	v_cmpx_ne_u16_e32 0, v2
	s_cbranch_execz .LBB6_12507
; %bb.12498:                            ;   in Loop: Header=BB6_8449 Depth=2
	v_bfrev_b32_e32 v5, 1
	s_mov_b32 s29, exec_lo
	v_cmpx_ne_u16_e32 0x80, v2
	s_cbranch_execz .LBB6_12506
; %bb.12499:                            ;   in Loop: Header=BB6_8449 Depth=2
	v_and_b32_e32 v38, 0xffff, v2
	s_delay_alu instid0(VALU_DEP_1) | instskip(SKIP_1) | instid1(VALU_DEP_2)
	v_and_b32_e32 v5, 0x7c, v38
	v_and_b32_e32 v3, 3, v38
	v_cmp_ne_u32_e32 vcc_lo, 0x7c, v5
                                        ; implicit-def: $vgpr5
	s_and_saveexec_b32 s7, vcc_lo
	s_delay_alu instid0(SALU_CYCLE_1)
	s_xor_b32 s7, exec_lo, s7
	s_cbranch_execz .LBB6_12503
; %bb.12500:                            ;   in Loop: Header=BB6_8449 Depth=2
	v_bfe_u32 v5, v38, 2, 5
	s_mov_b32 s40, exec_lo
	s_delay_alu instid0(VALU_DEP_1)
	v_cmpx_eq_u32_e32 0, v5
	s_cbranch_execz .LBB6_12502
; %bb.12501:                            ;   in Loop: Header=BB6_8449 Depth=2
	v_clz_i32_u32_e32 v3, v3
	s_delay_alu instid0(VALU_DEP_1) | instskip(SKIP_1) | instid1(VALU_DEP_2)
	v_min_u32_e32 v5, 32, v3
	v_mov_b32_e32 v3, v1
	v_subrev_nc_u32_e32 v38, 29, v5
	v_sub_nc_u32_e32 v5, 30, v5
	s_delay_alu instid0(VALU_DEP_2) | instskip(NEXT) | instid1(VALU_DEP_1)
	v_lshlrev_b64_e32 v[2:3], v38, v[2:3]
	v_and_b32_e32 v3, 3, v2
.LBB6_12502:                            ;   in Loop: Header=BB6_8449 Depth=2
	s_or_b32 exec_lo, exec_lo, s40
	v_lshlrev_b32_e32 v2, 16, v35
                                        ; implicit-def: $vgpr35
	s_delay_alu instid0(VALU_DEP_1) | instskip(NEXT) | instid1(VALU_DEP_1)
	v_and_b32_e32 v2, 0x80000000, v2
	v_lshl_add_u32 v2, v5, 23, v2
	s_delay_alu instid0(VALU_DEP_1) | instskip(NEXT) | instid1(VALU_DEP_1)
	v_lshl_or_b32 v2, v3, 21, v2
                                        ; implicit-def: $vgpr3
	v_add_nc_u32_e32 v5, 0x38000000, v2
.LBB6_12503:                            ;   in Loop: Header=BB6_8449 Depth=2
	s_and_not1_saveexec_b32 s40, s7
; %bb.12504:                            ;   in Loop: Header=BB6_8449 Depth=2
	v_cmp_lt_i16_e64 s7, -1, v35
	v_mov_b32_e32 v2, 0x7f800000
	v_cmp_eq_u32_e32 vcc_lo, 0, v3
	s_delay_alu instid0(VALU_DEP_2) | instskip(NEXT) | instid1(VALU_DEP_1)
	v_cndmask_b32_e64 v2, 0xff800000, v2, s7
	v_cndmask_b32_e32 v5, 0x7f800001, v2, vcc_lo
; %bb.12505:                            ;   in Loop: Header=BB6_8449 Depth=2
	s_or_b32 exec_lo, exec_lo, s40
.LBB6_12506:                            ;   in Loop: Header=BB6_8449 Depth=2
	s_delay_alu instid0(SALU_CYCLE_1)
	s_or_b32 exec_lo, exec_lo, s29
.LBB6_12507:                            ;   in Loop: Header=BB6_8449 Depth=2
	s_delay_alu instid0(SALU_CYCLE_1) | instskip(SKIP_2) | instid1(VALU_DEP_1)
	s_or_b32 exec_lo, exec_lo, s28
	v_lshrrev_b16 v2, 8, v11
	s_mov_b32 s28, exec_lo
	v_cmpx_ne_u16_e32 0, v2
	s_cbranch_execz .LBB6_12517
; %bb.12508:                            ;   in Loop: Header=BB6_8449 Depth=2
	v_bfrev_b32_e32 v4, 1
	s_mov_b32 s29, exec_lo
	v_cmpx_ne_u16_e32 0x80, v2
	s_cbranch_execz .LBB6_12516
; %bb.12509:                            ;   in Loop: Header=BB6_8449 Depth=2
	v_and_b32_e32 v35, 0xffff, v2
	s_delay_alu instid0(VALU_DEP_1) | instskip(SKIP_1) | instid1(VALU_DEP_2)
	v_and_b32_e32 v4, 0x7c, v35
	v_and_b32_e32 v3, 3, v35
	v_cmp_ne_u32_e32 vcc_lo, 0x7c, v4
                                        ; implicit-def: $vgpr4
	s_and_saveexec_b32 s7, vcc_lo
	s_delay_alu instid0(SALU_CYCLE_1)
	s_xor_b32 s7, exec_lo, s7
	s_cbranch_execz .LBB6_12513
; %bb.12510:                            ;   in Loop: Header=BB6_8449 Depth=2
	v_bfe_u32 v4, v35, 2, 5
	s_mov_b32 s40, exec_lo
	s_delay_alu instid0(VALU_DEP_1)
	v_cmpx_eq_u32_e32 0, v4
	s_cbranch_execz .LBB6_12512
; %bb.12511:                            ;   in Loop: Header=BB6_8449 Depth=2
	v_clz_i32_u32_e32 v3, v3
	s_delay_alu instid0(VALU_DEP_1) | instskip(SKIP_1) | instid1(VALU_DEP_2)
	v_min_u32_e32 v4, 32, v3
	v_mov_b32_e32 v3, v1
	v_subrev_nc_u32_e32 v35, 29, v4
	v_sub_nc_u32_e32 v4, 30, v4
	s_delay_alu instid0(VALU_DEP_2) | instskip(NEXT) | instid1(VALU_DEP_1)
	v_lshlrev_b64_e32 v[2:3], v35, v[2:3]
	v_and_b32_e32 v3, 3, v2
.LBB6_12512:                            ;   in Loop: Header=BB6_8449 Depth=2
	s_or_b32 exec_lo, exec_lo, s40
	v_lshlrev_b32_e32 v2, 16, v11
	s_delay_alu instid0(VALU_DEP_1) | instskip(NEXT) | instid1(VALU_DEP_1)
	v_and_b32_e32 v2, 0x80000000, v2
	v_lshl_add_u32 v2, v4, 23, v2
	s_delay_alu instid0(VALU_DEP_1) | instskip(NEXT) | instid1(VALU_DEP_1)
	v_lshl_or_b32 v2, v3, 21, v2
                                        ; implicit-def: $vgpr3
	v_add_nc_u32_e32 v4, 0x38000000, v2
.LBB6_12513:                            ;   in Loop: Header=BB6_8449 Depth=2
	s_and_not1_saveexec_b32 s40, s7
; %bb.12514:                            ;   in Loop: Header=BB6_8449 Depth=2
	v_cmp_lt_i16_e64 s7, -1, v11
	v_mov_b32_e32 v2, 0x7f800000
	v_cmp_eq_u32_e32 vcc_lo, 0, v3
	s_delay_alu instid0(VALU_DEP_2) | instskip(NEXT) | instid1(VALU_DEP_1)
	v_cndmask_b32_e64 v2, 0xff800000, v2, s7
	v_cndmask_b32_e32 v4, 0x7f800001, v2, vcc_lo
; %bb.12515:                            ;   in Loop: Header=BB6_8449 Depth=2
	s_or_b32 exec_lo, exec_lo, s40
.LBB6_12516:                            ;   in Loop: Header=BB6_8449 Depth=2
	s_delay_alu instid0(SALU_CYCLE_1)
	s_or_b32 exec_lo, exec_lo, s29
.LBB6_12517:                            ;   in Loop: Header=BB6_8449 Depth=2
	s_delay_alu instid0(SALU_CYCLE_1) | instskip(NEXT) | instid1(VALU_DEP_1)
	s_or_b32 exec_lo, exec_lo, s28
	v_add_f32_e32 v4, v5, v4
	v_dual_mov_b32 v63, v1 :: v_dual_mov_b32 v3, v1
                                        ; implicit-def: $vgpr35
	s_mov_b32 s7, exec_lo
	s_delay_alu instid0(VALU_DEP_2) | instskip(SKIP_2) | instid1(VALU_DEP_3)
	v_and_b32_e32 v62, 0x7f800000, v4
	v_and_b32_e32 v2, 0x7fffff, v4
	v_lshrrev_b32_e32 v5, 24, v4
	v_cmpx_ne_u64_e32 0x7f800000, v[62:63]
	s_xor_b32 s28, exec_lo, s7
	s_cbranch_execz .LBB6_12531
; %bb.12518:                            ;   in Loop: Header=BB6_8449 Depth=2
	v_and_b32_e32 v62, 0x7fffffff, v4
	v_mov_b32_e32 v63, v1
	v_and_b32_e32 v38, 0x80, v5
                                        ; implicit-def: $vgpr35
	s_mov_b32 s7, exec_lo
	s_delay_alu instid0(VALU_DEP_2)
	v_cmpx_gt_u64_e32 0x47600001, v[62:63]
	s_xor_b32 s29, exec_lo, s7
	s_cbranch_execz .LBB6_12528
; %bb.12519:                            ;   in Loop: Header=BB6_8449 Depth=2
	v_mov_b32_e32 v35, 0
	s_mov_b32 s40, exec_lo
	v_cmpx_ne_u32_e32 0, v4
	s_cbranch_execz .LBB6_12527
; %bb.12520:                            ;   in Loop: Header=BB6_8449 Depth=2
	v_bfe_u32 v35, v4, 23, 8
	v_or_b32_e32 v5, 0x800000, v2
	s_delay_alu instid0(VALU_DEP_2) | instskip(SKIP_2) | instid1(VALU_DEP_2)
	v_cmp_gt_u32_e64 s7, 0x72, v35
	v_sub_nc_u32_e32 v4, 0x71, v35
	v_cmp_eq_u32_e32 vcc_lo, 0, v35
	v_dual_cndmask_b32 v4, 0, v4, s7 :: v_dual_cndmask_b32 v2, v5, v2, vcc_lo
	s_delay_alu instid0(VALU_DEP_1) | instskip(NEXT) | instid1(VALU_DEP_1)
	v_cndmask_b32_e64 v50, v4, 0x70, vcc_lo
	v_dual_add_nc_u32 v4, 21, v50 :: v_dual_add_nc_u32 v54, 20, v50
	s_delay_alu instid0(VALU_DEP_1) | instskip(NEXT) | instid1(VALU_DEP_2)
	v_lshlrev_b64_e64 v[4:5], v4, -1
	v_lshlrev_b64_e64 v[62:63], v54, 1
	s_delay_alu instid0(VALU_DEP_2) | instskip(SKIP_1) | instid1(VALU_DEP_4)
	v_bfi_b32 v4, v4, 0, v2
	v_lshrrev_b64 v[2:3], v50, v[2:3]
	v_bfi_b32 v5, v5, 0, 0
	s_delay_alu instid0(VALU_DEP_1) | instskip(NEXT) | instid1(VALU_DEP_3)
	v_cmp_eq_u64_e64 s7, v[4:5], v[62:63]
	v_mov_b64_e32 v[4:5], v[2:3]
	s_and_saveexec_b32 s41, s7
; %bb.12521:                            ;   in Loop: Header=BB6_8449 Depth=2
	v_bfe_u32 v4, v2, 21, 1
	v_mov_b32_e32 v5, v1
	s_delay_alu instid0(VALU_DEP_1) | instskip(NEXT) | instid1(VALU_DEP_1)
	v_add_nc_u64_e32 v[4:5], v[2:3], v[4:5]
	v_add_nc_u64_e32 v[4:5], -1, v[4:5]
; %bb.12522:                            ;   in Loop: Header=BB6_8449 Depth=2
	s_or_b32 exec_lo, exec_lo, s41
	v_add_nc_u32_e32 v3, 0xffffff81, v35
	v_lshrrev_b32_e32 v5, 23, v2
	s_mov_b32 s7, exec_lo
	s_delay_alu instid0(VALU_DEP_2) | instskip(NEXT) | instid1(VALU_DEP_1)
	v_cndmask_b32_e64 v3, v3, 0xffffff82, vcc_lo
	v_add3_u32 v35, v50, v3, v5
	v_and_b32_e32 v3, 0x1fffff, v4
                                        ; implicit-def: $vgpr4
	s_delay_alu instid0(VALU_DEP_1) | instskip(SKIP_1) | instid1(VALU_DEP_2)
	v_dual_add_nc_u32 v5, 14, v35 :: v_dual_add_nc_u32 v2, v3, v2
	v_mov_b32_e32 v3, v1
	v_cmpx_ne_u32_e32 0, v5
	s_xor_b32 s7, exec_lo, s7
; %bb.12523:                            ;   in Loop: Header=BB6_8449 Depth=2
	s_delay_alu instid0(VALU_DEP_2) | instskip(SKIP_1) | instid1(VALU_DEP_1)
	v_cmp_lt_u64_e32 vcc_lo, 0xffffff, v[2:3]
	v_add_nc_u32_e32 v4, 15, v35
	v_cndmask_b32_e32 v4, v5, v4, vcc_lo
	v_cndmask_b32_e64 v5, 0, 1, vcc_lo
	s_delay_alu instid0(VALU_DEP_1)
	v_lshrrev_b64 v[2:3], v5, v[2:3]
; %bb.12524:                            ;   in Loop: Header=BB6_8449 Depth=2
	s_and_not1_saveexec_b32 s7, s7
; %bb.12525:                            ;   in Loop: Header=BB6_8449 Depth=2
	s_delay_alu instid0(VALU_DEP_1)
	v_bfe_u32 v4, v2, 23, 1
; %bb.12526:                            ;   in Loop: Header=BB6_8449 Depth=2
	s_or_b32 exec_lo, exec_lo, s7
	s_delay_alu instid0(VALU_DEP_2) | instskip(NEXT) | instid1(VALU_DEP_2)
	v_lshrrev_b64 v[2:3], 21, v[2:3]
	v_cmp_gt_i32_e32 vcc_lo, 32, v4
	v_min_i32_e32 v5, 31, v4
	v_cmp_eq_u32_e64 s7, 0, v4
	s_delay_alu instid0(VALU_DEP_2) | instskip(SKIP_1) | instid1(VALU_DEP_2)
	v_dual_cndmask_b32 v3, 0, v3, vcc_lo :: v_dual_lshlrev_b32 v5, 2, v5
	v_cndmask_b32_e32 v2, 3, v2, vcc_lo
	v_and_b32_e32 v5, 0xfc, v5
	s_delay_alu instid0(VALU_DEP_2) | instskip(NEXT) | instid1(VALU_DEP_2)
	v_cmp_eq_u64_e32 vcc_lo, 0, v[2:3]
	v_and_or_b32 v2, v2, 3, v5
	s_and_b32 s7, s7, vcc_lo
	s_delay_alu instid0(VALU_DEP_1) | instid1(SALU_CYCLE_1)
	v_cndmask_b32_e64 v2, v2, 0, s7
	s_delay_alu instid0(VALU_DEP_1)
	v_or_b32_e32 v35, v2, v38
.LBB6_12527:                            ;   in Loop: Header=BB6_8449 Depth=2
	s_or_b32 exec_lo, exec_lo, s40
                                        ; implicit-def: $vgpr38
.LBB6_12528:                            ;   in Loop: Header=BB6_8449 Depth=2
	s_and_not1_saveexec_b32 s7, s29
; %bb.12529:                            ;   in Loop: Header=BB6_8449 Depth=2
	v_or_b32_e32 v35, 0x7b, v38
; %bb.12530:                            ;   in Loop: Header=BB6_8449 Depth=2
	s_or_b32 exec_lo, exec_lo, s7
                                        ; implicit-def: $vgpr4
                                        ; implicit-def: $vgpr2_vgpr3
                                        ; implicit-def: $vgpr5
.LBB6_12531:                            ;   in Loop: Header=BB6_8449 Depth=2
	s_and_not1_saveexec_b32 s7, s28
	s_cbranch_execz .LBB6_12537
; %bb.12532:                            ;   in Loop: Header=BB6_8449 Depth=2
	s_mov_b32 s28, exec_lo
                                        ; implicit-def: $vgpr35
	v_cmpx_ne_u64_e32 0, v[2:3]
	s_xor_b32 s28, exec_lo, s28
; %bb.12533:                            ;   in Loop: Header=BB6_8449 Depth=2
	v_or_b32_e32 v35, 0x7f, v5
                                        ; implicit-def: $vgpr4
; %bb.12534:                            ;   in Loop: Header=BB6_8449 Depth=2
	s_and_not1_saveexec_b32 s28, s28
; %bb.12535:                            ;   in Loop: Header=BB6_8449 Depth=2
	v_cmp_lt_i32_e32 vcc_lo, -1, v4
	v_mov_b32_e32 v2, 0x7c
	s_delay_alu instid0(VALU_DEP_1)
	v_cndmask_b32_e32 v35, 0xfc, v2, vcc_lo
; %bb.12536:                            ;   in Loop: Header=BB6_8449 Depth=2
	s_or_b32 exec_lo, exec_lo, s28
.LBB6_12537:                            ;   in Loop: Header=BB6_8449 Depth=2
	s_delay_alu instid0(SALU_CYCLE_1) | instskip(SKIP_3) | instid1(VALU_DEP_2)
	s_or_b32 exec_lo, exec_lo, s7
	v_dual_mov_b32 v3, 0 :: v_dual_lshrrev_b32 v2, 16, v0
	v_mov_b32_e32 v4, 0
	s_mov_b32 s28, exec_lo
	v_and_b32_e32 v5, 0xff, v2
	s_delay_alu instid0(VALU_DEP_1)
	v_cmpx_ne_u16_e32 0, v5
	s_cbranch_execz .LBB6_12547
; %bb.12538:                            ;   in Loop: Header=BB6_8449 Depth=2
	v_bfrev_b32_e32 v4, 1
	s_mov_b32 s29, exec_lo
	v_cmpx_ne_u16_e32 0x80, v5
	s_cbranch_execz .LBB6_12546
; %bb.12539:                            ;   in Loop: Header=BB6_8449 Depth=2
	v_and_b32_e32 v4, 0x7c0000, v0
	v_bfe_u32 v5, v0, 16, 2
	s_delay_alu instid0(VALU_DEP_2) | instskip(SKIP_1) | instid1(SALU_CYCLE_1)
	v_cmp_ne_u32_e32 vcc_lo, 0x7c0000, v4
                                        ; implicit-def: $vgpr4
	s_and_saveexec_b32 s7, vcc_lo
	s_xor_b32 s7, exec_lo, s7
	s_cbranch_execz .LBB6_12543
; %bb.12540:                            ;   in Loop: Header=BB6_8449 Depth=2
	v_bfe_u32 v4, v0, 18, 5
	s_mov_b32 s40, exec_lo
	s_delay_alu instid0(VALU_DEP_1)
	v_cmpx_eq_u32_e32 0, v4
; %bb.12541:                            ;   in Loop: Header=BB6_8449 Depth=2
	v_clz_i32_u32_e32 v4, v5
	s_delay_alu instid0(VALU_DEP_1) | instskip(NEXT) | instid1(VALU_DEP_1)
	v_min_u32_e32 v4, 32, v4
	v_subrev_nc_u32_e32 v5, 29, v4
	s_delay_alu instid0(VALU_DEP_1) | instskip(NEXT) | instid1(VALU_DEP_1)
	v_lshlrev_b64_e32 v[62:63], v5, v[2:3]
	v_dual_sub_nc_u32 v4, 30, v4 :: v_dual_bitop2_b32 v5, 3, v62 bitop3:0x40
; %bb.12542:                            ;   in Loop: Header=BB6_8449 Depth=2
	s_or_b32 exec_lo, exec_lo, s40
	v_lshlrev_b32_e32 v2, 24, v2
	s_delay_alu instid0(VALU_DEP_1) | instskip(NEXT) | instid1(VALU_DEP_1)
	v_and_b32_e32 v2, 0x80000000, v2
	v_lshl_add_u32 v2, v4, 23, v2
	s_delay_alu instid0(VALU_DEP_1) | instskip(NEXT) | instid1(VALU_DEP_1)
	v_lshl_or_b32 v2, v5, 21, v2
                                        ; implicit-def: $vgpr5
	v_add_nc_u32_e32 v4, 0x38000000, v2
                                        ; implicit-def: $vgpr2
.LBB6_12543:                            ;   in Loop: Header=BB6_8449 Depth=2
	s_and_not1_saveexec_b32 s40, s7
; %bb.12544:                            ;   in Loop: Header=BB6_8449 Depth=2
	v_bfe_i32 v2, v2, 0, 8
	v_cmp_eq_u32_e32 vcc_lo, 0, v5
	s_delay_alu instid0(VALU_DEP_2) | instskip(SKIP_1) | instid1(VALU_DEP_1)
	v_cmp_lt_i16_e64 s7, -1, v2
	v_mov_b32_e32 v2, 0x7f800000
	v_cndmask_b32_e64 v2, 0xff800000, v2, s7
	s_delay_alu instid0(VALU_DEP_1)
	v_cndmask_b32_e32 v4, 0x7f800001, v2, vcc_lo
; %bb.12545:                            ;   in Loop: Header=BB6_8449 Depth=2
	s_or_b32 exec_lo, exec_lo, s40
.LBB6_12546:                            ;   in Loop: Header=BB6_8449 Depth=2
	s_delay_alu instid0(SALU_CYCLE_1)
	s_or_b32 exec_lo, exec_lo, s29
.LBB6_12547:                            ;   in Loop: Header=BB6_8449 Depth=2
	s_delay_alu instid0(SALU_CYCLE_1) | instskip(SKIP_2) | instid1(VALU_DEP_1)
	s_or_b32 exec_lo, exec_lo, s28
	v_lshrrev_b32_e32 v2, 16, v11
	s_mov_b32 s28, exec_lo
	v_and_b32_e32 v5, 0xff, v2
	s_delay_alu instid0(VALU_DEP_1)
	v_cmpx_ne_u16_e32 0, v5
	s_cbranch_execz .LBB6_12557
; %bb.12548:                            ;   in Loop: Header=BB6_8449 Depth=2
	v_bfrev_b32_e32 v3, 1
	s_mov_b32 s29, exec_lo
	v_cmpx_ne_u16_e32 0x80, v5
	s_cbranch_execz .LBB6_12556
; %bb.12549:                            ;   in Loop: Header=BB6_8449 Depth=2
	v_and_b32_e32 v3, 0x7c0000, v11
	v_bfe_u32 v5, v11, 16, 2
	s_delay_alu instid0(VALU_DEP_2) | instskip(SKIP_1) | instid1(SALU_CYCLE_1)
	v_cmp_ne_u32_e32 vcc_lo, 0x7c0000, v3
                                        ; implicit-def: $vgpr3
	s_and_saveexec_b32 s7, vcc_lo
	s_xor_b32 s7, exec_lo, s7
	s_cbranch_execz .LBB6_12553
; %bb.12550:                            ;   in Loop: Header=BB6_8449 Depth=2
	v_bfe_u32 v3, v11, 18, 5
	s_mov_b32 s40, exec_lo
	s_delay_alu instid0(VALU_DEP_1)
	v_cmpx_eq_u32_e32 0, v3
; %bb.12551:                            ;   in Loop: Header=BB6_8449 Depth=2
	v_clz_i32_u32_e32 v3, v5
	s_delay_alu instid0(VALU_DEP_1) | instskip(NEXT) | instid1(VALU_DEP_1)
	v_min_u32_e32 v3, 32, v3
	v_subrev_nc_u32_e32 v5, 29, v3
	s_delay_alu instid0(VALU_DEP_1) | instskip(NEXT) | instid1(VALU_DEP_1)
	v_lshlrev_b64_e32 v[62:63], v5, v[2:3]
	v_dual_sub_nc_u32 v3, 30, v3 :: v_dual_bitop2_b32 v5, 3, v62 bitop3:0x40
; %bb.12552:                            ;   in Loop: Header=BB6_8449 Depth=2
	s_or_b32 exec_lo, exec_lo, s40
	v_lshlrev_b32_e32 v2, 24, v2
	s_delay_alu instid0(VALU_DEP_1) | instskip(NEXT) | instid1(VALU_DEP_1)
	v_and_b32_e32 v2, 0x80000000, v2
	v_lshl_add_u32 v2, v3, 23, v2
	s_delay_alu instid0(VALU_DEP_1) | instskip(NEXT) | instid1(VALU_DEP_1)
	v_lshl_or_b32 v2, v5, 21, v2
                                        ; implicit-def: $vgpr5
	v_add_nc_u32_e32 v3, 0x38000000, v2
                                        ; implicit-def: $vgpr2
.LBB6_12553:                            ;   in Loop: Header=BB6_8449 Depth=2
	s_and_not1_saveexec_b32 s40, s7
; %bb.12554:                            ;   in Loop: Header=BB6_8449 Depth=2
	v_bfe_i32 v2, v2, 0, 8
	v_cmp_eq_u32_e32 vcc_lo, 0, v5
	s_delay_alu instid0(VALU_DEP_2) | instskip(SKIP_1) | instid1(VALU_DEP_1)
	v_cmp_lt_i16_e64 s7, -1, v2
	v_mov_b32_e32 v2, 0x7f800000
	v_cndmask_b32_e64 v2, 0xff800000, v2, s7
	s_delay_alu instid0(VALU_DEP_1)
	v_cndmask_b32_e32 v3, 0x7f800001, v2, vcc_lo
; %bb.12555:                            ;   in Loop: Header=BB6_8449 Depth=2
	s_or_b32 exec_lo, exec_lo, s40
.LBB6_12556:                            ;   in Loop: Header=BB6_8449 Depth=2
	s_delay_alu instid0(SALU_CYCLE_1)
	s_or_b32 exec_lo, exec_lo, s29
.LBB6_12557:                            ;   in Loop: Header=BB6_8449 Depth=2
	s_delay_alu instid0(SALU_CYCLE_1) | instskip(NEXT) | instid1(VALU_DEP_1)
	s_or_b32 exec_lo, exec_lo, s28
	v_dual_add_f32 v4, v4, v3 :: v_dual_mov_b32 v63, v1
	v_mov_b32_e32 v3, v1
                                        ; implicit-def: $vgpr38
	s_mov_b32 s7, exec_lo
	s_delay_alu instid0(VALU_DEP_2) | instskip(SKIP_2) | instid1(VALU_DEP_3)
	v_and_b32_e32 v62, 0x7f800000, v4
	v_and_b32_e32 v2, 0x7fffff, v4
	v_lshrrev_b32_e32 v5, 24, v4
	v_cmpx_ne_u64_e32 0x7f800000, v[62:63]
	s_xor_b32 s28, exec_lo, s7
	s_cbranch_execz .LBB6_12571
; %bb.12558:                            ;   in Loop: Header=BB6_8449 Depth=2
	v_and_b32_e32 v62, 0x7fffffff, v4
	v_mov_b32_e32 v63, v1
	v_and_b32_e32 v50, 0x80, v5
                                        ; implicit-def: $vgpr38
	s_mov_b32 s7, exec_lo
	s_delay_alu instid0(VALU_DEP_2)
	v_cmpx_gt_u64_e32 0x47600001, v[62:63]
	s_xor_b32 s29, exec_lo, s7
	s_cbranch_execz .LBB6_12568
; %bb.12559:                            ;   in Loop: Header=BB6_8449 Depth=2
	v_mov_b32_e32 v38, 0
	s_mov_b32 s40, exec_lo
	v_cmpx_ne_u32_e32 0, v4
	s_cbranch_execz .LBB6_12567
; %bb.12560:                            ;   in Loop: Header=BB6_8449 Depth=2
	v_bfe_u32 v38, v4, 23, 8
	v_or_b32_e32 v5, 0x800000, v2
	s_delay_alu instid0(VALU_DEP_2) | instskip(SKIP_2) | instid1(VALU_DEP_2)
	v_cmp_gt_u32_e64 s7, 0x72, v38
	v_sub_nc_u32_e32 v4, 0x71, v38
	v_cmp_eq_u32_e32 vcc_lo, 0, v38
	v_dual_cndmask_b32 v4, 0, v4, s7 :: v_dual_cndmask_b32 v2, v5, v2, vcc_lo
	s_delay_alu instid0(VALU_DEP_1) | instskip(NEXT) | instid1(VALU_DEP_1)
	v_cndmask_b32_e64 v54, v4, 0x70, vcc_lo
	v_dual_add_nc_u32 v4, 21, v54 :: v_dual_add_nc_u32 v67, 20, v54
	s_delay_alu instid0(VALU_DEP_1) | instskip(NEXT) | instid1(VALU_DEP_2)
	v_lshlrev_b64_e64 v[4:5], v4, -1
	v_lshlrev_b64_e64 v[62:63], v67, 1
	s_delay_alu instid0(VALU_DEP_2) | instskip(SKIP_1) | instid1(VALU_DEP_4)
	v_bfi_b32 v4, v4, 0, v2
	v_lshrrev_b64 v[2:3], v54, v[2:3]
	v_bfi_b32 v5, v5, 0, 0
	s_delay_alu instid0(VALU_DEP_1) | instskip(NEXT) | instid1(VALU_DEP_3)
	v_cmp_eq_u64_e64 s7, v[4:5], v[62:63]
	v_mov_b64_e32 v[4:5], v[2:3]
	s_and_saveexec_b32 s41, s7
; %bb.12561:                            ;   in Loop: Header=BB6_8449 Depth=2
	v_bfe_u32 v4, v2, 21, 1
	v_mov_b32_e32 v5, v1
	s_delay_alu instid0(VALU_DEP_1) | instskip(NEXT) | instid1(VALU_DEP_1)
	v_add_nc_u64_e32 v[4:5], v[2:3], v[4:5]
	v_add_nc_u64_e32 v[4:5], -1, v[4:5]
; %bb.12562:                            ;   in Loop: Header=BB6_8449 Depth=2
	s_or_b32 exec_lo, exec_lo, s41
	v_add_nc_u32_e32 v3, 0xffffff81, v38
	v_lshrrev_b32_e32 v5, 23, v2
	s_mov_b32 s7, exec_lo
	s_delay_alu instid0(VALU_DEP_2) | instskip(NEXT) | instid1(VALU_DEP_1)
	v_cndmask_b32_e64 v3, v3, 0xffffff82, vcc_lo
	v_add3_u32 v38, v54, v3, v5
	v_and_b32_e32 v3, 0x1fffff, v4
                                        ; implicit-def: $vgpr4
	s_delay_alu instid0(VALU_DEP_2) | instskip(NEXT) | instid1(VALU_DEP_2)
	v_add_nc_u32_e32 v5, 14, v38
	v_dual_mov_b32 v3, v1 :: v_dual_add_nc_u32 v2, v3, v2
	s_delay_alu instid0(VALU_DEP_2)
	v_cmpx_ne_u32_e32 0, v5
	s_xor_b32 s7, exec_lo, s7
; %bb.12563:                            ;   in Loop: Header=BB6_8449 Depth=2
	s_delay_alu instid0(VALU_DEP_2) | instskip(SKIP_1) | instid1(VALU_DEP_1)
	v_cmp_lt_u64_e32 vcc_lo, 0xffffff, v[2:3]
	v_add_nc_u32_e32 v4, 15, v38
	v_cndmask_b32_e32 v4, v5, v4, vcc_lo
	v_cndmask_b32_e64 v5, 0, 1, vcc_lo
	s_delay_alu instid0(VALU_DEP_1)
	v_lshrrev_b64 v[2:3], v5, v[2:3]
; %bb.12564:                            ;   in Loop: Header=BB6_8449 Depth=2
	s_and_not1_saveexec_b32 s7, s7
; %bb.12565:                            ;   in Loop: Header=BB6_8449 Depth=2
	s_delay_alu instid0(VALU_DEP_1)
	v_bfe_u32 v4, v2, 23, 1
; %bb.12566:                            ;   in Loop: Header=BB6_8449 Depth=2
	s_or_b32 exec_lo, exec_lo, s7
	s_delay_alu instid0(VALU_DEP_2) | instskip(NEXT) | instid1(VALU_DEP_2)
	v_lshrrev_b64 v[2:3], 21, v[2:3]
	v_cmp_gt_i32_e32 vcc_lo, 32, v4
	v_min_i32_e32 v5, 31, v4
	v_cmp_eq_u32_e64 s7, 0, v4
	s_delay_alu instid0(VALU_DEP_2) | instskip(SKIP_1) | instid1(VALU_DEP_2)
	v_dual_cndmask_b32 v3, 0, v3, vcc_lo :: v_dual_lshlrev_b32 v5, 2, v5
	v_cndmask_b32_e32 v2, 3, v2, vcc_lo
	v_and_b32_e32 v5, 0xfc, v5
	s_delay_alu instid0(VALU_DEP_2) | instskip(NEXT) | instid1(VALU_DEP_2)
	v_cmp_eq_u64_e32 vcc_lo, 0, v[2:3]
	v_and_or_b32 v2, v2, 3, v5
	s_and_b32 s7, s7, vcc_lo
	s_delay_alu instid0(VALU_DEP_1) | instid1(SALU_CYCLE_1)
	v_cndmask_b32_e64 v2, v2, 0, s7
	s_delay_alu instid0(VALU_DEP_1)
	v_or_b32_e32 v38, v2, v50
.LBB6_12567:                            ;   in Loop: Header=BB6_8449 Depth=2
	s_or_b32 exec_lo, exec_lo, s40
                                        ; implicit-def: $vgpr50
.LBB6_12568:                            ;   in Loop: Header=BB6_8449 Depth=2
	s_and_not1_saveexec_b32 s7, s29
; %bb.12569:                            ;   in Loop: Header=BB6_8449 Depth=2
	v_or_b32_e32 v38, 0x7b, v50
; %bb.12570:                            ;   in Loop: Header=BB6_8449 Depth=2
	s_or_b32 exec_lo, exec_lo, s7
                                        ; implicit-def: $vgpr4
                                        ; implicit-def: $vgpr2_vgpr3
                                        ; implicit-def: $vgpr5
.LBB6_12571:                            ;   in Loop: Header=BB6_8449 Depth=2
	s_and_not1_saveexec_b32 s7, s28
	s_cbranch_execz .LBB6_12577
; %bb.12572:                            ;   in Loop: Header=BB6_8449 Depth=2
	s_mov_b32 s28, exec_lo
                                        ; implicit-def: $vgpr38
	v_cmpx_ne_u64_e32 0, v[2:3]
	s_xor_b32 s28, exec_lo, s28
; %bb.12573:                            ;   in Loop: Header=BB6_8449 Depth=2
	v_or_b32_e32 v38, 0x7f, v5
                                        ; implicit-def: $vgpr4
; %bb.12574:                            ;   in Loop: Header=BB6_8449 Depth=2
	s_and_not1_saveexec_b32 s28, s28
; %bb.12575:                            ;   in Loop: Header=BB6_8449 Depth=2
	v_cmp_lt_i32_e32 vcc_lo, -1, v4
	v_mov_b32_e32 v2, 0x7c
	s_delay_alu instid0(VALU_DEP_1)
	v_cndmask_b32_e32 v38, 0xfc, v2, vcc_lo
; %bb.12576:                            ;   in Loop: Header=BB6_8449 Depth=2
	s_or_b32 exec_lo, exec_lo, s28
.LBB6_12577:                            ;   in Loop: Header=BB6_8449 Depth=2
	s_delay_alu instid0(SALU_CYCLE_1)
	s_or_b32 exec_lo, exec_lo, s7
	v_dual_mov_b32 v3, 0 :: v_dual_mov_b32 v4, 0
	s_mov_b32 s28, exec_lo
	v_cmpx_lt_u32_e32 0xffffff, v0
	s_cbranch_execz .LBB6_12587
; %bb.12578:                            ;   in Loop: Header=BB6_8449 Depth=2
	v_lshrrev_b32_e32 v2, 24, v0
	v_bfrev_b32_e32 v4, 1
	s_mov_b32 s29, exec_lo
	s_delay_alu instid0(VALU_DEP_2)
	v_cmpx_ne_u32_e32 0x80, v2
	s_cbranch_execz .LBB6_12586
; %bb.12579:                            ;   in Loop: Header=BB6_8449 Depth=2
	v_and_b32_e32 v4, 0x7c000000, v0
	v_bfe_u32 v5, v0, 24, 2
	s_delay_alu instid0(VALU_DEP_2) | instskip(SKIP_1) | instid1(SALU_CYCLE_1)
	v_cmp_ne_u32_e32 vcc_lo, 0x7c000000, v4
                                        ; implicit-def: $vgpr4
	s_and_saveexec_b32 s7, vcc_lo
	s_xor_b32 s7, exec_lo, s7
	s_cbranch_execz .LBB6_12583
; %bb.12580:                            ;   in Loop: Header=BB6_8449 Depth=2
	v_bfe_u32 v4, v0, 26, 5
	s_mov_b32 s40, exec_lo
	s_delay_alu instid0(VALU_DEP_1)
	v_cmpx_eq_u32_e32 0, v4
; %bb.12581:                            ;   in Loop: Header=BB6_8449 Depth=2
	v_clz_i32_u32_e32 v4, v5
	s_delay_alu instid0(VALU_DEP_1) | instskip(NEXT) | instid1(VALU_DEP_1)
	v_min_u32_e32 v4, 32, v4
	v_subrev_nc_u32_e32 v5, 29, v4
	s_delay_alu instid0(VALU_DEP_1) | instskip(NEXT) | instid1(VALU_DEP_1)
	v_lshlrev_b64_e32 v[62:63], v5, v[2:3]
	v_dual_sub_nc_u32 v4, 30, v4 :: v_dual_bitop2_b32 v5, 3, v62 bitop3:0x40
; %bb.12582:                            ;   in Loop: Header=BB6_8449 Depth=2
	s_or_b32 exec_lo, exec_lo, s40
	v_and_b32_e32 v0, 0x80000000, v0
	s_delay_alu instid0(VALU_DEP_1) | instskip(NEXT) | instid1(VALU_DEP_1)
	v_lshl_add_u32 v0, v4, 23, v0
	v_lshl_or_b32 v0, v5, 21, v0
                                        ; implicit-def: $vgpr5
	s_delay_alu instid0(VALU_DEP_1)
	v_add_nc_u32_e32 v4, 0x38000000, v0
.LBB6_12583:                            ;   in Loop: Header=BB6_8449 Depth=2
	s_and_not1_saveexec_b32 s40, s7
; %bb.12584:                            ;   in Loop: Header=BB6_8449 Depth=2
	v_cmp_lt_i32_e64 s7, -1, v0
	v_mov_b32_e32 v0, 0x7f800000
	v_cmp_eq_u32_e32 vcc_lo, 0, v5
	s_delay_alu instid0(VALU_DEP_2) | instskip(NEXT) | instid1(VALU_DEP_1)
	v_cndmask_b32_e64 v0, 0xff800000, v0, s7
	v_cndmask_b32_e32 v4, 0x7f800001, v0, vcc_lo
; %bb.12585:                            ;   in Loop: Header=BB6_8449 Depth=2
	s_or_b32 exec_lo, exec_lo, s40
.LBB6_12586:                            ;   in Loop: Header=BB6_8449 Depth=2
	s_delay_alu instid0(SALU_CYCLE_1)
	s_or_b32 exec_lo, exec_lo, s29
.LBB6_12587:                            ;   in Loop: Header=BB6_8449 Depth=2
	s_delay_alu instid0(SALU_CYCLE_1) | instskip(NEXT) | instid1(SALU_CYCLE_1)
	s_or_b32 exec_lo, exec_lo, s28
	s_mov_b32 s28, exec_lo
	v_cmpx_lt_u64_e64 s[12:13], v[10:11]
	s_cbranch_execz .LBB6_12597
; %bb.12588:                            ;   in Loop: Header=BB6_8449 Depth=2
	v_lshrrev_b32_e32 v0, 24, v11
	v_bfrev_b32_e32 v3, 1
	s_mov_b32 s29, exec_lo
	s_delay_alu instid0(VALU_DEP_2)
	v_cmpx_ne_u32_e32 0x80, v0
	s_cbranch_execz .LBB6_12596
; %bb.12589:                            ;   in Loop: Header=BB6_8449 Depth=2
	v_and_b32_e32 v3, 0x7c000000, v11
	v_bfe_u32 v2, v11, 24, 2
	s_delay_alu instid0(VALU_DEP_2) | instskip(SKIP_1) | instid1(SALU_CYCLE_1)
	v_cmp_ne_u32_e32 vcc_lo, 0x7c000000, v3
                                        ; implicit-def: $vgpr3
	s_and_saveexec_b32 s7, vcc_lo
	s_xor_b32 s7, exec_lo, s7
	s_cbranch_execz .LBB6_12593
; %bb.12590:                            ;   in Loop: Header=BB6_8449 Depth=2
	v_bfe_u32 v3, v11, 26, 5
	s_mov_b32 s40, exec_lo
	s_delay_alu instid0(VALU_DEP_1)
	v_cmpx_eq_u32_e32 0, v3
; %bb.12591:                            ;   in Loop: Header=BB6_8449 Depth=2
	v_clz_i32_u32_e32 v2, v2
	s_delay_alu instid0(VALU_DEP_1) | instskip(NEXT) | instid1(VALU_DEP_1)
	v_min_u32_e32 v5, 32, v2
	v_subrev_nc_u32_e32 v2, 29, v5
	s_delay_alu instid0(VALU_DEP_1) | instskip(NEXT) | instid1(VALU_DEP_1)
	v_lshlrev_b64_e32 v[2:3], v2, v[0:1]
	v_dual_sub_nc_u32 v3, 30, v5 :: v_dual_bitop2_b32 v2, 3, v2 bitop3:0x40
; %bb.12592:                            ;   in Loop: Header=BB6_8449 Depth=2
	s_or_b32 exec_lo, exec_lo, s40
	v_and_b32_e32 v0, 0x80000000, v11
	s_delay_alu instid0(VALU_DEP_1) | instskip(NEXT) | instid1(VALU_DEP_1)
	v_lshl_add_u32 v0, v3, 23, v0
	v_lshl_or_b32 v0, v2, 21, v0
                                        ; implicit-def: $vgpr2
	s_delay_alu instid0(VALU_DEP_1)
	v_add_nc_u32_e32 v3, 0x38000000, v0
.LBB6_12593:                            ;   in Loop: Header=BB6_8449 Depth=2
	s_and_not1_saveexec_b32 s40, s7
; %bb.12594:                            ;   in Loop: Header=BB6_8449 Depth=2
	v_cmp_lt_i64_e64 s7, -1, v[10:11]
	v_mov_b32_e32 v0, 0x7f800000
	v_cmp_eq_u32_e32 vcc_lo, 0, v2
	s_delay_alu instid0(VALU_DEP_2) | instskip(NEXT) | instid1(VALU_DEP_1)
	v_cndmask_b32_e64 v0, 0xff800000, v0, s7
	v_cndmask_b32_e32 v3, 0x7f800001, v0, vcc_lo
; %bb.12595:                            ;   in Loop: Header=BB6_8449 Depth=2
	s_or_b32 exec_lo, exec_lo, s40
.LBB6_12596:                            ;   in Loop: Header=BB6_8449 Depth=2
	s_delay_alu instid0(SALU_CYCLE_1)
	s_or_b32 exec_lo, exec_lo, s29
.LBB6_12597:                            ;   in Loop: Header=BB6_8449 Depth=2
	s_delay_alu instid0(SALU_CYCLE_1) | instskip(NEXT) | instid1(VALU_DEP_1)
	s_or_b32 exec_lo, exec_lo, s28
	v_dual_add_f32 v2, v4, v3 :: v_dual_mov_b32 v5, v1
                                        ; implicit-def: $vgpr10
	s_mov_b32 s7, exec_lo
	s_delay_alu instid0(VALU_DEP_1) | instskip(SKIP_2) | instid1(VALU_DEP_3)
	v_and_b32_e32 v4, 0x7f800000, v2
	v_and_b32_e32 v0, 0x7fffff, v2
	v_lshrrev_b32_e32 v3, 24, v2
	v_cmpx_ne_u64_e32 0x7f800000, v[4:5]
	s_xor_b32 s28, exec_lo, s7
	s_cbranch_execz .LBB6_12611
; %bb.12598:                            ;   in Loop: Header=BB6_8449 Depth=2
	v_and_b32_e32 v4, 0x7fffffff, v2
	v_mov_b32_e32 v5, v1
	v_and_b32_e32 v11, 0x80, v3
                                        ; implicit-def: $vgpr10
	s_mov_b32 s7, exec_lo
	s_delay_alu instid0(VALU_DEP_2)
	v_cmpx_gt_u64_e32 0x47600001, v[4:5]
	s_xor_b32 s29, exec_lo, s7
	s_cbranch_execz .LBB6_12608
; %bb.12599:                            ;   in Loop: Header=BB6_8449 Depth=2
	v_mov_b32_e32 v10, 0
	s_mov_b32 s40, exec_lo
	v_cmpx_ne_u32_e32 0, v2
	s_cbranch_execz .LBB6_12607
; %bb.12600:                            ;   in Loop: Header=BB6_8449 Depth=2
	v_bfe_u32 v10, v2, 23, 8
	v_or_b32_e32 v3, 0x800000, v0
	s_delay_alu instid0(VALU_DEP_2) | instskip(SKIP_2) | instid1(VALU_DEP_2)
	v_cmp_gt_u32_e64 s7, 0x72, v10
	v_sub_nc_u32_e32 v2, 0x71, v10
	v_cmp_eq_u32_e32 vcc_lo, 0, v10
	v_cndmask_b32_e64 v2, 0, v2, s7
	s_delay_alu instid0(VALU_DEP_1) | instskip(SKIP_1) | instid1(VALU_DEP_2)
	v_cndmask_b32_e64 v50, v2, 0x70, vcc_lo
	v_dual_cndmask_b32 v2, v3, v0 :: v_dual_mov_b32 v3, v1
	v_add_nc_u32_e32 v0, 21, v50
	s_delay_alu instid0(VALU_DEP_1) | instskip(SKIP_1) | instid1(VALU_DEP_1)
	v_lshlrev_b64_e64 v[4:5], v0, -1
	v_add_nc_u32_e32 v0, 20, v50
	v_lshlrev_b64_e64 v[62:63], v0, 1
	s_delay_alu instid0(VALU_DEP_3) | instskip(SKIP_2) | instid1(VALU_DEP_1)
	v_bfi_b32 v4, v4, 0, v2
	v_lshrrev_b64 v[2:3], v50, v[2:3]
	v_bfi_b32 v5, v5, 0, 0
	v_cmp_eq_u64_e64 s7, v[4:5], v[62:63]
	s_delay_alu instid0(VALU_DEP_3)
	v_mov_b64_e32 v[4:5], v[2:3]
	s_and_saveexec_b32 s41, s7
; %bb.12601:                            ;   in Loop: Header=BB6_8449 Depth=2
	v_bfe_u32 v4, v2, 21, 1
	v_mov_b32_e32 v5, v1
	s_delay_alu instid0(VALU_DEP_1) | instskip(NEXT) | instid1(VALU_DEP_1)
	v_add_nc_u64_e32 v[4:5], v[2:3], v[4:5]
	v_add_nc_u64_e32 v[4:5], -1, v[4:5]
; %bb.12602:                            ;   in Loop: Header=BB6_8449 Depth=2
	s_or_b32 exec_lo, exec_lo, s41
	v_add_nc_u32_e32 v0, 0xffffff81, v10
	s_delay_alu instid0(VALU_DEP_2) | instskip(SKIP_2) | instid1(VALU_DEP_3)
	v_and_b32_e32 v4, 0x1fffff, v4
	v_lshrrev_b32_e32 v3, 23, v2
	s_mov_b32 s7, exec_lo
	v_cndmask_b32_e64 v0, v0, 0xffffff82, vcc_lo
	s_delay_alu instid0(VALU_DEP_1) | instskip(SKIP_1) | instid1(VALU_DEP_2)
	v_add3_u32 v10, v50, v0, v3
	v_add_nc_u32_e32 v0, v4, v2
                                        ; implicit-def: $vgpr2_vgpr3
                                        ; implicit-def: $vgpr4
	v_add_nc_u32_e32 v5, 14, v10
	s_delay_alu instid0(VALU_DEP_1)
	v_cmpx_ne_u32_e32 0, v5
	s_xor_b32 s7, exec_lo, s7
; %bb.12603:                            ;   in Loop: Header=BB6_8449 Depth=2
	s_delay_alu instid0(VALU_DEP_3) | instskip(SKIP_1) | instid1(VALU_DEP_1)
	v_cmp_lt_u64_e32 vcc_lo, 0xffffff, v[0:1]
	v_add_nc_u32_e32 v2, 15, v10
	v_cndmask_b32_e32 v4, v5, v2, vcc_lo
	v_cndmask_b32_e64 v2, 0, 1, vcc_lo
	s_delay_alu instid0(VALU_DEP_1)
	v_lshrrev_b64 v[2:3], v2, v[0:1]
; %bb.12604:                            ;   in Loop: Header=BB6_8449 Depth=2
	s_and_not1_saveexec_b32 s7, s7
; %bb.12605:                            ;   in Loop: Header=BB6_8449 Depth=2
	v_mov_b64_e32 v[2:3], v[0:1]
	v_bfe_u32 v4, v0, 23, 1
; %bb.12606:                            ;   in Loop: Header=BB6_8449 Depth=2
	s_or_b32 exec_lo, exec_lo, s7
	s_delay_alu instid0(VALU_DEP_2) | instskip(NEXT) | instid1(VALU_DEP_2)
	v_lshrrev_b64 v[2:3], 21, v[2:3]
	v_cmp_gt_i32_e32 vcc_lo, 32, v4
	v_min_i32_e32 v0, 31, v4
	v_cmp_eq_u32_e64 s7, 0, v4
	s_delay_alu instid0(VALU_DEP_2) | instskip(SKIP_1) | instid1(VALU_DEP_2)
	v_dual_cndmask_b32 v3, 0, v3 :: v_dual_lshlrev_b32 v0, 2, v0
	v_cndmask_b32_e32 v2, 3, v2, vcc_lo
	v_and_b32_e32 v0, 0xfc, v0
	s_delay_alu instid0(VALU_DEP_2) | instskip(NEXT) | instid1(VALU_DEP_2)
	v_cmp_eq_u64_e32 vcc_lo, 0, v[2:3]
	v_and_or_b32 v0, v2, 3, v0
	s_and_b32 s7, s7, vcc_lo
	s_delay_alu instid0(VALU_DEP_1) | instid1(SALU_CYCLE_1)
	v_cndmask_b32_e64 v0, v0, 0, s7
	s_delay_alu instid0(VALU_DEP_1)
	v_or_b32_e32 v10, v0, v11
.LBB6_12607:                            ;   in Loop: Header=BB6_8449 Depth=2
	s_or_b32 exec_lo, exec_lo, s40
                                        ; implicit-def: $vgpr11
.LBB6_12608:                            ;   in Loop: Header=BB6_8449 Depth=2
	s_and_not1_saveexec_b32 s7, s29
; %bb.12609:                            ;   in Loop: Header=BB6_8449 Depth=2
	v_or_b32_e32 v10, 0x7b, v11
; %bb.12610:                            ;   in Loop: Header=BB6_8449 Depth=2
	s_or_b32 exec_lo, exec_lo, s7
                                        ; implicit-def: $vgpr2
                                        ; implicit-def: $vgpr3
.LBB6_12611:                            ;   in Loop: Header=BB6_8449 Depth=2
	s_and_not1_saveexec_b32 s7, s28
	s_cbranch_execz .LBB6_12617
; %bb.12612:                            ;   in Loop: Header=BB6_8449 Depth=2
	s_mov_b32 s28, exec_lo
                                        ; implicit-def: $vgpr10
	v_cmpx_ne_u64_e32 0, v[0:1]
	s_xor_b32 s28, exec_lo, s28
; %bb.12613:                            ;   in Loop: Header=BB6_8449 Depth=2
	v_or_b32_e32 v10, 0x7f, v3
                                        ; implicit-def: $vgpr2
; %bb.12614:                            ;   in Loop: Header=BB6_8449 Depth=2
	s_and_not1_saveexec_b32 s28, s28
; %bb.12615:                            ;   in Loop: Header=BB6_8449 Depth=2
	v_cmp_lt_i32_e32 vcc_lo, -1, v2
	v_mov_b32_e32 v0, 0x7c
	s_delay_alu instid0(VALU_DEP_1)
	v_cndmask_b32_e32 v10, 0xfc, v0, vcc_lo
; %bb.12616:                            ;   in Loop: Header=BB6_8449 Depth=2
	s_or_b32 exec_lo, exec_lo, s28
.LBB6_12617:                            ;   in Loop: Header=BB6_8449 Depth=2
	s_delay_alu instid0(SALU_CYCLE_1) | instskip(SKIP_4) | instid1(VALU_DEP_2)
	s_or_b32 exec_lo, exec_lo, s7
	v_lshl_or_b32 v31, v31, 8, v26
	v_dual_lshlrev_b32 v0, 16, v34 :: v_dual_lshlrev_b32 v2, 24, v37
	s_mov_b32 s28, exec_lo
	v_mov_b32_e32 v3, 0
	v_or3_b32 v0, v0, v2, v31
	v_mov_b32_e32 v2, 0
	v_cmpx_ne_u32_e32 0, v26
	s_cbranch_execz .LBB6_12627
; %bb.12618:                            ;   in Loop: Header=BB6_8449 Depth=2
	v_bfrev_b32_e32 v3, 1
	s_mov_b32 s29, exec_lo
	v_cmpx_ne_u32_e32 0x80, v26
	s_cbranch_execz .LBB6_12626
; %bb.12619:                            ;   in Loop: Header=BB6_8449 Depth=2
	v_and_b32_e32 v3, 0x7c, v26
	v_and_b32_e32 v4, 3, v26
	s_delay_alu instid0(VALU_DEP_2) | instskip(SKIP_1) | instid1(SALU_CYCLE_1)
	v_cmp_ne_u32_e32 vcc_lo, 0x7c, v3
                                        ; implicit-def: $vgpr3
	s_and_saveexec_b32 s7, vcc_lo
	s_xor_b32 s7, exec_lo, s7
	s_cbranch_execz .LBB6_12623
; %bb.12620:                            ;   in Loop: Header=BB6_8449 Depth=2
	v_bfe_u32 v3, v26, 2, 5
	s_mov_b32 s40, exec_lo
	s_delay_alu instid0(VALU_DEP_1)
	v_cmpx_eq_u32_e32 0, v3
; %bb.12621:                            ;   in Loop: Header=BB6_8449 Depth=2
	v_clz_i32_u32_e32 v3, v4
	s_delay_alu instid0(VALU_DEP_1) | instskip(NEXT) | instid1(VALU_DEP_1)
	v_min_u32_e32 v3, 32, v3
	v_subrev_nc_u32_e32 v4, 29, v3
	s_delay_alu instid0(VALU_DEP_1) | instskip(NEXT) | instid1(VALU_DEP_1)
	v_lshlrev_b64_e32 v[4:5], v4, v[0:1]
	v_dual_sub_nc_u32 v3, 30, v3 :: v_dual_bitop2_b32 v4, 3, v4 bitop3:0x40
; %bb.12622:                            ;   in Loop: Header=BB6_8449 Depth=2
	s_or_b32 exec_lo, exec_lo, s40
	v_lshlrev_b32_e32 v5, 24, v26
                                        ; implicit-def: $vgpr26
	s_delay_alu instid0(VALU_DEP_1) | instskip(NEXT) | instid1(VALU_DEP_1)
	v_and_b32_e32 v5, 0x80000000, v5
	v_lshl_add_u32 v3, v3, 23, v5
	s_delay_alu instid0(VALU_DEP_1) | instskip(NEXT) | instid1(VALU_DEP_1)
	v_lshl_or_b32 v3, v4, 21, v3
                                        ; implicit-def: $vgpr4
	v_add_nc_u32_e32 v3, 0x38000000, v3
.LBB6_12623:                            ;   in Loop: Header=BB6_8449 Depth=2
	s_and_not1_saveexec_b32 s40, s7
; %bb.12624:                            ;   in Loop: Header=BB6_8449 Depth=2
	v_and_b32_e32 v3, 0x80, v26
	v_cmp_eq_u32_e32 vcc_lo, 0, v4
	s_delay_alu instid0(VALU_DEP_2) | instskip(SKIP_1) | instid1(VALU_DEP_1)
	v_cmp_eq_u32_e64 s7, 0, v3
	v_mov_b32_e32 v3, 0x7f800000
	v_cndmask_b32_e64 v3, 0xff800000, v3, s7
	s_delay_alu instid0(VALU_DEP_1)
	v_cndmask_b32_e32 v3, 0x7f800001, v3, vcc_lo
; %bb.12625:                            ;   in Loop: Header=BB6_8449 Depth=2
	s_or_b32 exec_lo, exec_lo, s40
.LBB6_12626:                            ;   in Loop: Header=BB6_8449 Depth=2
	s_delay_alu instid0(SALU_CYCLE_1)
	s_or_b32 exec_lo, exec_lo, s29
.LBB6_12627:                            ;   in Loop: Header=BB6_8449 Depth=2
	s_delay_alu instid0(SALU_CYCLE_1) | instskip(SKIP_2) | instid1(VALU_DEP_1)
	s_or_b32 exec_lo, exec_lo, s28
	v_and_b32_e32 v4, 0xff, v12
	s_mov_b32 s28, exec_lo
	v_cmpx_ne_u16_e32 0, v4
	s_cbranch_execz .LBB6_12637
; %bb.12628:                            ;   in Loop: Header=BB6_8449 Depth=2
	v_bfe_i32 v5, v12, 0, 8
	v_bfrev_b32_e32 v2, 1
	s_mov_b32 s29, exec_lo
	s_delay_alu instid0(VALU_DEP_2)
	v_cmpx_ne_u16_e32 0xff80, v5
	s_cbranch_execz .LBB6_12636
; %bb.12629:                            ;   in Loop: Header=BB6_8449 Depth=2
	v_and_b32_e32 v2, 0x7c, v12
	v_and_b32_e32 v4, 3, v12
	s_delay_alu instid0(VALU_DEP_2) | instskip(SKIP_1) | instid1(SALU_CYCLE_1)
	v_cmp_ne_u32_e32 vcc_lo, 0x7c, v2
                                        ; implicit-def: $vgpr2
	s_and_saveexec_b32 s7, vcc_lo
	s_xor_b32 s7, exec_lo, s7
	s_cbranch_execz .LBB6_12633
; %bb.12630:                            ;   in Loop: Header=BB6_8449 Depth=2
	v_bfe_u32 v2, v12, 2, 5
	s_mov_b32 s40, exec_lo
	s_delay_alu instid0(VALU_DEP_1)
	v_cmpx_eq_u32_e32 0, v2
; %bb.12631:                            ;   in Loop: Header=BB6_8449 Depth=2
	v_clz_i32_u32_e32 v2, v4
	s_delay_alu instid0(VALU_DEP_1) | instskip(NEXT) | instid1(VALU_DEP_1)
	v_min_u32_e32 v2, 32, v2
	v_subrev_nc_u32_e32 v4, 29, v2
	s_delay_alu instid0(VALU_DEP_1) | instskip(NEXT) | instid1(VALU_DEP_1)
	v_lshlrev_b64_e32 v[4:5], v4, v[12:13]
	v_dual_sub_nc_u32 v2, 30, v2 :: v_dual_bitop2_b32 v4, 3, v4 bitop3:0x40
; %bb.12632:                            ;   in Loop: Header=BB6_8449 Depth=2
	s_or_b32 exec_lo, exec_lo, s40
	v_lshlrev_b32_e32 v5, 24, v12
	s_delay_alu instid0(VALU_DEP_1) | instskip(NEXT) | instid1(VALU_DEP_1)
	v_and_b32_e32 v5, 0x80000000, v5
	v_lshl_add_u32 v2, v2, 23, v5
                                        ; implicit-def: $vgpr5
	s_delay_alu instid0(VALU_DEP_1) | instskip(NEXT) | instid1(VALU_DEP_1)
	v_lshl_or_b32 v2, v4, 21, v2
                                        ; implicit-def: $vgpr4
	v_add_nc_u32_e32 v2, 0x38000000, v2
.LBB6_12633:                            ;   in Loop: Header=BB6_8449 Depth=2
	s_and_not1_saveexec_b32 s40, s7
; %bb.12634:                            ;   in Loop: Header=BB6_8449 Depth=2
	v_cmp_lt_i16_e64 s7, -1, v5
	v_mov_b32_e32 v2, 0x7f800000
	v_cmp_eq_u32_e32 vcc_lo, 0, v4
	s_delay_alu instid0(VALU_DEP_2) | instskip(NEXT) | instid1(VALU_DEP_1)
	v_cndmask_b32_e64 v2, 0xff800000, v2, s7
	v_cndmask_b32_e32 v2, 0x7f800001, v2, vcc_lo
; %bb.12635:                            ;   in Loop: Header=BB6_8449 Depth=2
	s_or_b32 exec_lo, exec_lo, s40
.LBB6_12636:                            ;   in Loop: Header=BB6_8449 Depth=2
	s_delay_alu instid0(SALU_CYCLE_1)
	s_or_b32 exec_lo, exec_lo, s29
.LBB6_12637:                            ;   in Loop: Header=BB6_8449 Depth=2
	s_delay_alu instid0(SALU_CYCLE_1) | instskip(NEXT) | instid1(VALU_DEP_1)
	s_or_b32 exec_lo, exec_lo, s28
	v_dual_add_f32 v4, v3, v2 :: v_dual_mov_b32 v63, v1
	v_mov_b32_e32 v3, v1
                                        ; implicit-def: $vgpr11
	s_mov_b32 s7, exec_lo
	s_delay_alu instid0(VALU_DEP_2) | instskip(SKIP_2) | instid1(VALU_DEP_3)
	v_and_b32_e32 v62, 0x7f800000, v4
	v_and_b32_e32 v2, 0x7fffff, v4
	v_lshrrev_b32_e32 v5, 24, v4
	v_cmpx_ne_u64_e32 0x7f800000, v[62:63]
	s_xor_b32 s28, exec_lo, s7
	s_cbranch_execz .LBB6_12651
; %bb.12638:                            ;   in Loop: Header=BB6_8449 Depth=2
	v_and_b32_e32 v62, 0x7fffffff, v4
	v_mov_b32_e32 v63, v1
	v_and_b32_e32 v26, 0x80, v5
                                        ; implicit-def: $vgpr11
	s_mov_b32 s7, exec_lo
	s_delay_alu instid0(VALU_DEP_2)
	v_cmpx_gt_u64_e32 0x47600001, v[62:63]
	s_xor_b32 s29, exec_lo, s7
	s_cbranch_execz .LBB6_12648
; %bb.12639:                            ;   in Loop: Header=BB6_8449 Depth=2
	v_mov_b32_e32 v11, 0
	s_mov_b32 s40, exec_lo
	v_cmpx_ne_u32_e32 0, v4
	s_cbranch_execz .LBB6_12647
; %bb.12640:                            ;   in Loop: Header=BB6_8449 Depth=2
	v_bfe_u32 v11, v4, 23, 8
	v_or_b32_e32 v5, 0x800000, v2
	s_delay_alu instid0(VALU_DEP_2) | instskip(SKIP_2) | instid1(VALU_DEP_2)
	v_cmp_gt_u32_e64 s7, 0x72, v11
	v_sub_nc_u32_e32 v4, 0x71, v11
	v_cmp_eq_u32_e32 vcc_lo, 0, v11
	v_dual_cndmask_b32 v4, 0, v4, s7 :: v_dual_cndmask_b32 v2, v5, v2, vcc_lo
	s_delay_alu instid0(VALU_DEP_1) | instskip(NEXT) | instid1(VALU_DEP_1)
	v_cndmask_b32_e64 v34, v4, 0x70, vcc_lo
	v_dual_add_nc_u32 v4, 21, v34 :: v_dual_add_nc_u32 v37, 20, v34
	s_delay_alu instid0(VALU_DEP_1) | instskip(NEXT) | instid1(VALU_DEP_2)
	v_lshlrev_b64_e64 v[4:5], v4, -1
	v_lshlrev_b64_e64 v[62:63], v37, 1
	s_delay_alu instid0(VALU_DEP_2) | instskip(SKIP_1) | instid1(VALU_DEP_4)
	v_bfi_b32 v4, v4, 0, v2
	v_lshrrev_b64 v[2:3], v34, v[2:3]
	v_bfi_b32 v5, v5, 0, 0
	s_delay_alu instid0(VALU_DEP_1) | instskip(NEXT) | instid1(VALU_DEP_3)
	v_cmp_eq_u64_e64 s7, v[4:5], v[62:63]
	v_mov_b64_e32 v[4:5], v[2:3]
	s_and_saveexec_b32 s41, s7
; %bb.12641:                            ;   in Loop: Header=BB6_8449 Depth=2
	v_bfe_u32 v4, v2, 21, 1
	v_mov_b32_e32 v5, v1
	s_delay_alu instid0(VALU_DEP_1) | instskip(NEXT) | instid1(VALU_DEP_1)
	v_add_nc_u64_e32 v[4:5], v[2:3], v[4:5]
	v_add_nc_u64_e32 v[4:5], -1, v[4:5]
; %bb.12642:                            ;   in Loop: Header=BB6_8449 Depth=2
	s_or_b32 exec_lo, exec_lo, s41
	v_add_nc_u32_e32 v3, 0xffffff81, v11
	v_lshrrev_b32_e32 v5, 23, v2
	s_mov_b32 s7, exec_lo
	s_delay_alu instid0(VALU_DEP_2) | instskip(NEXT) | instid1(VALU_DEP_1)
	v_cndmask_b32_e64 v3, v3, 0xffffff82, vcc_lo
	v_add3_u32 v11, v34, v3, v5
	v_and_b32_e32 v3, 0x1fffff, v4
                                        ; implicit-def: $vgpr4
	s_delay_alu instid0(VALU_DEP_1) | instskip(SKIP_1) | instid1(VALU_DEP_2)
	v_dual_add_nc_u32 v5, 14, v11 :: v_dual_add_nc_u32 v2, v3, v2
	v_mov_b32_e32 v3, v1
	v_cmpx_ne_u32_e32 0, v5
	s_xor_b32 s7, exec_lo, s7
; %bb.12643:                            ;   in Loop: Header=BB6_8449 Depth=2
	s_delay_alu instid0(VALU_DEP_2) | instskip(SKIP_1) | instid1(VALU_DEP_1)
	v_cmp_lt_u64_e32 vcc_lo, 0xffffff, v[2:3]
	v_add_nc_u32_e32 v4, 15, v11
	v_cndmask_b32_e32 v4, v5, v4, vcc_lo
	v_cndmask_b32_e64 v5, 0, 1, vcc_lo
	s_delay_alu instid0(VALU_DEP_1)
	v_lshrrev_b64 v[2:3], v5, v[2:3]
; %bb.12644:                            ;   in Loop: Header=BB6_8449 Depth=2
	s_and_not1_saveexec_b32 s7, s7
; %bb.12645:                            ;   in Loop: Header=BB6_8449 Depth=2
	s_delay_alu instid0(VALU_DEP_1)
	v_bfe_u32 v4, v2, 23, 1
; %bb.12646:                            ;   in Loop: Header=BB6_8449 Depth=2
	s_or_b32 exec_lo, exec_lo, s7
	s_delay_alu instid0(VALU_DEP_2) | instskip(NEXT) | instid1(VALU_DEP_2)
	v_lshrrev_b64 v[2:3], 21, v[2:3]
	v_cmp_gt_i32_e32 vcc_lo, 32, v4
	v_min_i32_e32 v5, 31, v4
	v_cmp_eq_u32_e64 s7, 0, v4
	s_delay_alu instid0(VALU_DEP_2) | instskip(SKIP_1) | instid1(VALU_DEP_2)
	v_dual_cndmask_b32 v3, 0, v3, vcc_lo :: v_dual_lshlrev_b32 v5, 2, v5
	v_cndmask_b32_e32 v2, 3, v2, vcc_lo
	v_and_b32_e32 v5, 0xfc, v5
	s_delay_alu instid0(VALU_DEP_2) | instskip(NEXT) | instid1(VALU_DEP_2)
	v_cmp_eq_u64_e32 vcc_lo, 0, v[2:3]
	v_and_or_b32 v2, v2, 3, v5
	s_and_b32 s7, s7, vcc_lo
	s_delay_alu instid0(VALU_DEP_1) | instid1(SALU_CYCLE_1)
	v_cndmask_b32_e64 v2, v2, 0, s7
	s_delay_alu instid0(VALU_DEP_1)
	v_or_b32_e32 v11, v2, v26
.LBB6_12647:                            ;   in Loop: Header=BB6_8449 Depth=2
	s_or_b32 exec_lo, exec_lo, s40
                                        ; implicit-def: $vgpr26
.LBB6_12648:                            ;   in Loop: Header=BB6_8449 Depth=2
	s_and_not1_saveexec_b32 s7, s29
; %bb.12649:                            ;   in Loop: Header=BB6_8449 Depth=2
	v_or_b32_e32 v11, 0x7b, v26
; %bb.12650:                            ;   in Loop: Header=BB6_8449 Depth=2
	s_or_b32 exec_lo, exec_lo, s7
                                        ; implicit-def: $vgpr4
                                        ; implicit-def: $vgpr2_vgpr3
                                        ; implicit-def: $vgpr5
.LBB6_12651:                            ;   in Loop: Header=BB6_8449 Depth=2
	s_and_not1_saveexec_b32 s7, s28
	s_cbranch_execz .LBB6_12657
; %bb.12652:                            ;   in Loop: Header=BB6_8449 Depth=2
	s_mov_b32 s28, exec_lo
                                        ; implicit-def: $vgpr11
	v_cmpx_ne_u64_e32 0, v[2:3]
	s_xor_b32 s28, exec_lo, s28
; %bb.12653:                            ;   in Loop: Header=BB6_8449 Depth=2
	v_or_b32_e32 v11, 0x7f, v5
                                        ; implicit-def: $vgpr4
; %bb.12654:                            ;   in Loop: Header=BB6_8449 Depth=2
	s_and_not1_saveexec_b32 s28, s28
; %bb.12655:                            ;   in Loop: Header=BB6_8449 Depth=2
	v_cmp_lt_i32_e32 vcc_lo, -1, v4
	v_mov_b32_e32 v2, 0x7c
	s_delay_alu instid0(VALU_DEP_1)
	v_cndmask_b32_e32 v11, 0xfc, v2, vcc_lo
; %bb.12656:                            ;   in Loop: Header=BB6_8449 Depth=2
	s_or_b32 exec_lo, exec_lo, s28
.LBB6_12657:                            ;   in Loop: Header=BB6_8449 Depth=2
	s_delay_alu instid0(SALU_CYCLE_1) | instskip(SKIP_3) | instid1(VALU_DEP_2)
	s_or_b32 exec_lo, exec_lo, s7
	v_lshrrev_b16 v2, 8, v31
	v_dual_mov_b32 v4, 0 :: v_dual_mov_b32 v5, 0
	s_mov_b32 s28, exec_lo
	v_cmpx_ne_u16_e32 0, v2
	s_cbranch_execz .LBB6_12667
; %bb.12658:                            ;   in Loop: Header=BB6_8449 Depth=2
	v_bfrev_b32_e32 v5, 1
	s_mov_b32 s29, exec_lo
	v_cmpx_ne_u16_e32 0x80, v2
	s_cbranch_execz .LBB6_12666
; %bb.12659:                            ;   in Loop: Header=BB6_8449 Depth=2
	v_and_b32_e32 v26, 0xffff, v2
	s_delay_alu instid0(VALU_DEP_1) | instskip(SKIP_1) | instid1(VALU_DEP_2)
	v_and_b32_e32 v5, 0x7c, v26
	v_and_b32_e32 v3, 3, v26
	v_cmp_ne_u32_e32 vcc_lo, 0x7c, v5
                                        ; implicit-def: $vgpr5
	s_and_saveexec_b32 s7, vcc_lo
	s_delay_alu instid0(SALU_CYCLE_1)
	s_xor_b32 s7, exec_lo, s7
	s_cbranch_execz .LBB6_12663
; %bb.12660:                            ;   in Loop: Header=BB6_8449 Depth=2
	v_bfe_u32 v5, v26, 2, 5
	s_mov_b32 s40, exec_lo
	s_delay_alu instid0(VALU_DEP_1)
	v_cmpx_eq_u32_e32 0, v5
	s_cbranch_execz .LBB6_12662
; %bb.12661:                            ;   in Loop: Header=BB6_8449 Depth=2
	v_clz_i32_u32_e32 v3, v3
	s_delay_alu instid0(VALU_DEP_1) | instskip(SKIP_1) | instid1(VALU_DEP_2)
	v_min_u32_e32 v5, 32, v3
	v_mov_b32_e32 v3, v1
	v_subrev_nc_u32_e32 v26, 29, v5
	v_sub_nc_u32_e32 v5, 30, v5
	s_delay_alu instid0(VALU_DEP_2) | instskip(NEXT) | instid1(VALU_DEP_1)
	v_lshlrev_b64_e32 v[2:3], v26, v[2:3]
	v_and_b32_e32 v3, 3, v2
.LBB6_12662:                            ;   in Loop: Header=BB6_8449 Depth=2
	s_or_b32 exec_lo, exec_lo, s40
	v_lshlrev_b32_e32 v2, 16, v31
                                        ; implicit-def: $vgpr31
	s_delay_alu instid0(VALU_DEP_1) | instskip(NEXT) | instid1(VALU_DEP_1)
	v_and_b32_e32 v2, 0x80000000, v2
	v_lshl_add_u32 v2, v5, 23, v2
	s_delay_alu instid0(VALU_DEP_1) | instskip(NEXT) | instid1(VALU_DEP_1)
	v_lshl_or_b32 v2, v3, 21, v2
                                        ; implicit-def: $vgpr3
	v_add_nc_u32_e32 v5, 0x38000000, v2
.LBB6_12663:                            ;   in Loop: Header=BB6_8449 Depth=2
	s_and_not1_saveexec_b32 s40, s7
; %bb.12664:                            ;   in Loop: Header=BB6_8449 Depth=2
	v_cmp_lt_i16_e64 s7, -1, v31
	v_mov_b32_e32 v2, 0x7f800000
	v_cmp_eq_u32_e32 vcc_lo, 0, v3
	s_delay_alu instid0(VALU_DEP_2) | instskip(NEXT) | instid1(VALU_DEP_1)
	v_cndmask_b32_e64 v2, 0xff800000, v2, s7
	v_cndmask_b32_e32 v5, 0x7f800001, v2, vcc_lo
; %bb.12665:                            ;   in Loop: Header=BB6_8449 Depth=2
	s_or_b32 exec_lo, exec_lo, s40
.LBB6_12666:                            ;   in Loop: Header=BB6_8449 Depth=2
	s_delay_alu instid0(SALU_CYCLE_1)
	s_or_b32 exec_lo, exec_lo, s29
.LBB6_12667:                            ;   in Loop: Header=BB6_8449 Depth=2
	s_delay_alu instid0(SALU_CYCLE_1) | instskip(SKIP_2) | instid1(VALU_DEP_1)
	s_or_b32 exec_lo, exec_lo, s28
	v_lshrrev_b16 v2, 8, v12
	s_mov_b32 s28, exec_lo
	v_cmpx_ne_u16_e32 0, v2
	s_cbranch_execz .LBB6_12677
; %bb.12668:                            ;   in Loop: Header=BB6_8449 Depth=2
	v_bfrev_b32_e32 v4, 1
	s_mov_b32 s29, exec_lo
	v_cmpx_ne_u16_e32 0x80, v2
	s_cbranch_execz .LBB6_12676
; %bb.12669:                            ;   in Loop: Header=BB6_8449 Depth=2
	v_and_b32_e32 v26, 0xffff, v2
	s_delay_alu instid0(VALU_DEP_1) | instskip(SKIP_1) | instid1(VALU_DEP_2)
	v_and_b32_e32 v4, 0x7c, v26
	v_and_b32_e32 v3, 3, v26
	v_cmp_ne_u32_e32 vcc_lo, 0x7c, v4
                                        ; implicit-def: $vgpr4
	s_and_saveexec_b32 s7, vcc_lo
	s_delay_alu instid0(SALU_CYCLE_1)
	s_xor_b32 s7, exec_lo, s7
	s_cbranch_execz .LBB6_12673
; %bb.12670:                            ;   in Loop: Header=BB6_8449 Depth=2
	v_bfe_u32 v4, v26, 2, 5
	s_mov_b32 s40, exec_lo
	s_delay_alu instid0(VALU_DEP_1)
	v_cmpx_eq_u32_e32 0, v4
	s_cbranch_execz .LBB6_12672
; %bb.12671:                            ;   in Loop: Header=BB6_8449 Depth=2
	v_clz_i32_u32_e32 v3, v3
	s_delay_alu instid0(VALU_DEP_1) | instskip(SKIP_1) | instid1(VALU_DEP_2)
	v_min_u32_e32 v4, 32, v3
	v_mov_b32_e32 v3, v1
	v_subrev_nc_u32_e32 v26, 29, v4
	v_sub_nc_u32_e32 v4, 30, v4
	s_delay_alu instid0(VALU_DEP_2) | instskip(NEXT) | instid1(VALU_DEP_1)
	v_lshlrev_b64_e32 v[2:3], v26, v[2:3]
	v_and_b32_e32 v3, 3, v2
.LBB6_12672:                            ;   in Loop: Header=BB6_8449 Depth=2
	s_or_b32 exec_lo, exec_lo, s40
	v_lshlrev_b32_e32 v2, 16, v12
	s_delay_alu instid0(VALU_DEP_1) | instskip(NEXT) | instid1(VALU_DEP_1)
	v_and_b32_e32 v2, 0x80000000, v2
	v_lshl_add_u32 v2, v4, 23, v2
	s_delay_alu instid0(VALU_DEP_1) | instskip(NEXT) | instid1(VALU_DEP_1)
	v_lshl_or_b32 v2, v3, 21, v2
                                        ; implicit-def: $vgpr3
	v_add_nc_u32_e32 v4, 0x38000000, v2
.LBB6_12673:                            ;   in Loop: Header=BB6_8449 Depth=2
	s_and_not1_saveexec_b32 s40, s7
; %bb.12674:                            ;   in Loop: Header=BB6_8449 Depth=2
	v_cmp_lt_i16_e64 s7, -1, v12
	v_mov_b32_e32 v2, 0x7f800000
	v_cmp_eq_u32_e32 vcc_lo, 0, v3
	s_delay_alu instid0(VALU_DEP_2) | instskip(NEXT) | instid1(VALU_DEP_1)
	v_cndmask_b32_e64 v2, 0xff800000, v2, s7
	v_cndmask_b32_e32 v4, 0x7f800001, v2, vcc_lo
; %bb.12675:                            ;   in Loop: Header=BB6_8449 Depth=2
	s_or_b32 exec_lo, exec_lo, s40
.LBB6_12676:                            ;   in Loop: Header=BB6_8449 Depth=2
	s_delay_alu instid0(SALU_CYCLE_1)
	s_or_b32 exec_lo, exec_lo, s29
.LBB6_12677:                            ;   in Loop: Header=BB6_8449 Depth=2
	s_delay_alu instid0(SALU_CYCLE_1) | instskip(NEXT) | instid1(VALU_DEP_1)
	s_or_b32 exec_lo, exec_lo, s28
	v_add_f32_e32 v4, v5, v4
	v_dual_mov_b32 v63, v1 :: v_dual_mov_b32 v3, v1
                                        ; implicit-def: $vgpr26
	s_mov_b32 s7, exec_lo
	s_delay_alu instid0(VALU_DEP_2) | instskip(SKIP_2) | instid1(VALU_DEP_3)
	v_and_b32_e32 v62, 0x7f800000, v4
	v_and_b32_e32 v2, 0x7fffff, v4
	v_lshrrev_b32_e32 v5, 24, v4
	v_cmpx_ne_u64_e32 0x7f800000, v[62:63]
	s_xor_b32 s28, exec_lo, s7
	s_cbranch_execz .LBB6_12691
; %bb.12678:                            ;   in Loop: Header=BB6_8449 Depth=2
	v_and_b32_e32 v62, 0x7fffffff, v4
	v_mov_b32_e32 v63, v1
	v_and_b32_e32 v31, 0x80, v5
                                        ; implicit-def: $vgpr26
	s_mov_b32 s7, exec_lo
	s_delay_alu instid0(VALU_DEP_2)
	v_cmpx_gt_u64_e32 0x47600001, v[62:63]
	s_xor_b32 s29, exec_lo, s7
	s_cbranch_execz .LBB6_12688
; %bb.12679:                            ;   in Loop: Header=BB6_8449 Depth=2
	v_mov_b32_e32 v26, 0
	s_mov_b32 s40, exec_lo
	v_cmpx_ne_u32_e32 0, v4
	s_cbranch_execz .LBB6_12687
; %bb.12680:                            ;   in Loop: Header=BB6_8449 Depth=2
	v_bfe_u32 v26, v4, 23, 8
	v_or_b32_e32 v5, 0x800000, v2
	s_delay_alu instid0(VALU_DEP_2) | instskip(SKIP_2) | instid1(VALU_DEP_2)
	v_cmp_gt_u32_e64 s7, 0x72, v26
	v_sub_nc_u32_e32 v4, 0x71, v26
	v_cmp_eq_u32_e32 vcc_lo, 0, v26
	v_dual_cndmask_b32 v4, 0, v4, s7 :: v_dual_cndmask_b32 v2, v5, v2, vcc_lo
	s_delay_alu instid0(VALU_DEP_1) | instskip(NEXT) | instid1(VALU_DEP_1)
	v_cndmask_b32_e64 v34, v4, 0x70, vcc_lo
	v_dual_add_nc_u32 v4, 21, v34 :: v_dual_add_nc_u32 v37, 20, v34
	s_delay_alu instid0(VALU_DEP_1) | instskip(NEXT) | instid1(VALU_DEP_2)
	v_lshlrev_b64_e64 v[4:5], v4, -1
	v_lshlrev_b64_e64 v[62:63], v37, 1
	s_delay_alu instid0(VALU_DEP_2) | instskip(SKIP_1) | instid1(VALU_DEP_4)
	v_bfi_b32 v4, v4, 0, v2
	v_lshrrev_b64 v[2:3], v34, v[2:3]
	v_bfi_b32 v5, v5, 0, 0
	s_delay_alu instid0(VALU_DEP_1) | instskip(NEXT) | instid1(VALU_DEP_3)
	v_cmp_eq_u64_e64 s7, v[4:5], v[62:63]
	v_mov_b64_e32 v[4:5], v[2:3]
	s_and_saveexec_b32 s41, s7
; %bb.12681:                            ;   in Loop: Header=BB6_8449 Depth=2
	v_bfe_u32 v4, v2, 21, 1
	v_mov_b32_e32 v5, v1
	s_delay_alu instid0(VALU_DEP_1) | instskip(NEXT) | instid1(VALU_DEP_1)
	v_add_nc_u64_e32 v[4:5], v[2:3], v[4:5]
	v_add_nc_u64_e32 v[4:5], -1, v[4:5]
; %bb.12682:                            ;   in Loop: Header=BB6_8449 Depth=2
	s_or_b32 exec_lo, exec_lo, s41
	v_add_nc_u32_e32 v3, 0xffffff81, v26
	v_lshrrev_b32_e32 v5, 23, v2
	s_mov_b32 s7, exec_lo
	s_delay_alu instid0(VALU_DEP_2) | instskip(NEXT) | instid1(VALU_DEP_1)
	v_cndmask_b32_e64 v3, v3, 0xffffff82, vcc_lo
	v_add3_u32 v26, v34, v3, v5
	v_and_b32_e32 v3, 0x1fffff, v4
                                        ; implicit-def: $vgpr4
	s_delay_alu instid0(VALU_DEP_2) | instskip(NEXT) | instid1(VALU_DEP_2)
	v_add_nc_u32_e32 v5, 14, v26
	v_dual_mov_b32 v3, v1 :: v_dual_add_nc_u32 v2, v3, v2
	s_delay_alu instid0(VALU_DEP_2)
	v_cmpx_ne_u32_e32 0, v5
	s_xor_b32 s7, exec_lo, s7
; %bb.12683:                            ;   in Loop: Header=BB6_8449 Depth=2
	s_delay_alu instid0(VALU_DEP_2) | instskip(SKIP_1) | instid1(VALU_DEP_1)
	v_cmp_lt_u64_e32 vcc_lo, 0xffffff, v[2:3]
	v_add_nc_u32_e32 v4, 15, v26
	v_cndmask_b32_e32 v4, v5, v4, vcc_lo
	v_cndmask_b32_e64 v5, 0, 1, vcc_lo
	s_delay_alu instid0(VALU_DEP_1)
	v_lshrrev_b64 v[2:3], v5, v[2:3]
; %bb.12684:                            ;   in Loop: Header=BB6_8449 Depth=2
	s_and_not1_saveexec_b32 s7, s7
; %bb.12685:                            ;   in Loop: Header=BB6_8449 Depth=2
	s_delay_alu instid0(VALU_DEP_1)
	v_bfe_u32 v4, v2, 23, 1
; %bb.12686:                            ;   in Loop: Header=BB6_8449 Depth=2
	s_or_b32 exec_lo, exec_lo, s7
	s_delay_alu instid0(VALU_DEP_2) | instskip(NEXT) | instid1(VALU_DEP_2)
	v_lshrrev_b64 v[2:3], 21, v[2:3]
	v_cmp_gt_i32_e32 vcc_lo, 32, v4
	v_min_i32_e32 v5, 31, v4
	v_cmp_eq_u32_e64 s7, 0, v4
	s_delay_alu instid0(VALU_DEP_2) | instskip(SKIP_1) | instid1(VALU_DEP_2)
	v_dual_cndmask_b32 v3, 0, v3, vcc_lo :: v_dual_lshlrev_b32 v5, 2, v5
	v_cndmask_b32_e32 v2, 3, v2, vcc_lo
	v_and_b32_e32 v5, 0xfc, v5
	s_delay_alu instid0(VALU_DEP_2) | instskip(NEXT) | instid1(VALU_DEP_2)
	v_cmp_eq_u64_e32 vcc_lo, 0, v[2:3]
	v_and_or_b32 v2, v2, 3, v5
	s_and_b32 s7, s7, vcc_lo
	s_delay_alu instid0(VALU_DEP_1) | instid1(SALU_CYCLE_1)
	v_cndmask_b32_e64 v2, v2, 0, s7
	s_delay_alu instid0(VALU_DEP_1)
	v_or_b32_e32 v26, v2, v31
.LBB6_12687:                            ;   in Loop: Header=BB6_8449 Depth=2
	s_or_b32 exec_lo, exec_lo, s40
                                        ; implicit-def: $vgpr31
.LBB6_12688:                            ;   in Loop: Header=BB6_8449 Depth=2
	s_and_not1_saveexec_b32 s7, s29
; %bb.12689:                            ;   in Loop: Header=BB6_8449 Depth=2
	v_or_b32_e32 v26, 0x7b, v31
; %bb.12690:                            ;   in Loop: Header=BB6_8449 Depth=2
	s_or_b32 exec_lo, exec_lo, s7
                                        ; implicit-def: $vgpr4
                                        ; implicit-def: $vgpr2_vgpr3
                                        ; implicit-def: $vgpr5
.LBB6_12691:                            ;   in Loop: Header=BB6_8449 Depth=2
	s_and_not1_saveexec_b32 s7, s28
	s_cbranch_execz .LBB6_12697
; %bb.12692:                            ;   in Loop: Header=BB6_8449 Depth=2
	s_mov_b32 s28, exec_lo
                                        ; implicit-def: $vgpr26
	v_cmpx_ne_u64_e32 0, v[2:3]
	s_xor_b32 s28, exec_lo, s28
; %bb.12693:                            ;   in Loop: Header=BB6_8449 Depth=2
	v_or_b32_e32 v26, 0x7f, v5
                                        ; implicit-def: $vgpr4
; %bb.12694:                            ;   in Loop: Header=BB6_8449 Depth=2
	s_and_not1_saveexec_b32 s28, s28
; %bb.12695:                            ;   in Loop: Header=BB6_8449 Depth=2
	v_cmp_lt_i32_e32 vcc_lo, -1, v4
	v_mov_b32_e32 v2, 0x7c
	s_delay_alu instid0(VALU_DEP_1)
	v_cndmask_b32_e32 v26, 0xfc, v2, vcc_lo
; %bb.12696:                            ;   in Loop: Header=BB6_8449 Depth=2
	s_or_b32 exec_lo, exec_lo, s28
.LBB6_12697:                            ;   in Loop: Header=BB6_8449 Depth=2
	s_delay_alu instid0(SALU_CYCLE_1) | instskip(SKIP_3) | instid1(VALU_DEP_2)
	s_or_b32 exec_lo, exec_lo, s7
	v_dual_mov_b32 v3, 0 :: v_dual_lshrrev_b32 v2, 16, v0
	v_mov_b32_e32 v4, 0
	s_mov_b32 s28, exec_lo
	v_and_b32_e32 v5, 0xff, v2
	s_delay_alu instid0(VALU_DEP_1)
	v_cmpx_ne_u16_e32 0, v5
	s_cbranch_execz .LBB6_12707
; %bb.12698:                            ;   in Loop: Header=BB6_8449 Depth=2
	v_bfrev_b32_e32 v4, 1
	s_mov_b32 s29, exec_lo
	v_cmpx_ne_u16_e32 0x80, v5
	s_cbranch_execz .LBB6_12706
; %bb.12699:                            ;   in Loop: Header=BB6_8449 Depth=2
	v_and_b32_e32 v4, 0x7c0000, v0
	v_bfe_u32 v5, v0, 16, 2
	s_delay_alu instid0(VALU_DEP_2) | instskip(SKIP_1) | instid1(SALU_CYCLE_1)
	v_cmp_ne_u32_e32 vcc_lo, 0x7c0000, v4
                                        ; implicit-def: $vgpr4
	s_and_saveexec_b32 s7, vcc_lo
	s_xor_b32 s7, exec_lo, s7
	s_cbranch_execz .LBB6_12703
; %bb.12700:                            ;   in Loop: Header=BB6_8449 Depth=2
	v_bfe_u32 v4, v0, 18, 5
	s_mov_b32 s40, exec_lo
	s_delay_alu instid0(VALU_DEP_1)
	v_cmpx_eq_u32_e32 0, v4
; %bb.12701:                            ;   in Loop: Header=BB6_8449 Depth=2
	v_clz_i32_u32_e32 v4, v5
	s_delay_alu instid0(VALU_DEP_1) | instskip(NEXT) | instid1(VALU_DEP_1)
	v_min_u32_e32 v4, 32, v4
	v_subrev_nc_u32_e32 v5, 29, v4
	s_delay_alu instid0(VALU_DEP_1) | instskip(NEXT) | instid1(VALU_DEP_1)
	v_lshlrev_b64_e32 v[62:63], v5, v[2:3]
	v_dual_sub_nc_u32 v4, 30, v4 :: v_dual_bitop2_b32 v5, 3, v62 bitop3:0x40
; %bb.12702:                            ;   in Loop: Header=BB6_8449 Depth=2
	s_or_b32 exec_lo, exec_lo, s40
	v_lshlrev_b32_e32 v2, 24, v2
	s_delay_alu instid0(VALU_DEP_1) | instskip(NEXT) | instid1(VALU_DEP_1)
	v_and_b32_e32 v2, 0x80000000, v2
	v_lshl_add_u32 v2, v4, 23, v2
	s_delay_alu instid0(VALU_DEP_1) | instskip(NEXT) | instid1(VALU_DEP_1)
	v_lshl_or_b32 v2, v5, 21, v2
                                        ; implicit-def: $vgpr5
	v_add_nc_u32_e32 v4, 0x38000000, v2
                                        ; implicit-def: $vgpr2
.LBB6_12703:                            ;   in Loop: Header=BB6_8449 Depth=2
	s_and_not1_saveexec_b32 s40, s7
; %bb.12704:                            ;   in Loop: Header=BB6_8449 Depth=2
	v_bfe_i32 v2, v2, 0, 8
	v_cmp_eq_u32_e32 vcc_lo, 0, v5
	s_delay_alu instid0(VALU_DEP_2) | instskip(SKIP_1) | instid1(VALU_DEP_1)
	v_cmp_lt_i16_e64 s7, -1, v2
	v_mov_b32_e32 v2, 0x7f800000
	v_cndmask_b32_e64 v2, 0xff800000, v2, s7
	s_delay_alu instid0(VALU_DEP_1)
	v_cndmask_b32_e32 v4, 0x7f800001, v2, vcc_lo
; %bb.12705:                            ;   in Loop: Header=BB6_8449 Depth=2
	s_or_b32 exec_lo, exec_lo, s40
.LBB6_12706:                            ;   in Loop: Header=BB6_8449 Depth=2
	s_delay_alu instid0(SALU_CYCLE_1)
	s_or_b32 exec_lo, exec_lo, s29
.LBB6_12707:                            ;   in Loop: Header=BB6_8449 Depth=2
	s_delay_alu instid0(SALU_CYCLE_1) | instskip(SKIP_2) | instid1(VALU_DEP_1)
	s_or_b32 exec_lo, exec_lo, s28
	v_lshrrev_b32_e32 v2, 16, v12
	s_mov_b32 s28, exec_lo
	v_and_b32_e32 v5, 0xff, v2
	s_delay_alu instid0(VALU_DEP_1)
	v_cmpx_ne_u16_e32 0, v5
	s_cbranch_execz .LBB6_12717
; %bb.12708:                            ;   in Loop: Header=BB6_8449 Depth=2
	v_bfrev_b32_e32 v3, 1
	s_mov_b32 s29, exec_lo
	v_cmpx_ne_u16_e32 0x80, v5
	s_cbranch_execz .LBB6_12716
; %bb.12709:                            ;   in Loop: Header=BB6_8449 Depth=2
	v_and_b32_e32 v3, 0x7c0000, v12
	v_bfe_u32 v5, v12, 16, 2
	s_delay_alu instid0(VALU_DEP_2) | instskip(SKIP_1) | instid1(SALU_CYCLE_1)
	v_cmp_ne_u32_e32 vcc_lo, 0x7c0000, v3
                                        ; implicit-def: $vgpr3
	s_and_saveexec_b32 s7, vcc_lo
	s_xor_b32 s7, exec_lo, s7
	s_cbranch_execz .LBB6_12713
; %bb.12710:                            ;   in Loop: Header=BB6_8449 Depth=2
	v_bfe_u32 v3, v12, 18, 5
	s_mov_b32 s40, exec_lo
	s_delay_alu instid0(VALU_DEP_1)
	v_cmpx_eq_u32_e32 0, v3
; %bb.12711:                            ;   in Loop: Header=BB6_8449 Depth=2
	v_clz_i32_u32_e32 v3, v5
	s_delay_alu instid0(VALU_DEP_1) | instskip(NEXT) | instid1(VALU_DEP_1)
	v_min_u32_e32 v3, 32, v3
	v_subrev_nc_u32_e32 v5, 29, v3
	s_delay_alu instid0(VALU_DEP_1) | instskip(NEXT) | instid1(VALU_DEP_1)
	v_lshlrev_b64_e32 v[62:63], v5, v[2:3]
	v_dual_sub_nc_u32 v3, 30, v3 :: v_dual_bitop2_b32 v5, 3, v62 bitop3:0x40
; %bb.12712:                            ;   in Loop: Header=BB6_8449 Depth=2
	s_or_b32 exec_lo, exec_lo, s40
	v_lshlrev_b32_e32 v2, 24, v2
	s_delay_alu instid0(VALU_DEP_1) | instskip(NEXT) | instid1(VALU_DEP_1)
	v_and_b32_e32 v2, 0x80000000, v2
	v_lshl_add_u32 v2, v3, 23, v2
	s_delay_alu instid0(VALU_DEP_1) | instskip(NEXT) | instid1(VALU_DEP_1)
	v_lshl_or_b32 v2, v5, 21, v2
                                        ; implicit-def: $vgpr5
	v_add_nc_u32_e32 v3, 0x38000000, v2
                                        ; implicit-def: $vgpr2
.LBB6_12713:                            ;   in Loop: Header=BB6_8449 Depth=2
	s_and_not1_saveexec_b32 s40, s7
; %bb.12714:                            ;   in Loop: Header=BB6_8449 Depth=2
	v_bfe_i32 v2, v2, 0, 8
	v_cmp_eq_u32_e32 vcc_lo, 0, v5
	s_delay_alu instid0(VALU_DEP_2) | instskip(SKIP_1) | instid1(VALU_DEP_1)
	v_cmp_lt_i16_e64 s7, -1, v2
	v_mov_b32_e32 v2, 0x7f800000
	v_cndmask_b32_e64 v2, 0xff800000, v2, s7
	s_delay_alu instid0(VALU_DEP_1)
	v_cndmask_b32_e32 v3, 0x7f800001, v2, vcc_lo
; %bb.12715:                            ;   in Loop: Header=BB6_8449 Depth=2
	s_or_b32 exec_lo, exec_lo, s40
.LBB6_12716:                            ;   in Loop: Header=BB6_8449 Depth=2
	s_delay_alu instid0(SALU_CYCLE_1)
	s_or_b32 exec_lo, exec_lo, s29
.LBB6_12717:                            ;   in Loop: Header=BB6_8449 Depth=2
	s_delay_alu instid0(SALU_CYCLE_1) | instskip(NEXT) | instid1(VALU_DEP_1)
	s_or_b32 exec_lo, exec_lo, s28
	v_dual_add_f32 v4, v4, v3 :: v_dual_mov_b32 v63, v1
	v_mov_b32_e32 v3, v1
                                        ; implicit-def: $vgpr31
	s_mov_b32 s7, exec_lo
	s_delay_alu instid0(VALU_DEP_2) | instskip(SKIP_2) | instid1(VALU_DEP_3)
	v_and_b32_e32 v62, 0x7f800000, v4
	v_and_b32_e32 v2, 0x7fffff, v4
	v_lshrrev_b32_e32 v5, 24, v4
	v_cmpx_ne_u64_e32 0x7f800000, v[62:63]
	s_xor_b32 s28, exec_lo, s7
	s_cbranch_execz .LBB6_12731
; %bb.12718:                            ;   in Loop: Header=BB6_8449 Depth=2
	v_and_b32_e32 v62, 0x7fffffff, v4
	v_mov_b32_e32 v63, v1
	v_and_b32_e32 v34, 0x80, v5
                                        ; implicit-def: $vgpr31
	s_mov_b32 s7, exec_lo
	s_delay_alu instid0(VALU_DEP_2)
	v_cmpx_gt_u64_e32 0x47600001, v[62:63]
	s_xor_b32 s29, exec_lo, s7
	s_cbranch_execz .LBB6_12728
; %bb.12719:                            ;   in Loop: Header=BB6_8449 Depth=2
	v_mov_b32_e32 v31, 0
	s_mov_b32 s40, exec_lo
	v_cmpx_ne_u32_e32 0, v4
	s_cbranch_execz .LBB6_12727
; %bb.12720:                            ;   in Loop: Header=BB6_8449 Depth=2
	v_bfe_u32 v31, v4, 23, 8
	v_or_b32_e32 v5, 0x800000, v2
	s_delay_alu instid0(VALU_DEP_2) | instskip(SKIP_2) | instid1(VALU_DEP_2)
	v_cmp_gt_u32_e64 s7, 0x72, v31
	v_sub_nc_u32_e32 v4, 0x71, v31
	v_cmp_eq_u32_e32 vcc_lo, 0, v31
	v_dual_cndmask_b32 v4, 0, v4, s7 :: v_dual_cndmask_b32 v2, v5, v2, vcc_lo
	s_delay_alu instid0(VALU_DEP_1) | instskip(NEXT) | instid1(VALU_DEP_1)
	v_cndmask_b32_e64 v37, v4, 0x70, vcc_lo
	v_dual_add_nc_u32 v4, 21, v37 :: v_dual_add_nc_u32 v50, 20, v37
	s_delay_alu instid0(VALU_DEP_1) | instskip(NEXT) | instid1(VALU_DEP_2)
	v_lshlrev_b64_e64 v[4:5], v4, -1
	v_lshlrev_b64_e64 v[62:63], v50, 1
	s_delay_alu instid0(VALU_DEP_2) | instskip(SKIP_1) | instid1(VALU_DEP_4)
	v_bfi_b32 v4, v4, 0, v2
	v_lshrrev_b64 v[2:3], v37, v[2:3]
	v_bfi_b32 v5, v5, 0, 0
	s_delay_alu instid0(VALU_DEP_1) | instskip(NEXT) | instid1(VALU_DEP_3)
	v_cmp_eq_u64_e64 s7, v[4:5], v[62:63]
	v_mov_b64_e32 v[4:5], v[2:3]
	s_and_saveexec_b32 s41, s7
; %bb.12721:                            ;   in Loop: Header=BB6_8449 Depth=2
	v_bfe_u32 v4, v2, 21, 1
	v_mov_b32_e32 v5, v1
	s_delay_alu instid0(VALU_DEP_1) | instskip(NEXT) | instid1(VALU_DEP_1)
	v_add_nc_u64_e32 v[4:5], v[2:3], v[4:5]
	v_add_nc_u64_e32 v[4:5], -1, v[4:5]
; %bb.12722:                            ;   in Loop: Header=BB6_8449 Depth=2
	s_or_b32 exec_lo, exec_lo, s41
	v_add_nc_u32_e32 v3, 0xffffff81, v31
	v_lshrrev_b32_e32 v5, 23, v2
	s_mov_b32 s7, exec_lo
	s_delay_alu instid0(VALU_DEP_2) | instskip(NEXT) | instid1(VALU_DEP_1)
	v_cndmask_b32_e64 v3, v3, 0xffffff82, vcc_lo
	v_add3_u32 v31, v37, v3, v5
	v_and_b32_e32 v3, 0x1fffff, v4
                                        ; implicit-def: $vgpr4
	s_delay_alu instid0(VALU_DEP_1) | instskip(SKIP_1) | instid1(VALU_DEP_2)
	v_dual_add_nc_u32 v5, 14, v31 :: v_dual_add_nc_u32 v2, v3, v2
	v_mov_b32_e32 v3, v1
	v_cmpx_ne_u32_e32 0, v5
	s_xor_b32 s7, exec_lo, s7
; %bb.12723:                            ;   in Loop: Header=BB6_8449 Depth=2
	s_delay_alu instid0(VALU_DEP_2) | instskip(SKIP_1) | instid1(VALU_DEP_1)
	v_cmp_lt_u64_e32 vcc_lo, 0xffffff, v[2:3]
	v_add_nc_u32_e32 v4, 15, v31
	v_cndmask_b32_e32 v4, v5, v4, vcc_lo
	v_cndmask_b32_e64 v5, 0, 1, vcc_lo
	s_delay_alu instid0(VALU_DEP_1)
	v_lshrrev_b64 v[2:3], v5, v[2:3]
; %bb.12724:                            ;   in Loop: Header=BB6_8449 Depth=2
	s_and_not1_saveexec_b32 s7, s7
; %bb.12725:                            ;   in Loop: Header=BB6_8449 Depth=2
	s_delay_alu instid0(VALU_DEP_1)
	v_bfe_u32 v4, v2, 23, 1
; %bb.12726:                            ;   in Loop: Header=BB6_8449 Depth=2
	s_or_b32 exec_lo, exec_lo, s7
	s_delay_alu instid0(VALU_DEP_2) | instskip(NEXT) | instid1(VALU_DEP_2)
	v_lshrrev_b64 v[2:3], 21, v[2:3]
	v_cmp_gt_i32_e32 vcc_lo, 32, v4
	v_min_i32_e32 v5, 31, v4
	v_cmp_eq_u32_e64 s7, 0, v4
	s_delay_alu instid0(VALU_DEP_2) | instskip(SKIP_1) | instid1(VALU_DEP_2)
	v_dual_cndmask_b32 v3, 0, v3, vcc_lo :: v_dual_lshlrev_b32 v5, 2, v5
	v_cndmask_b32_e32 v2, 3, v2, vcc_lo
	v_and_b32_e32 v5, 0xfc, v5
	s_delay_alu instid0(VALU_DEP_2) | instskip(NEXT) | instid1(VALU_DEP_2)
	v_cmp_eq_u64_e32 vcc_lo, 0, v[2:3]
	v_and_or_b32 v2, v2, 3, v5
	s_and_b32 s7, s7, vcc_lo
	s_delay_alu instid0(VALU_DEP_1) | instid1(SALU_CYCLE_1)
	v_cndmask_b32_e64 v2, v2, 0, s7
	s_delay_alu instid0(VALU_DEP_1)
	v_or_b32_e32 v31, v2, v34
.LBB6_12727:                            ;   in Loop: Header=BB6_8449 Depth=2
	s_or_b32 exec_lo, exec_lo, s40
                                        ; implicit-def: $vgpr34
.LBB6_12728:                            ;   in Loop: Header=BB6_8449 Depth=2
	s_and_not1_saveexec_b32 s7, s29
; %bb.12729:                            ;   in Loop: Header=BB6_8449 Depth=2
	v_or_b32_e32 v31, 0x7b, v34
; %bb.12730:                            ;   in Loop: Header=BB6_8449 Depth=2
	s_or_b32 exec_lo, exec_lo, s7
                                        ; implicit-def: $vgpr4
                                        ; implicit-def: $vgpr2_vgpr3
                                        ; implicit-def: $vgpr5
.LBB6_12731:                            ;   in Loop: Header=BB6_8449 Depth=2
	s_and_not1_saveexec_b32 s7, s28
	s_cbranch_execz .LBB6_12737
; %bb.12732:                            ;   in Loop: Header=BB6_8449 Depth=2
	s_mov_b32 s28, exec_lo
                                        ; implicit-def: $vgpr31
	v_cmpx_ne_u64_e32 0, v[2:3]
	s_xor_b32 s28, exec_lo, s28
; %bb.12733:                            ;   in Loop: Header=BB6_8449 Depth=2
	v_or_b32_e32 v31, 0x7f, v5
                                        ; implicit-def: $vgpr4
; %bb.12734:                            ;   in Loop: Header=BB6_8449 Depth=2
	s_and_not1_saveexec_b32 s28, s28
; %bb.12735:                            ;   in Loop: Header=BB6_8449 Depth=2
	v_cmp_lt_i32_e32 vcc_lo, -1, v4
	v_mov_b32_e32 v2, 0x7c
	s_delay_alu instid0(VALU_DEP_1)
	v_cndmask_b32_e32 v31, 0xfc, v2, vcc_lo
; %bb.12736:                            ;   in Loop: Header=BB6_8449 Depth=2
	s_or_b32 exec_lo, exec_lo, s28
.LBB6_12737:                            ;   in Loop: Header=BB6_8449 Depth=2
	s_delay_alu instid0(SALU_CYCLE_1)
	s_or_b32 exec_lo, exec_lo, s7
	v_dual_mov_b32 v3, 0 :: v_dual_mov_b32 v4, 0
	s_mov_b32 s28, exec_lo
	v_cmpx_lt_u32_e32 0xffffff, v0
	s_cbranch_execz .LBB6_12747
; %bb.12738:                            ;   in Loop: Header=BB6_8449 Depth=2
	v_lshrrev_b32_e32 v2, 24, v0
	v_bfrev_b32_e32 v4, 1
	s_mov_b32 s29, exec_lo
	s_delay_alu instid0(VALU_DEP_2)
	v_cmpx_ne_u32_e32 0x80, v2
	s_cbranch_execz .LBB6_12746
; %bb.12739:                            ;   in Loop: Header=BB6_8449 Depth=2
	v_and_b32_e32 v4, 0x7c000000, v0
	v_bfe_u32 v5, v0, 24, 2
	s_delay_alu instid0(VALU_DEP_2) | instskip(SKIP_1) | instid1(SALU_CYCLE_1)
	v_cmp_ne_u32_e32 vcc_lo, 0x7c000000, v4
                                        ; implicit-def: $vgpr4
	s_and_saveexec_b32 s7, vcc_lo
	s_xor_b32 s7, exec_lo, s7
	s_cbranch_execz .LBB6_12743
; %bb.12740:                            ;   in Loop: Header=BB6_8449 Depth=2
	v_bfe_u32 v4, v0, 26, 5
	s_mov_b32 s40, exec_lo
	s_delay_alu instid0(VALU_DEP_1)
	v_cmpx_eq_u32_e32 0, v4
; %bb.12741:                            ;   in Loop: Header=BB6_8449 Depth=2
	v_clz_i32_u32_e32 v4, v5
	s_delay_alu instid0(VALU_DEP_1) | instskip(NEXT) | instid1(VALU_DEP_1)
	v_min_u32_e32 v4, 32, v4
	v_subrev_nc_u32_e32 v5, 29, v4
	s_delay_alu instid0(VALU_DEP_1) | instskip(NEXT) | instid1(VALU_DEP_1)
	v_lshlrev_b64_e32 v[62:63], v5, v[2:3]
	v_dual_sub_nc_u32 v4, 30, v4 :: v_dual_bitop2_b32 v5, 3, v62 bitop3:0x40
; %bb.12742:                            ;   in Loop: Header=BB6_8449 Depth=2
	s_or_b32 exec_lo, exec_lo, s40
	v_and_b32_e32 v0, 0x80000000, v0
	s_delay_alu instid0(VALU_DEP_1) | instskip(NEXT) | instid1(VALU_DEP_1)
	v_lshl_add_u32 v0, v4, 23, v0
	v_lshl_or_b32 v0, v5, 21, v0
                                        ; implicit-def: $vgpr5
	s_delay_alu instid0(VALU_DEP_1)
	v_add_nc_u32_e32 v4, 0x38000000, v0
.LBB6_12743:                            ;   in Loop: Header=BB6_8449 Depth=2
	s_and_not1_saveexec_b32 s40, s7
; %bb.12744:                            ;   in Loop: Header=BB6_8449 Depth=2
	v_cmp_lt_i32_e64 s7, -1, v0
	v_mov_b32_e32 v0, 0x7f800000
	v_cmp_eq_u32_e32 vcc_lo, 0, v5
	s_delay_alu instid0(VALU_DEP_2) | instskip(NEXT) | instid1(VALU_DEP_1)
	v_cndmask_b32_e64 v0, 0xff800000, v0, s7
	v_cndmask_b32_e32 v4, 0x7f800001, v0, vcc_lo
; %bb.12745:                            ;   in Loop: Header=BB6_8449 Depth=2
	s_or_b32 exec_lo, exec_lo, s40
.LBB6_12746:                            ;   in Loop: Header=BB6_8449 Depth=2
	s_delay_alu instid0(SALU_CYCLE_1)
	s_or_b32 exec_lo, exec_lo, s29
.LBB6_12747:                            ;   in Loop: Header=BB6_8449 Depth=2
	s_delay_alu instid0(SALU_CYCLE_1) | instskip(NEXT) | instid1(SALU_CYCLE_1)
	s_or_b32 exec_lo, exec_lo, s28
	s_mov_b32 s28, exec_lo
	v_cmpx_lt_u32_e32 0xffffff, v12
	s_cbranch_execz .LBB6_12757
; %bb.12748:                            ;   in Loop: Header=BB6_8449 Depth=2
	v_lshrrev_b32_e32 v0, 24, v12
	v_bfrev_b32_e32 v3, 1
	s_mov_b32 s29, exec_lo
	s_delay_alu instid0(VALU_DEP_2)
	v_cmpx_ne_u32_e32 0x80, v0
	s_cbranch_execz .LBB6_12756
; %bb.12749:                            ;   in Loop: Header=BB6_8449 Depth=2
	v_and_b32_e32 v3, 0x7c000000, v12
	v_bfe_u32 v2, v12, 24, 2
	s_delay_alu instid0(VALU_DEP_2) | instskip(SKIP_1) | instid1(SALU_CYCLE_1)
	v_cmp_ne_u32_e32 vcc_lo, 0x7c000000, v3
                                        ; implicit-def: $vgpr3
	s_and_saveexec_b32 s7, vcc_lo
	s_xor_b32 s7, exec_lo, s7
	s_cbranch_execz .LBB6_12753
; %bb.12750:                            ;   in Loop: Header=BB6_8449 Depth=2
	v_bfe_u32 v3, v12, 26, 5
	s_mov_b32 s40, exec_lo
	s_delay_alu instid0(VALU_DEP_1)
	v_cmpx_eq_u32_e32 0, v3
; %bb.12751:                            ;   in Loop: Header=BB6_8449 Depth=2
	v_clz_i32_u32_e32 v2, v2
	s_delay_alu instid0(VALU_DEP_1) | instskip(NEXT) | instid1(VALU_DEP_1)
	v_min_u32_e32 v5, 32, v2
	v_subrev_nc_u32_e32 v2, 29, v5
	s_delay_alu instid0(VALU_DEP_1) | instskip(NEXT) | instid1(VALU_DEP_1)
	v_lshlrev_b64_e32 v[2:3], v2, v[0:1]
	v_dual_sub_nc_u32 v3, 30, v5 :: v_dual_bitop2_b32 v2, 3, v2 bitop3:0x40
; %bb.12752:                            ;   in Loop: Header=BB6_8449 Depth=2
	s_or_b32 exec_lo, exec_lo, s40
	v_and_b32_e32 v0, 0x80000000, v12
	s_delay_alu instid0(VALU_DEP_1) | instskip(NEXT) | instid1(VALU_DEP_1)
	v_lshl_add_u32 v0, v3, 23, v0
	v_lshl_or_b32 v0, v2, 21, v0
                                        ; implicit-def: $vgpr2
	s_delay_alu instid0(VALU_DEP_1)
	v_add_nc_u32_e32 v3, 0x38000000, v0
.LBB6_12753:                            ;   in Loop: Header=BB6_8449 Depth=2
	s_and_not1_saveexec_b32 s40, s7
; %bb.12754:                            ;   in Loop: Header=BB6_8449 Depth=2
	v_cmp_lt_i32_e64 s7, -1, v12
	v_mov_b32_e32 v0, 0x7f800000
	v_cmp_eq_u32_e32 vcc_lo, 0, v2
	s_delay_alu instid0(VALU_DEP_2) | instskip(NEXT) | instid1(VALU_DEP_1)
	v_cndmask_b32_e64 v0, 0xff800000, v0, s7
	v_cndmask_b32_e32 v3, 0x7f800001, v0, vcc_lo
; %bb.12755:                            ;   in Loop: Header=BB6_8449 Depth=2
	s_or_b32 exec_lo, exec_lo, s40
.LBB6_12756:                            ;   in Loop: Header=BB6_8449 Depth=2
	s_delay_alu instid0(SALU_CYCLE_1)
	s_or_b32 exec_lo, exec_lo, s29
.LBB6_12757:                            ;   in Loop: Header=BB6_8449 Depth=2
	s_delay_alu instid0(SALU_CYCLE_1) | instskip(NEXT) | instid1(VALU_DEP_1)
	s_or_b32 exec_lo, exec_lo, s28
	v_dual_add_f32 v2, v4, v3 :: v_dual_mov_b32 v5, v1
                                        ; implicit-def: $vgpr34
	s_mov_b32 s7, exec_lo
	s_delay_alu instid0(VALU_DEP_1) | instskip(SKIP_2) | instid1(VALU_DEP_3)
	v_and_b32_e32 v4, 0x7f800000, v2
	v_and_b32_e32 v0, 0x7fffff, v2
	v_lshrrev_b32_e32 v3, 24, v2
	v_cmpx_ne_u64_e32 0x7f800000, v[4:5]
	s_xor_b32 s28, exec_lo, s7
	s_cbranch_execz .LBB6_12771
; %bb.12758:                            ;   in Loop: Header=BB6_8449 Depth=2
	v_and_b32_e32 v4, 0x7fffffff, v2
	v_mov_b32_e32 v5, v1
	v_and_b32_e32 v37, 0x80, v3
                                        ; implicit-def: $vgpr34
	s_mov_b32 s7, exec_lo
	s_delay_alu instid0(VALU_DEP_2)
	v_cmpx_gt_u64_e32 0x47600001, v[4:5]
	s_xor_b32 s29, exec_lo, s7
	s_cbranch_execz .LBB6_12768
; %bb.12759:                            ;   in Loop: Header=BB6_8449 Depth=2
	v_mov_b32_e32 v34, 0
	s_mov_b32 s40, exec_lo
	v_cmpx_ne_u32_e32 0, v2
	s_cbranch_execz .LBB6_12767
; %bb.12760:                            ;   in Loop: Header=BB6_8449 Depth=2
	v_bfe_u32 v34, v2, 23, 8
	v_or_b32_e32 v3, 0x800000, v0
	s_delay_alu instid0(VALU_DEP_2) | instskip(SKIP_2) | instid1(VALU_DEP_2)
	v_cmp_gt_u32_e64 s7, 0x72, v34
	v_sub_nc_u32_e32 v2, 0x71, v34
	v_cmp_eq_u32_e32 vcc_lo, 0, v34
	v_cndmask_b32_e64 v2, 0, v2, s7
	s_delay_alu instid0(VALU_DEP_1) | instskip(SKIP_1) | instid1(VALU_DEP_2)
	v_cndmask_b32_e64 v50, v2, 0x70, vcc_lo
	v_dual_cndmask_b32 v2, v3, v0 :: v_dual_mov_b32 v3, v1
	v_add_nc_u32_e32 v0, 21, v50
	s_delay_alu instid0(VALU_DEP_1) | instskip(SKIP_1) | instid1(VALU_DEP_1)
	v_lshlrev_b64_e64 v[4:5], v0, -1
	v_add_nc_u32_e32 v0, 20, v50
	v_lshlrev_b64_e64 v[62:63], v0, 1
	s_delay_alu instid0(VALU_DEP_3) | instskip(SKIP_2) | instid1(VALU_DEP_1)
	v_bfi_b32 v4, v4, 0, v2
	v_lshrrev_b64 v[2:3], v50, v[2:3]
	v_bfi_b32 v5, v5, 0, 0
	v_cmp_eq_u64_e64 s7, v[4:5], v[62:63]
	s_delay_alu instid0(VALU_DEP_3)
	v_mov_b64_e32 v[4:5], v[2:3]
	s_and_saveexec_b32 s41, s7
; %bb.12761:                            ;   in Loop: Header=BB6_8449 Depth=2
	v_bfe_u32 v4, v2, 21, 1
	v_mov_b32_e32 v5, v1
	s_delay_alu instid0(VALU_DEP_1) | instskip(NEXT) | instid1(VALU_DEP_1)
	v_add_nc_u64_e32 v[4:5], v[2:3], v[4:5]
	v_add_nc_u64_e32 v[4:5], -1, v[4:5]
; %bb.12762:                            ;   in Loop: Header=BB6_8449 Depth=2
	s_or_b32 exec_lo, exec_lo, s41
	v_add_nc_u32_e32 v0, 0xffffff81, v34
	s_delay_alu instid0(VALU_DEP_2) | instskip(SKIP_2) | instid1(VALU_DEP_3)
	v_and_b32_e32 v4, 0x1fffff, v4
	v_lshrrev_b32_e32 v3, 23, v2
	s_mov_b32 s7, exec_lo
	v_cndmask_b32_e64 v0, v0, 0xffffff82, vcc_lo
	s_delay_alu instid0(VALU_DEP_1) | instskip(SKIP_1) | instid1(VALU_DEP_2)
	v_add3_u32 v34, v50, v0, v3
	v_add_nc_u32_e32 v0, v4, v2
                                        ; implicit-def: $vgpr2_vgpr3
                                        ; implicit-def: $vgpr4
	v_add_nc_u32_e32 v5, 14, v34
	s_delay_alu instid0(VALU_DEP_1)
	v_cmpx_ne_u32_e32 0, v5
	s_xor_b32 s7, exec_lo, s7
; %bb.12763:                            ;   in Loop: Header=BB6_8449 Depth=2
	s_delay_alu instid0(VALU_DEP_3) | instskip(SKIP_1) | instid1(VALU_DEP_1)
	v_cmp_lt_u64_e32 vcc_lo, 0xffffff, v[0:1]
	v_add_nc_u32_e32 v2, 15, v34
	v_cndmask_b32_e32 v4, v5, v2, vcc_lo
	v_cndmask_b32_e64 v2, 0, 1, vcc_lo
	s_delay_alu instid0(VALU_DEP_1)
	v_lshrrev_b64 v[2:3], v2, v[0:1]
; %bb.12764:                            ;   in Loop: Header=BB6_8449 Depth=2
	s_and_not1_saveexec_b32 s7, s7
; %bb.12765:                            ;   in Loop: Header=BB6_8449 Depth=2
	v_mov_b64_e32 v[2:3], v[0:1]
	v_bfe_u32 v4, v0, 23, 1
; %bb.12766:                            ;   in Loop: Header=BB6_8449 Depth=2
	s_or_b32 exec_lo, exec_lo, s7
	s_delay_alu instid0(VALU_DEP_2) | instskip(NEXT) | instid1(VALU_DEP_2)
	v_lshrrev_b64 v[2:3], 21, v[2:3]
	v_cmp_gt_i32_e32 vcc_lo, 32, v4
	v_min_i32_e32 v0, 31, v4
	v_cmp_eq_u32_e64 s7, 0, v4
	s_delay_alu instid0(VALU_DEP_2) | instskip(SKIP_1) | instid1(VALU_DEP_2)
	v_dual_cndmask_b32 v3, 0, v3 :: v_dual_lshlrev_b32 v0, 2, v0
	v_cndmask_b32_e32 v2, 3, v2, vcc_lo
	v_and_b32_e32 v0, 0xfc, v0
	s_delay_alu instid0(VALU_DEP_2) | instskip(NEXT) | instid1(VALU_DEP_2)
	v_cmp_eq_u64_e32 vcc_lo, 0, v[2:3]
	v_and_or_b32 v0, v2, 3, v0
	s_and_b32 s7, s7, vcc_lo
	s_delay_alu instid0(VALU_DEP_1) | instid1(SALU_CYCLE_1)
	v_cndmask_b32_e64 v0, v0, 0, s7
	s_delay_alu instid0(VALU_DEP_1)
	v_or_b32_e32 v34, v0, v37
.LBB6_12767:                            ;   in Loop: Header=BB6_8449 Depth=2
	s_or_b32 exec_lo, exec_lo, s40
                                        ; implicit-def: $vgpr37
.LBB6_12768:                            ;   in Loop: Header=BB6_8449 Depth=2
	s_and_not1_saveexec_b32 s7, s29
; %bb.12769:                            ;   in Loop: Header=BB6_8449 Depth=2
	v_or_b32_e32 v34, 0x7b, v37
; %bb.12770:                            ;   in Loop: Header=BB6_8449 Depth=2
	s_or_b32 exec_lo, exec_lo, s7
                                        ; implicit-def: $vgpr2
                                        ; implicit-def: $vgpr3
.LBB6_12771:                            ;   in Loop: Header=BB6_8449 Depth=2
	s_and_not1_saveexec_b32 s7, s28
	s_cbranch_execz .LBB6_12777
; %bb.12772:                            ;   in Loop: Header=BB6_8449 Depth=2
	s_mov_b32 s28, exec_lo
                                        ; implicit-def: $vgpr34
	v_cmpx_ne_u64_e32 0, v[0:1]
	s_xor_b32 s28, exec_lo, s28
; %bb.12773:                            ;   in Loop: Header=BB6_8449 Depth=2
	v_or_b32_e32 v34, 0x7f, v3
                                        ; implicit-def: $vgpr2
; %bb.12774:                            ;   in Loop: Header=BB6_8449 Depth=2
	s_and_not1_saveexec_b32 s28, s28
; %bb.12775:                            ;   in Loop: Header=BB6_8449 Depth=2
	v_cmp_lt_i32_e32 vcc_lo, -1, v2
	v_mov_b32_e32 v0, 0x7c
	s_delay_alu instid0(VALU_DEP_1)
	v_cndmask_b32_e32 v34, 0xfc, v0, vcc_lo
; %bb.12776:                            ;   in Loop: Header=BB6_8449 Depth=2
	s_or_b32 exec_lo, exec_lo, s28
.LBB6_12777:                            ;   in Loop: Header=BB6_8449 Depth=2
	s_delay_alu instid0(SALU_CYCLE_1) | instskip(SKIP_4) | instid1(VALU_DEP_1)
	s_or_b32 exec_lo, exec_lo, s7
	v_dual_mov_b32 v3, 0 :: v_dual_lshlrev_b32 v0, 24, v33
	v_lshlrev_b32_e32 v2, 16, v29
	v_lshl_or_b32 v27, v27, 8, v8
	s_mov_b32 s28, exec_lo
	v_or3_b32 v0, v2, v0, v27
	v_mov_b32_e32 v2, 0
	v_cmpx_ne_u32_e32 0, v8
	s_cbranch_execz .LBB6_12787
; %bb.12778:                            ;   in Loop: Header=BB6_8449 Depth=2
	v_bfrev_b32_e32 v2, 1
	s_mov_b32 s29, exec_lo
	v_cmpx_ne_u32_e32 0x80, v8
	s_cbranch_execz .LBB6_12786
; %bb.12779:                            ;   in Loop: Header=BB6_8449 Depth=2
	v_and_b32_e32 v2, 0x7c, v8
	v_and_b32_e32 v4, 3, v8
	s_delay_alu instid0(VALU_DEP_2) | instskip(SKIP_1) | instid1(SALU_CYCLE_1)
	v_cmp_ne_u32_e32 vcc_lo, 0x7c, v2
                                        ; implicit-def: $vgpr2
	s_and_saveexec_b32 s7, vcc_lo
	s_xor_b32 s7, exec_lo, s7
	s_cbranch_execz .LBB6_12783
; %bb.12780:                            ;   in Loop: Header=BB6_8449 Depth=2
	v_bfe_u32 v2, v8, 2, 5
	s_mov_b32 s40, exec_lo
	s_delay_alu instid0(VALU_DEP_1)
	v_cmpx_eq_u32_e32 0, v2
; %bb.12781:                            ;   in Loop: Header=BB6_8449 Depth=2
	v_clz_i32_u32_e32 v2, v4
	s_delay_alu instid0(VALU_DEP_1) | instskip(NEXT) | instid1(VALU_DEP_1)
	v_min_u32_e32 v2, 32, v2
	v_subrev_nc_u32_e32 v4, 29, v2
	s_delay_alu instid0(VALU_DEP_1) | instskip(NEXT) | instid1(VALU_DEP_1)
	v_lshlrev_b64_e32 v[4:5], v4, v[0:1]
	v_dual_sub_nc_u32 v2, 30, v2 :: v_dual_bitop2_b32 v4, 3, v4 bitop3:0x40
; %bb.12782:                            ;   in Loop: Header=BB6_8449 Depth=2
	s_or_b32 exec_lo, exec_lo, s40
	v_lshlrev_b32_e32 v5, 24, v8
                                        ; implicit-def: $vgpr8
	s_delay_alu instid0(VALU_DEP_1) | instskip(NEXT) | instid1(VALU_DEP_1)
	v_and_b32_e32 v5, 0x80000000, v5
	v_lshl_add_u32 v2, v2, 23, v5
	s_delay_alu instid0(VALU_DEP_1) | instskip(NEXT) | instid1(VALU_DEP_1)
	v_lshl_or_b32 v2, v4, 21, v2
                                        ; implicit-def: $vgpr4
	v_add_nc_u32_e32 v2, 0x38000000, v2
.LBB6_12783:                            ;   in Loop: Header=BB6_8449 Depth=2
	s_and_not1_saveexec_b32 s40, s7
; %bb.12784:                            ;   in Loop: Header=BB6_8449 Depth=2
	v_and_b32_e32 v2, 0x80, v8
	v_cmp_eq_u32_e32 vcc_lo, 0, v4
	s_delay_alu instid0(VALU_DEP_2) | instskip(SKIP_1) | instid1(VALU_DEP_1)
	v_cmp_eq_u32_e64 s7, 0, v2
	v_mov_b32_e32 v2, 0x7f800000
	v_cndmask_b32_e64 v2, 0xff800000, v2, s7
	s_delay_alu instid0(VALU_DEP_1)
	v_cndmask_b32_e32 v2, 0x7f800001, v2, vcc_lo
; %bb.12785:                            ;   in Loop: Header=BB6_8449 Depth=2
	s_or_b32 exec_lo, exec_lo, s40
.LBB6_12786:                            ;   in Loop: Header=BB6_8449 Depth=2
	s_delay_alu instid0(SALU_CYCLE_1)
	s_or_b32 exec_lo, exec_lo, s29
.LBB6_12787:                            ;   in Loop: Header=BB6_8449 Depth=2
	s_delay_alu instid0(SALU_CYCLE_1) | instskip(SKIP_2) | instid1(VALU_DEP_1)
	s_or_b32 exec_lo, exec_lo, s28
	v_and_b32_e32 v4, 0xff, v13
	s_mov_b32 s28, exec_lo
	v_cmpx_ne_u16_e32 0, v4
	s_cbranch_execz .LBB6_12797
; %bb.12788:                            ;   in Loop: Header=BB6_8449 Depth=2
	v_bfrev_b32_e32 v3, 1
	s_mov_b32 s29, exec_lo
	v_cmpx_ne_u16_e32 0x80, v4
	s_cbranch_execz .LBB6_12796
; %bb.12789:                            ;   in Loop: Header=BB6_8449 Depth=2
	v_and_b32_e32 v3, 0x7c, v13
	v_and_b32_e32 v4, 3, v13
	s_delay_alu instid0(VALU_DEP_2) | instskip(SKIP_1) | instid1(SALU_CYCLE_1)
	v_cmp_ne_u32_e32 vcc_lo, 0x7c, v3
                                        ; implicit-def: $vgpr3
	s_and_saveexec_b32 s7, vcc_lo
	s_xor_b32 s7, exec_lo, s7
	s_cbranch_execz .LBB6_12793
; %bb.12790:                            ;   in Loop: Header=BB6_8449 Depth=2
	v_bfe_u32 v3, v13, 2, 5
	s_mov_b32 s40, exec_lo
	s_delay_alu instid0(VALU_DEP_1)
	v_cmpx_eq_u32_e32 0, v3
; %bb.12791:                            ;   in Loop: Header=BB6_8449 Depth=2
	v_clz_i32_u32_e32 v3, v4
	v_dual_mov_b32 v4, v13 :: v_dual_mov_b32 v5, v1
	s_delay_alu instid0(VALU_DEP_2) | instskip(NEXT) | instid1(VALU_DEP_1)
	v_min_u32_e32 v3, 32, v3
	v_subrev_nc_u32_e32 v8, 29, v3
	s_delay_alu instid0(VALU_DEP_1) | instskip(NEXT) | instid1(VALU_DEP_1)
	v_lshlrev_b64_e32 v[4:5], v8, v[4:5]
	v_dual_sub_nc_u32 v3, 30, v3 :: v_dual_bitop2_b32 v4, 3, v4 bitop3:0x40
; %bb.12792:                            ;   in Loop: Header=BB6_8449 Depth=2
	s_or_b32 exec_lo, exec_lo, s40
	v_lshlrev_b32_e32 v5, 24, v13
	s_delay_alu instid0(VALU_DEP_1) | instskip(NEXT) | instid1(VALU_DEP_1)
	v_and_b32_e32 v5, 0x80000000, v5
	v_lshl_add_u32 v3, v3, 23, v5
	s_delay_alu instid0(VALU_DEP_1) | instskip(NEXT) | instid1(VALU_DEP_1)
	v_lshl_or_b32 v3, v4, 21, v3
                                        ; implicit-def: $vgpr4
	v_add_nc_u32_e32 v3, 0x38000000, v3
.LBB6_12793:                            ;   in Loop: Header=BB6_8449 Depth=2
	s_and_not1_saveexec_b32 s40, s7
; %bb.12794:                            ;   in Loop: Header=BB6_8449 Depth=2
	v_bfe_i32 v3, v13, 0, 8
	v_cmp_eq_u32_e32 vcc_lo, 0, v4
	s_delay_alu instid0(VALU_DEP_2) | instskip(SKIP_1) | instid1(VALU_DEP_1)
	v_cmp_lt_i16_e64 s7, -1, v3
	v_mov_b32_e32 v3, 0x7f800000
	v_cndmask_b32_e64 v3, 0xff800000, v3, s7
	s_delay_alu instid0(VALU_DEP_1)
	v_cndmask_b32_e32 v3, 0x7f800001, v3, vcc_lo
; %bb.12795:                            ;   in Loop: Header=BB6_8449 Depth=2
	s_or_b32 exec_lo, exec_lo, s40
.LBB6_12796:                            ;   in Loop: Header=BB6_8449 Depth=2
	s_delay_alu instid0(SALU_CYCLE_1)
	s_or_b32 exec_lo, exec_lo, s29
.LBB6_12797:                            ;   in Loop: Header=BB6_8449 Depth=2
	s_delay_alu instid0(SALU_CYCLE_1) | instskip(NEXT) | instid1(VALU_DEP_1)
	s_or_b32 exec_lo, exec_lo, s28
	v_dual_add_f32 v4, v2, v3 :: v_dual_mov_b32 v63, v1
	v_mov_b32_e32 v3, v1
                                        ; implicit-def: $vgpr8
	s_mov_b32 s7, exec_lo
	s_delay_alu instid0(VALU_DEP_2) | instskip(SKIP_2) | instid1(VALU_DEP_3)
	v_and_b32_e32 v62, 0x7f800000, v4
	v_and_b32_e32 v2, 0x7fffff, v4
	v_lshrrev_b32_e32 v5, 24, v4
	v_cmpx_ne_u64_e32 0x7f800000, v[62:63]
	s_xor_b32 s28, exec_lo, s7
	s_cbranch_execz .LBB6_12811
; %bb.12798:                            ;   in Loop: Header=BB6_8449 Depth=2
	v_and_b32_e32 v62, 0x7fffffff, v4
	v_mov_b32_e32 v63, v1
	v_and_b32_e32 v29, 0x80, v5
                                        ; implicit-def: $vgpr8
	s_mov_b32 s7, exec_lo
	s_delay_alu instid0(VALU_DEP_2)
	v_cmpx_gt_u64_e32 0x47600001, v[62:63]
	s_xor_b32 s29, exec_lo, s7
	s_cbranch_execz .LBB6_12808
; %bb.12799:                            ;   in Loop: Header=BB6_8449 Depth=2
	v_mov_b32_e32 v8, 0
	s_mov_b32 s40, exec_lo
	v_cmpx_ne_u32_e32 0, v4
	s_cbranch_execz .LBB6_12807
; %bb.12800:                            ;   in Loop: Header=BB6_8449 Depth=2
	v_bfe_u32 v8, v4, 23, 8
	v_or_b32_e32 v5, 0x800000, v2
	s_delay_alu instid0(VALU_DEP_2) | instskip(SKIP_2) | instid1(VALU_DEP_2)
	v_cmp_gt_u32_e64 s7, 0x72, v8
	v_sub_nc_u32_e32 v4, 0x71, v8
	v_cmp_eq_u32_e32 vcc_lo, 0, v8
	v_dual_cndmask_b32 v4, 0, v4, s7 :: v_dual_cndmask_b32 v2, v5, v2, vcc_lo
	s_delay_alu instid0(VALU_DEP_1) | instskip(NEXT) | instid1(VALU_DEP_1)
	v_cndmask_b32_e64 v33, v4, 0x70, vcc_lo
	v_dual_add_nc_u32 v4, 21, v33 :: v_dual_add_nc_u32 v37, 20, v33
	s_delay_alu instid0(VALU_DEP_1) | instskip(NEXT) | instid1(VALU_DEP_2)
	v_lshlrev_b64_e64 v[4:5], v4, -1
	v_lshlrev_b64_e64 v[62:63], v37, 1
	s_delay_alu instid0(VALU_DEP_2) | instskip(SKIP_1) | instid1(VALU_DEP_4)
	v_bfi_b32 v4, v4, 0, v2
	v_lshrrev_b64 v[2:3], v33, v[2:3]
	v_bfi_b32 v5, v5, 0, 0
	s_delay_alu instid0(VALU_DEP_1) | instskip(NEXT) | instid1(VALU_DEP_3)
	v_cmp_eq_u64_e64 s7, v[4:5], v[62:63]
	v_mov_b64_e32 v[4:5], v[2:3]
	s_and_saveexec_b32 s41, s7
; %bb.12801:                            ;   in Loop: Header=BB6_8449 Depth=2
	v_bfe_u32 v4, v2, 21, 1
	v_mov_b32_e32 v5, v1
	s_delay_alu instid0(VALU_DEP_1) | instskip(NEXT) | instid1(VALU_DEP_1)
	v_add_nc_u64_e32 v[4:5], v[2:3], v[4:5]
	v_add_nc_u64_e32 v[4:5], -1, v[4:5]
; %bb.12802:                            ;   in Loop: Header=BB6_8449 Depth=2
	s_or_b32 exec_lo, exec_lo, s41
	v_add_nc_u32_e32 v3, 0xffffff81, v8
	v_lshrrev_b32_e32 v5, 23, v2
	s_mov_b32 s7, exec_lo
	s_delay_alu instid0(VALU_DEP_2) | instskip(NEXT) | instid1(VALU_DEP_1)
	v_cndmask_b32_e64 v3, v3, 0xffffff82, vcc_lo
	v_add3_u32 v8, v33, v3, v5
	v_and_b32_e32 v3, 0x1fffff, v4
                                        ; implicit-def: $vgpr4
	s_delay_alu instid0(VALU_DEP_1) | instskip(SKIP_1) | instid1(VALU_DEP_2)
	v_dual_add_nc_u32 v5, 14, v8 :: v_dual_add_nc_u32 v2, v3, v2
	v_mov_b32_e32 v3, v1
	v_cmpx_ne_u32_e32 0, v5
	s_xor_b32 s7, exec_lo, s7
; %bb.12803:                            ;   in Loop: Header=BB6_8449 Depth=2
	s_delay_alu instid0(VALU_DEP_2) | instskip(SKIP_1) | instid1(VALU_DEP_1)
	v_cmp_lt_u64_e32 vcc_lo, 0xffffff, v[2:3]
	v_add_nc_u32_e32 v4, 15, v8
	v_cndmask_b32_e32 v4, v5, v4, vcc_lo
	v_cndmask_b32_e64 v5, 0, 1, vcc_lo
	s_delay_alu instid0(VALU_DEP_1)
	v_lshrrev_b64 v[2:3], v5, v[2:3]
; %bb.12804:                            ;   in Loop: Header=BB6_8449 Depth=2
	s_and_not1_saveexec_b32 s7, s7
; %bb.12805:                            ;   in Loop: Header=BB6_8449 Depth=2
	s_delay_alu instid0(VALU_DEP_1)
	v_bfe_u32 v4, v2, 23, 1
; %bb.12806:                            ;   in Loop: Header=BB6_8449 Depth=2
	s_or_b32 exec_lo, exec_lo, s7
	s_delay_alu instid0(VALU_DEP_2) | instskip(NEXT) | instid1(VALU_DEP_2)
	v_lshrrev_b64 v[2:3], 21, v[2:3]
	v_cmp_gt_i32_e32 vcc_lo, 32, v4
	v_min_i32_e32 v5, 31, v4
	v_cmp_eq_u32_e64 s7, 0, v4
	s_delay_alu instid0(VALU_DEP_2) | instskip(SKIP_1) | instid1(VALU_DEP_2)
	v_dual_cndmask_b32 v3, 0, v3, vcc_lo :: v_dual_lshlrev_b32 v5, 2, v5
	v_cndmask_b32_e32 v2, 3, v2, vcc_lo
	v_and_b32_e32 v5, 0xfc, v5
	s_delay_alu instid0(VALU_DEP_2) | instskip(NEXT) | instid1(VALU_DEP_2)
	v_cmp_eq_u64_e32 vcc_lo, 0, v[2:3]
	v_and_or_b32 v2, v2, 3, v5
	s_and_b32 s7, s7, vcc_lo
	s_delay_alu instid0(VALU_DEP_1) | instid1(SALU_CYCLE_1)
	v_cndmask_b32_e64 v2, v2, 0, s7
	s_delay_alu instid0(VALU_DEP_1)
	v_or_b32_e32 v8, v2, v29
.LBB6_12807:                            ;   in Loop: Header=BB6_8449 Depth=2
	s_or_b32 exec_lo, exec_lo, s40
                                        ; implicit-def: $vgpr29
.LBB6_12808:                            ;   in Loop: Header=BB6_8449 Depth=2
	s_and_not1_saveexec_b32 s7, s29
; %bb.12809:                            ;   in Loop: Header=BB6_8449 Depth=2
	v_or_b32_e32 v8, 0x7b, v29
; %bb.12810:                            ;   in Loop: Header=BB6_8449 Depth=2
	s_or_b32 exec_lo, exec_lo, s7
                                        ; implicit-def: $vgpr4
                                        ; implicit-def: $vgpr2_vgpr3
                                        ; implicit-def: $vgpr5
.LBB6_12811:                            ;   in Loop: Header=BB6_8449 Depth=2
	s_and_not1_saveexec_b32 s7, s28
	s_cbranch_execz .LBB6_12817
; %bb.12812:                            ;   in Loop: Header=BB6_8449 Depth=2
	s_mov_b32 s28, exec_lo
                                        ; implicit-def: $vgpr8
	v_cmpx_ne_u64_e32 0, v[2:3]
	s_xor_b32 s28, exec_lo, s28
; %bb.12813:                            ;   in Loop: Header=BB6_8449 Depth=2
	v_or_b32_e32 v8, 0x7f, v5
                                        ; implicit-def: $vgpr4
; %bb.12814:                            ;   in Loop: Header=BB6_8449 Depth=2
	s_and_not1_saveexec_b32 s28, s28
; %bb.12815:                            ;   in Loop: Header=BB6_8449 Depth=2
	v_cmp_lt_i32_e32 vcc_lo, -1, v4
	v_mov_b32_e32 v2, 0x7c
	s_delay_alu instid0(VALU_DEP_1)
	v_cndmask_b32_e32 v8, 0xfc, v2, vcc_lo
; %bb.12816:                            ;   in Loop: Header=BB6_8449 Depth=2
	s_or_b32 exec_lo, exec_lo, s28
.LBB6_12817:                            ;   in Loop: Header=BB6_8449 Depth=2
	s_delay_alu instid0(SALU_CYCLE_1) | instskip(SKIP_3) | instid1(VALU_DEP_2)
	s_or_b32 exec_lo, exec_lo, s7
	v_lshrrev_b16 v2, 8, v27
	v_dual_mov_b32 v4, 0 :: v_dual_mov_b32 v5, 0
	s_mov_b32 s28, exec_lo
	v_cmpx_ne_u16_e32 0, v2
	s_cbranch_execz .LBB6_12827
; %bb.12818:                            ;   in Loop: Header=BB6_8449 Depth=2
	v_bfrev_b32_e32 v5, 1
	s_mov_b32 s29, exec_lo
	v_cmpx_ne_u16_e32 0x80, v2
	s_cbranch_execz .LBB6_12826
; %bb.12819:                            ;   in Loop: Header=BB6_8449 Depth=2
	v_and_b32_e32 v29, 0xffff, v2
	s_delay_alu instid0(VALU_DEP_1) | instskip(SKIP_1) | instid1(VALU_DEP_2)
	v_and_b32_e32 v5, 0x7c, v29
	v_and_b32_e32 v3, 3, v29
	v_cmp_ne_u32_e32 vcc_lo, 0x7c, v5
                                        ; implicit-def: $vgpr5
	s_and_saveexec_b32 s7, vcc_lo
	s_delay_alu instid0(SALU_CYCLE_1)
	s_xor_b32 s7, exec_lo, s7
	s_cbranch_execz .LBB6_12823
; %bb.12820:                            ;   in Loop: Header=BB6_8449 Depth=2
	v_bfe_u32 v5, v29, 2, 5
	s_mov_b32 s40, exec_lo
	s_delay_alu instid0(VALU_DEP_1)
	v_cmpx_eq_u32_e32 0, v5
	s_cbranch_execz .LBB6_12822
; %bb.12821:                            ;   in Loop: Header=BB6_8449 Depth=2
	v_clz_i32_u32_e32 v3, v3
	s_delay_alu instid0(VALU_DEP_1) | instskip(SKIP_1) | instid1(VALU_DEP_2)
	v_min_u32_e32 v5, 32, v3
	v_mov_b32_e32 v3, v1
	v_subrev_nc_u32_e32 v29, 29, v5
	v_sub_nc_u32_e32 v5, 30, v5
	s_delay_alu instid0(VALU_DEP_2) | instskip(NEXT) | instid1(VALU_DEP_1)
	v_lshlrev_b64_e32 v[2:3], v29, v[2:3]
	v_and_b32_e32 v3, 3, v2
.LBB6_12822:                            ;   in Loop: Header=BB6_8449 Depth=2
	s_or_b32 exec_lo, exec_lo, s40
	v_lshlrev_b32_e32 v2, 16, v27
                                        ; implicit-def: $vgpr27
	s_delay_alu instid0(VALU_DEP_1) | instskip(NEXT) | instid1(VALU_DEP_1)
	v_and_b32_e32 v2, 0x80000000, v2
	v_lshl_add_u32 v2, v5, 23, v2
	s_delay_alu instid0(VALU_DEP_1) | instskip(NEXT) | instid1(VALU_DEP_1)
	v_lshl_or_b32 v2, v3, 21, v2
                                        ; implicit-def: $vgpr3
	v_add_nc_u32_e32 v5, 0x38000000, v2
.LBB6_12823:                            ;   in Loop: Header=BB6_8449 Depth=2
	s_and_not1_saveexec_b32 s40, s7
; %bb.12824:                            ;   in Loop: Header=BB6_8449 Depth=2
	v_cmp_lt_i16_e64 s7, -1, v27
	v_mov_b32_e32 v2, 0x7f800000
	v_cmp_eq_u32_e32 vcc_lo, 0, v3
	s_delay_alu instid0(VALU_DEP_2) | instskip(NEXT) | instid1(VALU_DEP_1)
	v_cndmask_b32_e64 v2, 0xff800000, v2, s7
	v_cndmask_b32_e32 v5, 0x7f800001, v2, vcc_lo
; %bb.12825:                            ;   in Loop: Header=BB6_8449 Depth=2
	s_or_b32 exec_lo, exec_lo, s40
.LBB6_12826:                            ;   in Loop: Header=BB6_8449 Depth=2
	s_delay_alu instid0(SALU_CYCLE_1)
	s_or_b32 exec_lo, exec_lo, s29
.LBB6_12827:                            ;   in Loop: Header=BB6_8449 Depth=2
	s_delay_alu instid0(SALU_CYCLE_1) | instskip(SKIP_2) | instid1(VALU_DEP_1)
	s_or_b32 exec_lo, exec_lo, s28
	v_lshrrev_b16 v2, 8, v13
	s_mov_b32 s28, exec_lo
	v_cmpx_ne_u16_e32 0, v2
	s_cbranch_execz .LBB6_12837
; %bb.12828:                            ;   in Loop: Header=BB6_8449 Depth=2
	v_bfrev_b32_e32 v4, 1
	s_mov_b32 s29, exec_lo
	v_cmpx_ne_u16_e32 0x80, v2
	s_cbranch_execz .LBB6_12836
; %bb.12829:                            ;   in Loop: Header=BB6_8449 Depth=2
	v_and_b32_e32 v27, 0xffff, v2
	s_delay_alu instid0(VALU_DEP_1) | instskip(SKIP_1) | instid1(VALU_DEP_2)
	v_and_b32_e32 v4, 0x7c, v27
	v_and_b32_e32 v3, 3, v27
	v_cmp_ne_u32_e32 vcc_lo, 0x7c, v4
                                        ; implicit-def: $vgpr4
	s_and_saveexec_b32 s7, vcc_lo
	s_delay_alu instid0(SALU_CYCLE_1)
	s_xor_b32 s7, exec_lo, s7
	s_cbranch_execz .LBB6_12833
; %bb.12830:                            ;   in Loop: Header=BB6_8449 Depth=2
	v_bfe_u32 v4, v27, 2, 5
	s_mov_b32 s40, exec_lo
	s_delay_alu instid0(VALU_DEP_1)
	v_cmpx_eq_u32_e32 0, v4
	s_cbranch_execz .LBB6_12832
; %bb.12831:                            ;   in Loop: Header=BB6_8449 Depth=2
	v_clz_i32_u32_e32 v3, v3
	s_delay_alu instid0(VALU_DEP_1) | instskip(SKIP_1) | instid1(VALU_DEP_2)
	v_min_u32_e32 v4, 32, v3
	v_mov_b32_e32 v3, v1
	v_subrev_nc_u32_e32 v27, 29, v4
	v_sub_nc_u32_e32 v4, 30, v4
	s_delay_alu instid0(VALU_DEP_2) | instskip(NEXT) | instid1(VALU_DEP_1)
	v_lshlrev_b64_e32 v[2:3], v27, v[2:3]
	v_and_b32_e32 v3, 3, v2
.LBB6_12832:                            ;   in Loop: Header=BB6_8449 Depth=2
	s_or_b32 exec_lo, exec_lo, s40
	v_lshlrev_b32_e32 v2, 16, v13
	s_delay_alu instid0(VALU_DEP_1) | instskip(NEXT) | instid1(VALU_DEP_1)
	v_and_b32_e32 v2, 0x80000000, v2
	v_lshl_add_u32 v2, v4, 23, v2
	s_delay_alu instid0(VALU_DEP_1) | instskip(NEXT) | instid1(VALU_DEP_1)
	v_lshl_or_b32 v2, v3, 21, v2
                                        ; implicit-def: $vgpr3
	v_add_nc_u32_e32 v4, 0x38000000, v2
.LBB6_12833:                            ;   in Loop: Header=BB6_8449 Depth=2
	s_and_not1_saveexec_b32 s40, s7
; %bb.12834:                            ;   in Loop: Header=BB6_8449 Depth=2
	v_cmp_lt_i16_e64 s7, -1, v13
	v_mov_b32_e32 v2, 0x7f800000
	v_cmp_eq_u32_e32 vcc_lo, 0, v3
	s_delay_alu instid0(VALU_DEP_2) | instskip(NEXT) | instid1(VALU_DEP_1)
	v_cndmask_b32_e64 v2, 0xff800000, v2, s7
	v_cndmask_b32_e32 v4, 0x7f800001, v2, vcc_lo
; %bb.12835:                            ;   in Loop: Header=BB6_8449 Depth=2
	s_or_b32 exec_lo, exec_lo, s40
.LBB6_12836:                            ;   in Loop: Header=BB6_8449 Depth=2
	s_delay_alu instid0(SALU_CYCLE_1)
	s_or_b32 exec_lo, exec_lo, s29
.LBB6_12837:                            ;   in Loop: Header=BB6_8449 Depth=2
	s_delay_alu instid0(SALU_CYCLE_1) | instskip(NEXT) | instid1(VALU_DEP_1)
	s_or_b32 exec_lo, exec_lo, s28
	v_add_f32_e32 v4, v5, v4
	v_dual_mov_b32 v63, v1 :: v_dual_mov_b32 v3, v1
                                        ; implicit-def: $vgpr27
	s_mov_b32 s7, exec_lo
	s_delay_alu instid0(VALU_DEP_2) | instskip(SKIP_2) | instid1(VALU_DEP_3)
	v_and_b32_e32 v62, 0x7f800000, v4
	v_and_b32_e32 v2, 0x7fffff, v4
	v_lshrrev_b32_e32 v5, 24, v4
	v_cmpx_ne_u64_e32 0x7f800000, v[62:63]
	s_xor_b32 s28, exec_lo, s7
	s_cbranch_execz .LBB6_12851
; %bb.12838:                            ;   in Loop: Header=BB6_8449 Depth=2
	v_and_b32_e32 v62, 0x7fffffff, v4
	v_mov_b32_e32 v63, v1
	v_and_b32_e32 v29, 0x80, v5
                                        ; implicit-def: $vgpr27
	s_mov_b32 s7, exec_lo
	s_delay_alu instid0(VALU_DEP_2)
	v_cmpx_gt_u64_e32 0x47600001, v[62:63]
	s_xor_b32 s29, exec_lo, s7
	s_cbranch_execz .LBB6_12848
; %bb.12839:                            ;   in Loop: Header=BB6_8449 Depth=2
	v_mov_b32_e32 v27, 0
	s_mov_b32 s40, exec_lo
	v_cmpx_ne_u32_e32 0, v4
	s_cbranch_execz .LBB6_12847
; %bb.12840:                            ;   in Loop: Header=BB6_8449 Depth=2
	v_bfe_u32 v27, v4, 23, 8
	v_or_b32_e32 v5, 0x800000, v2
	s_delay_alu instid0(VALU_DEP_2) | instskip(SKIP_2) | instid1(VALU_DEP_2)
	v_cmp_gt_u32_e64 s7, 0x72, v27
	v_sub_nc_u32_e32 v4, 0x71, v27
	v_cmp_eq_u32_e32 vcc_lo, 0, v27
	v_dual_cndmask_b32 v4, 0, v4, s7 :: v_dual_cndmask_b32 v2, v5, v2, vcc_lo
	s_delay_alu instid0(VALU_DEP_1) | instskip(NEXT) | instid1(VALU_DEP_1)
	v_cndmask_b32_e64 v33, v4, 0x70, vcc_lo
	v_dual_add_nc_u32 v4, 21, v33 :: v_dual_add_nc_u32 v37, 20, v33
	s_delay_alu instid0(VALU_DEP_1) | instskip(NEXT) | instid1(VALU_DEP_2)
	v_lshlrev_b64_e64 v[4:5], v4, -1
	v_lshlrev_b64_e64 v[62:63], v37, 1
	s_delay_alu instid0(VALU_DEP_2) | instskip(SKIP_1) | instid1(VALU_DEP_4)
	v_bfi_b32 v4, v4, 0, v2
	v_lshrrev_b64 v[2:3], v33, v[2:3]
	v_bfi_b32 v5, v5, 0, 0
	s_delay_alu instid0(VALU_DEP_1) | instskip(NEXT) | instid1(VALU_DEP_3)
	v_cmp_eq_u64_e64 s7, v[4:5], v[62:63]
	v_mov_b64_e32 v[4:5], v[2:3]
	s_and_saveexec_b32 s41, s7
; %bb.12841:                            ;   in Loop: Header=BB6_8449 Depth=2
	v_bfe_u32 v4, v2, 21, 1
	v_mov_b32_e32 v5, v1
	s_delay_alu instid0(VALU_DEP_1) | instskip(NEXT) | instid1(VALU_DEP_1)
	v_add_nc_u64_e32 v[4:5], v[2:3], v[4:5]
	v_add_nc_u64_e32 v[4:5], -1, v[4:5]
; %bb.12842:                            ;   in Loop: Header=BB6_8449 Depth=2
	s_or_b32 exec_lo, exec_lo, s41
	v_add_nc_u32_e32 v3, 0xffffff81, v27
	v_lshrrev_b32_e32 v5, 23, v2
	s_mov_b32 s7, exec_lo
	s_delay_alu instid0(VALU_DEP_2) | instskip(NEXT) | instid1(VALU_DEP_1)
	v_cndmask_b32_e64 v3, v3, 0xffffff82, vcc_lo
	v_add3_u32 v27, v33, v3, v5
	v_and_b32_e32 v3, 0x1fffff, v4
                                        ; implicit-def: $vgpr4
	s_delay_alu instid0(VALU_DEP_1) | instskip(SKIP_1) | instid1(VALU_DEP_2)
	v_dual_add_nc_u32 v5, 14, v27 :: v_dual_add_nc_u32 v2, v3, v2
	v_mov_b32_e32 v3, v1
	v_cmpx_ne_u32_e32 0, v5
	s_xor_b32 s7, exec_lo, s7
; %bb.12843:                            ;   in Loop: Header=BB6_8449 Depth=2
	s_delay_alu instid0(VALU_DEP_2) | instskip(SKIP_1) | instid1(VALU_DEP_1)
	v_cmp_lt_u64_e32 vcc_lo, 0xffffff, v[2:3]
	v_add_nc_u32_e32 v4, 15, v27
	v_cndmask_b32_e32 v4, v5, v4, vcc_lo
	v_cndmask_b32_e64 v5, 0, 1, vcc_lo
	s_delay_alu instid0(VALU_DEP_1)
	v_lshrrev_b64 v[2:3], v5, v[2:3]
; %bb.12844:                            ;   in Loop: Header=BB6_8449 Depth=2
	s_and_not1_saveexec_b32 s7, s7
; %bb.12845:                            ;   in Loop: Header=BB6_8449 Depth=2
	s_delay_alu instid0(VALU_DEP_1)
	v_bfe_u32 v4, v2, 23, 1
; %bb.12846:                            ;   in Loop: Header=BB6_8449 Depth=2
	s_or_b32 exec_lo, exec_lo, s7
	s_delay_alu instid0(VALU_DEP_2) | instskip(NEXT) | instid1(VALU_DEP_2)
	v_lshrrev_b64 v[2:3], 21, v[2:3]
	v_cmp_gt_i32_e32 vcc_lo, 32, v4
	v_min_i32_e32 v5, 31, v4
	v_cmp_eq_u32_e64 s7, 0, v4
	s_delay_alu instid0(VALU_DEP_2) | instskip(SKIP_1) | instid1(VALU_DEP_2)
	v_dual_cndmask_b32 v3, 0, v3, vcc_lo :: v_dual_lshlrev_b32 v5, 2, v5
	v_cndmask_b32_e32 v2, 3, v2, vcc_lo
	v_and_b32_e32 v5, 0xfc, v5
	s_delay_alu instid0(VALU_DEP_2) | instskip(NEXT) | instid1(VALU_DEP_2)
	v_cmp_eq_u64_e32 vcc_lo, 0, v[2:3]
	v_and_or_b32 v2, v2, 3, v5
	s_and_b32 s7, s7, vcc_lo
	s_delay_alu instid0(VALU_DEP_1) | instid1(SALU_CYCLE_1)
	v_cndmask_b32_e64 v2, v2, 0, s7
	s_delay_alu instid0(VALU_DEP_1)
	v_or_b32_e32 v27, v2, v29
.LBB6_12847:                            ;   in Loop: Header=BB6_8449 Depth=2
	s_or_b32 exec_lo, exec_lo, s40
                                        ; implicit-def: $vgpr29
.LBB6_12848:                            ;   in Loop: Header=BB6_8449 Depth=2
	s_and_not1_saveexec_b32 s7, s29
; %bb.12849:                            ;   in Loop: Header=BB6_8449 Depth=2
	v_or_b32_e32 v27, 0x7b, v29
; %bb.12850:                            ;   in Loop: Header=BB6_8449 Depth=2
	s_or_b32 exec_lo, exec_lo, s7
                                        ; implicit-def: $vgpr4
                                        ; implicit-def: $vgpr2_vgpr3
                                        ; implicit-def: $vgpr5
.LBB6_12851:                            ;   in Loop: Header=BB6_8449 Depth=2
	s_and_not1_saveexec_b32 s7, s28
	s_cbranch_execz .LBB6_12857
; %bb.12852:                            ;   in Loop: Header=BB6_8449 Depth=2
	s_mov_b32 s28, exec_lo
                                        ; implicit-def: $vgpr27
	v_cmpx_ne_u64_e32 0, v[2:3]
	s_xor_b32 s28, exec_lo, s28
; %bb.12853:                            ;   in Loop: Header=BB6_8449 Depth=2
	v_or_b32_e32 v27, 0x7f, v5
                                        ; implicit-def: $vgpr4
; %bb.12854:                            ;   in Loop: Header=BB6_8449 Depth=2
	s_and_not1_saveexec_b32 s28, s28
; %bb.12855:                            ;   in Loop: Header=BB6_8449 Depth=2
	v_cmp_lt_i32_e32 vcc_lo, -1, v4
	v_mov_b32_e32 v2, 0x7c
	s_delay_alu instid0(VALU_DEP_1)
	v_cndmask_b32_e32 v27, 0xfc, v2, vcc_lo
; %bb.12856:                            ;   in Loop: Header=BB6_8449 Depth=2
	s_or_b32 exec_lo, exec_lo, s28
.LBB6_12857:                            ;   in Loop: Header=BB6_8449 Depth=2
	s_delay_alu instid0(SALU_CYCLE_1) | instskip(SKIP_3) | instid1(VALU_DEP_2)
	s_or_b32 exec_lo, exec_lo, s7
	v_dual_mov_b32 v3, 0 :: v_dual_lshrrev_b32 v2, 16, v0
	v_mov_b32_e32 v4, 0
	s_mov_b32 s28, exec_lo
	v_and_b32_e32 v5, 0xff, v2
	s_delay_alu instid0(VALU_DEP_1)
	v_cmpx_ne_u16_e32 0, v5
	s_cbranch_execz .LBB6_12867
; %bb.12858:                            ;   in Loop: Header=BB6_8449 Depth=2
	v_bfrev_b32_e32 v4, 1
	s_mov_b32 s29, exec_lo
	v_cmpx_ne_u16_e32 0x80, v5
	s_cbranch_execz .LBB6_12866
; %bb.12859:                            ;   in Loop: Header=BB6_8449 Depth=2
	v_and_b32_e32 v4, 0x7c0000, v0
	v_bfe_u32 v5, v0, 16, 2
	s_delay_alu instid0(VALU_DEP_2) | instskip(SKIP_1) | instid1(SALU_CYCLE_1)
	v_cmp_ne_u32_e32 vcc_lo, 0x7c0000, v4
                                        ; implicit-def: $vgpr4
	s_and_saveexec_b32 s7, vcc_lo
	s_xor_b32 s7, exec_lo, s7
	s_cbranch_execz .LBB6_12863
; %bb.12860:                            ;   in Loop: Header=BB6_8449 Depth=2
	v_bfe_u32 v4, v0, 18, 5
	s_mov_b32 s40, exec_lo
	s_delay_alu instid0(VALU_DEP_1)
	v_cmpx_eq_u32_e32 0, v4
; %bb.12861:                            ;   in Loop: Header=BB6_8449 Depth=2
	v_clz_i32_u32_e32 v4, v5
	s_delay_alu instid0(VALU_DEP_1) | instskip(NEXT) | instid1(VALU_DEP_1)
	v_min_u32_e32 v4, 32, v4
	v_subrev_nc_u32_e32 v5, 29, v4
	s_delay_alu instid0(VALU_DEP_1) | instskip(NEXT) | instid1(VALU_DEP_1)
	v_lshlrev_b64_e32 v[62:63], v5, v[2:3]
	v_dual_sub_nc_u32 v4, 30, v4 :: v_dual_bitop2_b32 v5, 3, v62 bitop3:0x40
; %bb.12862:                            ;   in Loop: Header=BB6_8449 Depth=2
	s_or_b32 exec_lo, exec_lo, s40
	v_lshlrev_b32_e32 v2, 24, v2
	s_delay_alu instid0(VALU_DEP_1) | instskip(NEXT) | instid1(VALU_DEP_1)
	v_and_b32_e32 v2, 0x80000000, v2
	v_lshl_add_u32 v2, v4, 23, v2
	s_delay_alu instid0(VALU_DEP_1) | instskip(NEXT) | instid1(VALU_DEP_1)
	v_lshl_or_b32 v2, v5, 21, v2
                                        ; implicit-def: $vgpr5
	v_add_nc_u32_e32 v4, 0x38000000, v2
                                        ; implicit-def: $vgpr2
.LBB6_12863:                            ;   in Loop: Header=BB6_8449 Depth=2
	s_and_not1_saveexec_b32 s40, s7
; %bb.12864:                            ;   in Loop: Header=BB6_8449 Depth=2
	v_bfe_i32 v2, v2, 0, 8
	v_cmp_eq_u32_e32 vcc_lo, 0, v5
	s_delay_alu instid0(VALU_DEP_2) | instskip(SKIP_1) | instid1(VALU_DEP_1)
	v_cmp_lt_i16_e64 s7, -1, v2
	v_mov_b32_e32 v2, 0x7f800000
	v_cndmask_b32_e64 v2, 0xff800000, v2, s7
	s_delay_alu instid0(VALU_DEP_1)
	v_cndmask_b32_e32 v4, 0x7f800001, v2, vcc_lo
; %bb.12865:                            ;   in Loop: Header=BB6_8449 Depth=2
	s_or_b32 exec_lo, exec_lo, s40
.LBB6_12866:                            ;   in Loop: Header=BB6_8449 Depth=2
	s_delay_alu instid0(SALU_CYCLE_1)
	s_or_b32 exec_lo, exec_lo, s29
.LBB6_12867:                            ;   in Loop: Header=BB6_8449 Depth=2
	s_delay_alu instid0(SALU_CYCLE_1) | instskip(SKIP_2) | instid1(VALU_DEP_1)
	s_or_b32 exec_lo, exec_lo, s28
	v_lshrrev_b32_e32 v2, 16, v13
	s_mov_b32 s28, exec_lo
	v_and_b32_e32 v5, 0xff, v2
	s_delay_alu instid0(VALU_DEP_1)
	v_cmpx_ne_u16_e32 0, v5
	s_cbranch_execz .LBB6_12877
; %bb.12868:                            ;   in Loop: Header=BB6_8449 Depth=2
	v_bfrev_b32_e32 v3, 1
	s_mov_b32 s29, exec_lo
	v_cmpx_ne_u16_e32 0x80, v5
	s_cbranch_execz .LBB6_12876
; %bb.12869:                            ;   in Loop: Header=BB6_8449 Depth=2
	v_and_b32_e32 v3, 0x7c0000, v13
	v_bfe_u32 v5, v13, 16, 2
	s_delay_alu instid0(VALU_DEP_2) | instskip(SKIP_1) | instid1(SALU_CYCLE_1)
	v_cmp_ne_u32_e32 vcc_lo, 0x7c0000, v3
                                        ; implicit-def: $vgpr3
	s_and_saveexec_b32 s7, vcc_lo
	s_xor_b32 s7, exec_lo, s7
	s_cbranch_execz .LBB6_12873
; %bb.12870:                            ;   in Loop: Header=BB6_8449 Depth=2
	v_bfe_u32 v3, v13, 18, 5
	s_mov_b32 s40, exec_lo
	s_delay_alu instid0(VALU_DEP_1)
	v_cmpx_eq_u32_e32 0, v3
; %bb.12871:                            ;   in Loop: Header=BB6_8449 Depth=2
	v_clz_i32_u32_e32 v3, v5
	s_delay_alu instid0(VALU_DEP_1) | instskip(NEXT) | instid1(VALU_DEP_1)
	v_min_u32_e32 v3, 32, v3
	v_subrev_nc_u32_e32 v5, 29, v3
	s_delay_alu instid0(VALU_DEP_1) | instskip(NEXT) | instid1(VALU_DEP_1)
	v_lshlrev_b64_e32 v[62:63], v5, v[2:3]
	v_dual_sub_nc_u32 v3, 30, v3 :: v_dual_bitop2_b32 v5, 3, v62 bitop3:0x40
; %bb.12872:                            ;   in Loop: Header=BB6_8449 Depth=2
	s_or_b32 exec_lo, exec_lo, s40
	v_lshlrev_b32_e32 v2, 24, v2
	s_delay_alu instid0(VALU_DEP_1) | instskip(NEXT) | instid1(VALU_DEP_1)
	v_and_b32_e32 v2, 0x80000000, v2
	v_lshl_add_u32 v2, v3, 23, v2
	s_delay_alu instid0(VALU_DEP_1) | instskip(NEXT) | instid1(VALU_DEP_1)
	v_lshl_or_b32 v2, v5, 21, v2
                                        ; implicit-def: $vgpr5
	v_add_nc_u32_e32 v3, 0x38000000, v2
                                        ; implicit-def: $vgpr2
.LBB6_12873:                            ;   in Loop: Header=BB6_8449 Depth=2
	s_and_not1_saveexec_b32 s40, s7
; %bb.12874:                            ;   in Loop: Header=BB6_8449 Depth=2
	v_bfe_i32 v2, v2, 0, 8
	v_cmp_eq_u32_e32 vcc_lo, 0, v5
	s_delay_alu instid0(VALU_DEP_2) | instskip(SKIP_1) | instid1(VALU_DEP_1)
	v_cmp_lt_i16_e64 s7, -1, v2
	v_mov_b32_e32 v2, 0x7f800000
	v_cndmask_b32_e64 v2, 0xff800000, v2, s7
	s_delay_alu instid0(VALU_DEP_1)
	v_cndmask_b32_e32 v3, 0x7f800001, v2, vcc_lo
; %bb.12875:                            ;   in Loop: Header=BB6_8449 Depth=2
	s_or_b32 exec_lo, exec_lo, s40
.LBB6_12876:                            ;   in Loop: Header=BB6_8449 Depth=2
	s_delay_alu instid0(SALU_CYCLE_1)
	s_or_b32 exec_lo, exec_lo, s29
.LBB6_12877:                            ;   in Loop: Header=BB6_8449 Depth=2
	s_delay_alu instid0(SALU_CYCLE_1) | instskip(NEXT) | instid1(VALU_DEP_1)
	s_or_b32 exec_lo, exec_lo, s28
	v_dual_add_f32 v4, v4, v3 :: v_dual_mov_b32 v63, v1
	v_mov_b32_e32 v3, v1
                                        ; implicit-def: $vgpr29
	s_mov_b32 s7, exec_lo
	s_delay_alu instid0(VALU_DEP_2) | instskip(SKIP_2) | instid1(VALU_DEP_3)
	v_and_b32_e32 v62, 0x7f800000, v4
	v_and_b32_e32 v2, 0x7fffff, v4
	v_lshrrev_b32_e32 v5, 24, v4
	v_cmpx_ne_u64_e32 0x7f800000, v[62:63]
	s_xor_b32 s28, exec_lo, s7
	s_cbranch_execz .LBB6_12891
; %bb.12878:                            ;   in Loop: Header=BB6_8449 Depth=2
	v_and_b32_e32 v62, 0x7fffffff, v4
	v_mov_b32_e32 v63, v1
	v_and_b32_e32 v33, 0x80, v5
                                        ; implicit-def: $vgpr29
	s_mov_b32 s7, exec_lo
	s_delay_alu instid0(VALU_DEP_2)
	v_cmpx_gt_u64_e32 0x47600001, v[62:63]
	s_xor_b32 s29, exec_lo, s7
	s_cbranch_execz .LBB6_12888
; %bb.12879:                            ;   in Loop: Header=BB6_8449 Depth=2
	v_mov_b32_e32 v29, 0
	s_mov_b32 s40, exec_lo
	v_cmpx_ne_u32_e32 0, v4
	s_cbranch_execz .LBB6_12887
; %bb.12880:                            ;   in Loop: Header=BB6_8449 Depth=2
	v_bfe_u32 v29, v4, 23, 8
	v_or_b32_e32 v5, 0x800000, v2
	s_delay_alu instid0(VALU_DEP_2) | instskip(SKIP_2) | instid1(VALU_DEP_2)
	v_cmp_gt_u32_e64 s7, 0x72, v29
	v_sub_nc_u32_e32 v4, 0x71, v29
	v_cmp_eq_u32_e32 vcc_lo, 0, v29
	v_dual_cndmask_b32 v4, 0, v4, s7 :: v_dual_cndmask_b32 v2, v5, v2, vcc_lo
	s_delay_alu instid0(VALU_DEP_1) | instskip(NEXT) | instid1(VALU_DEP_1)
	v_cndmask_b32_e64 v37, v4, 0x70, vcc_lo
	v_dual_add_nc_u32 v4, 21, v37 :: v_dual_add_nc_u32 v50, 20, v37
	s_delay_alu instid0(VALU_DEP_1) | instskip(NEXT) | instid1(VALU_DEP_2)
	v_lshlrev_b64_e64 v[4:5], v4, -1
	v_lshlrev_b64_e64 v[62:63], v50, 1
	s_delay_alu instid0(VALU_DEP_2) | instskip(SKIP_1) | instid1(VALU_DEP_4)
	v_bfi_b32 v4, v4, 0, v2
	v_lshrrev_b64 v[2:3], v37, v[2:3]
	v_bfi_b32 v5, v5, 0, 0
	s_delay_alu instid0(VALU_DEP_1) | instskip(NEXT) | instid1(VALU_DEP_3)
	v_cmp_eq_u64_e64 s7, v[4:5], v[62:63]
	v_mov_b64_e32 v[4:5], v[2:3]
	s_and_saveexec_b32 s41, s7
; %bb.12881:                            ;   in Loop: Header=BB6_8449 Depth=2
	v_bfe_u32 v4, v2, 21, 1
	v_mov_b32_e32 v5, v1
	s_delay_alu instid0(VALU_DEP_1) | instskip(NEXT) | instid1(VALU_DEP_1)
	v_add_nc_u64_e32 v[4:5], v[2:3], v[4:5]
	v_add_nc_u64_e32 v[4:5], -1, v[4:5]
; %bb.12882:                            ;   in Loop: Header=BB6_8449 Depth=2
	s_or_b32 exec_lo, exec_lo, s41
	v_add_nc_u32_e32 v3, 0xffffff81, v29
	v_lshrrev_b32_e32 v5, 23, v2
	s_mov_b32 s7, exec_lo
	s_delay_alu instid0(VALU_DEP_2) | instskip(NEXT) | instid1(VALU_DEP_1)
	v_cndmask_b32_e64 v3, v3, 0xffffff82, vcc_lo
	v_add3_u32 v29, v37, v3, v5
	v_and_b32_e32 v3, 0x1fffff, v4
                                        ; implicit-def: $vgpr4
	s_delay_alu instid0(VALU_DEP_1) | instskip(SKIP_1) | instid1(VALU_DEP_2)
	v_dual_add_nc_u32 v5, 14, v29 :: v_dual_add_nc_u32 v2, v3, v2
	v_mov_b32_e32 v3, v1
	v_cmpx_ne_u32_e32 0, v5
	s_xor_b32 s7, exec_lo, s7
; %bb.12883:                            ;   in Loop: Header=BB6_8449 Depth=2
	s_delay_alu instid0(VALU_DEP_2) | instskip(SKIP_1) | instid1(VALU_DEP_1)
	v_cmp_lt_u64_e32 vcc_lo, 0xffffff, v[2:3]
	v_add_nc_u32_e32 v4, 15, v29
	v_cndmask_b32_e32 v4, v5, v4, vcc_lo
	v_cndmask_b32_e64 v5, 0, 1, vcc_lo
	s_delay_alu instid0(VALU_DEP_1)
	v_lshrrev_b64 v[2:3], v5, v[2:3]
; %bb.12884:                            ;   in Loop: Header=BB6_8449 Depth=2
	s_and_not1_saveexec_b32 s7, s7
; %bb.12885:                            ;   in Loop: Header=BB6_8449 Depth=2
	s_delay_alu instid0(VALU_DEP_1)
	v_bfe_u32 v4, v2, 23, 1
; %bb.12886:                            ;   in Loop: Header=BB6_8449 Depth=2
	s_or_b32 exec_lo, exec_lo, s7
	s_delay_alu instid0(VALU_DEP_2) | instskip(NEXT) | instid1(VALU_DEP_2)
	v_lshrrev_b64 v[2:3], 21, v[2:3]
	v_cmp_gt_i32_e32 vcc_lo, 32, v4
	v_min_i32_e32 v5, 31, v4
	v_cmp_eq_u32_e64 s7, 0, v4
	s_delay_alu instid0(VALU_DEP_2) | instskip(SKIP_1) | instid1(VALU_DEP_2)
	v_dual_cndmask_b32 v3, 0, v3, vcc_lo :: v_dual_lshlrev_b32 v5, 2, v5
	v_cndmask_b32_e32 v2, 3, v2, vcc_lo
	v_and_b32_e32 v5, 0xfc, v5
	s_delay_alu instid0(VALU_DEP_2) | instskip(NEXT) | instid1(VALU_DEP_2)
	v_cmp_eq_u64_e32 vcc_lo, 0, v[2:3]
	v_and_or_b32 v2, v2, 3, v5
	s_and_b32 s7, s7, vcc_lo
	s_delay_alu instid0(VALU_DEP_1) | instid1(SALU_CYCLE_1)
	v_cndmask_b32_e64 v2, v2, 0, s7
	s_delay_alu instid0(VALU_DEP_1)
	v_or_b32_e32 v29, v2, v33
.LBB6_12887:                            ;   in Loop: Header=BB6_8449 Depth=2
	s_or_b32 exec_lo, exec_lo, s40
                                        ; implicit-def: $vgpr33
.LBB6_12888:                            ;   in Loop: Header=BB6_8449 Depth=2
	s_and_not1_saveexec_b32 s7, s29
; %bb.12889:                            ;   in Loop: Header=BB6_8449 Depth=2
	v_or_b32_e32 v29, 0x7b, v33
; %bb.12890:                            ;   in Loop: Header=BB6_8449 Depth=2
	s_or_b32 exec_lo, exec_lo, s7
                                        ; implicit-def: $vgpr4
                                        ; implicit-def: $vgpr2_vgpr3
                                        ; implicit-def: $vgpr5
.LBB6_12891:                            ;   in Loop: Header=BB6_8449 Depth=2
	s_and_not1_saveexec_b32 s7, s28
	s_cbranch_execz .LBB6_12897
; %bb.12892:                            ;   in Loop: Header=BB6_8449 Depth=2
	s_mov_b32 s28, exec_lo
                                        ; implicit-def: $vgpr29
	v_cmpx_ne_u64_e32 0, v[2:3]
	s_xor_b32 s28, exec_lo, s28
; %bb.12893:                            ;   in Loop: Header=BB6_8449 Depth=2
	v_or_b32_e32 v29, 0x7f, v5
                                        ; implicit-def: $vgpr4
; %bb.12894:                            ;   in Loop: Header=BB6_8449 Depth=2
	s_and_not1_saveexec_b32 s28, s28
; %bb.12895:                            ;   in Loop: Header=BB6_8449 Depth=2
	v_cmp_lt_i32_e32 vcc_lo, -1, v4
	v_mov_b32_e32 v2, 0x7c
	s_delay_alu instid0(VALU_DEP_1)
	v_cndmask_b32_e32 v29, 0xfc, v2, vcc_lo
; %bb.12896:                            ;   in Loop: Header=BB6_8449 Depth=2
	s_or_b32 exec_lo, exec_lo, s28
.LBB6_12897:                            ;   in Loop: Header=BB6_8449 Depth=2
	s_delay_alu instid0(SALU_CYCLE_1)
	s_or_b32 exec_lo, exec_lo, s7
	v_dual_mov_b32 v3, 0 :: v_dual_mov_b32 v4, 0
	s_mov_b32 s28, exec_lo
	v_cmpx_lt_u32_e32 0xffffff, v0
	s_cbranch_execz .LBB6_12907
; %bb.12898:                            ;   in Loop: Header=BB6_8449 Depth=2
	v_lshrrev_b32_e32 v2, 24, v0
	v_bfrev_b32_e32 v4, 1
	s_mov_b32 s29, exec_lo
	s_delay_alu instid0(VALU_DEP_2)
	v_cmpx_ne_u32_e32 0x80, v2
	s_cbranch_execz .LBB6_12906
; %bb.12899:                            ;   in Loop: Header=BB6_8449 Depth=2
	v_and_b32_e32 v4, 0x7c000000, v0
	v_bfe_u32 v5, v0, 24, 2
	s_delay_alu instid0(VALU_DEP_2) | instskip(SKIP_1) | instid1(SALU_CYCLE_1)
	v_cmp_ne_u32_e32 vcc_lo, 0x7c000000, v4
                                        ; implicit-def: $vgpr4
	s_and_saveexec_b32 s7, vcc_lo
	s_xor_b32 s7, exec_lo, s7
	s_cbranch_execz .LBB6_12903
; %bb.12900:                            ;   in Loop: Header=BB6_8449 Depth=2
	v_bfe_u32 v4, v0, 26, 5
	s_mov_b32 s40, exec_lo
	s_delay_alu instid0(VALU_DEP_1)
	v_cmpx_eq_u32_e32 0, v4
; %bb.12901:                            ;   in Loop: Header=BB6_8449 Depth=2
	v_clz_i32_u32_e32 v4, v5
	s_delay_alu instid0(VALU_DEP_1) | instskip(NEXT) | instid1(VALU_DEP_1)
	v_min_u32_e32 v4, 32, v4
	v_subrev_nc_u32_e32 v5, 29, v4
	s_delay_alu instid0(VALU_DEP_1) | instskip(NEXT) | instid1(VALU_DEP_1)
	v_lshlrev_b64_e32 v[62:63], v5, v[2:3]
	v_dual_sub_nc_u32 v4, 30, v4 :: v_dual_bitop2_b32 v5, 3, v62 bitop3:0x40
; %bb.12902:                            ;   in Loop: Header=BB6_8449 Depth=2
	s_or_b32 exec_lo, exec_lo, s40
	v_and_b32_e32 v0, 0x80000000, v0
	s_delay_alu instid0(VALU_DEP_1) | instskip(NEXT) | instid1(VALU_DEP_1)
	v_lshl_add_u32 v0, v4, 23, v0
	v_lshl_or_b32 v0, v5, 21, v0
                                        ; implicit-def: $vgpr5
	s_delay_alu instid0(VALU_DEP_1)
	v_add_nc_u32_e32 v4, 0x38000000, v0
.LBB6_12903:                            ;   in Loop: Header=BB6_8449 Depth=2
	s_and_not1_saveexec_b32 s40, s7
; %bb.12904:                            ;   in Loop: Header=BB6_8449 Depth=2
	v_cmp_lt_i32_e64 s7, -1, v0
	v_mov_b32_e32 v0, 0x7f800000
	v_cmp_eq_u32_e32 vcc_lo, 0, v5
	s_delay_alu instid0(VALU_DEP_2) | instskip(NEXT) | instid1(VALU_DEP_1)
	v_cndmask_b32_e64 v0, 0xff800000, v0, s7
	v_cndmask_b32_e32 v4, 0x7f800001, v0, vcc_lo
; %bb.12905:                            ;   in Loop: Header=BB6_8449 Depth=2
	s_or_b32 exec_lo, exec_lo, s40
.LBB6_12906:                            ;   in Loop: Header=BB6_8449 Depth=2
	s_delay_alu instid0(SALU_CYCLE_1)
	s_or_b32 exec_lo, exec_lo, s29
.LBB6_12907:                            ;   in Loop: Header=BB6_8449 Depth=2
	s_delay_alu instid0(SALU_CYCLE_1) | instskip(NEXT) | instid1(SALU_CYCLE_1)
	s_or_b32 exec_lo, exec_lo, s28
	s_mov_b32 s28, exec_lo
	v_cmpx_lt_u64_e64 s[12:13], v[12:13]
	s_cbranch_execz .LBB6_12917
; %bb.12908:                            ;   in Loop: Header=BB6_8449 Depth=2
	v_lshrrev_b32_e32 v0, 24, v13
	v_bfrev_b32_e32 v3, 1
	s_mov_b32 s29, exec_lo
	s_delay_alu instid0(VALU_DEP_2)
	v_cmpx_ne_u32_e32 0x80, v0
	s_cbranch_execz .LBB6_12916
; %bb.12909:                            ;   in Loop: Header=BB6_8449 Depth=2
	v_and_b32_e32 v3, 0x7c000000, v13
	v_bfe_u32 v2, v13, 24, 2
	s_delay_alu instid0(VALU_DEP_2) | instskip(SKIP_1) | instid1(SALU_CYCLE_1)
	v_cmp_ne_u32_e32 vcc_lo, 0x7c000000, v3
                                        ; implicit-def: $vgpr3
	s_and_saveexec_b32 s7, vcc_lo
	s_xor_b32 s7, exec_lo, s7
	s_cbranch_execz .LBB6_12913
; %bb.12910:                            ;   in Loop: Header=BB6_8449 Depth=2
	v_bfe_u32 v3, v13, 26, 5
	s_mov_b32 s40, exec_lo
	s_delay_alu instid0(VALU_DEP_1)
	v_cmpx_eq_u32_e32 0, v3
; %bb.12911:                            ;   in Loop: Header=BB6_8449 Depth=2
	v_clz_i32_u32_e32 v2, v2
	s_delay_alu instid0(VALU_DEP_1) | instskip(NEXT) | instid1(VALU_DEP_1)
	v_min_u32_e32 v5, 32, v2
	v_subrev_nc_u32_e32 v2, 29, v5
	s_delay_alu instid0(VALU_DEP_1) | instskip(NEXT) | instid1(VALU_DEP_1)
	v_lshlrev_b64_e32 v[2:3], v2, v[0:1]
	v_dual_sub_nc_u32 v3, 30, v5 :: v_dual_bitop2_b32 v2, 3, v2 bitop3:0x40
; %bb.12912:                            ;   in Loop: Header=BB6_8449 Depth=2
	s_or_b32 exec_lo, exec_lo, s40
	v_and_b32_e32 v0, 0x80000000, v13
                                        ; implicit-def: $vgpr12_vgpr13
	s_delay_alu instid0(VALU_DEP_1) | instskip(NEXT) | instid1(VALU_DEP_1)
	v_lshl_add_u32 v0, v3, 23, v0
	v_lshl_or_b32 v0, v2, 21, v0
                                        ; implicit-def: $vgpr2
	s_delay_alu instid0(VALU_DEP_1)
	v_add_nc_u32_e32 v3, 0x38000000, v0
.LBB6_12913:                            ;   in Loop: Header=BB6_8449 Depth=2
	s_and_not1_saveexec_b32 s40, s7
; %bb.12914:                            ;   in Loop: Header=BB6_8449 Depth=2
	v_cmp_lt_i64_e64 s7, -1, v[12:13]
	v_mov_b32_e32 v0, 0x7f800000
	v_cmp_eq_u32_e32 vcc_lo, 0, v2
	s_delay_alu instid0(VALU_DEP_2) | instskip(NEXT) | instid1(VALU_DEP_1)
	v_cndmask_b32_e64 v0, 0xff800000, v0, s7
	v_cndmask_b32_e32 v3, 0x7f800001, v0, vcc_lo
; %bb.12915:                            ;   in Loop: Header=BB6_8449 Depth=2
	s_or_b32 exec_lo, exec_lo, s40
.LBB6_12916:                            ;   in Loop: Header=BB6_8449 Depth=2
	s_delay_alu instid0(SALU_CYCLE_1)
	s_or_b32 exec_lo, exec_lo, s29
.LBB6_12917:                            ;   in Loop: Header=BB6_8449 Depth=2
	s_delay_alu instid0(SALU_CYCLE_1) | instskip(NEXT) | instid1(VALU_DEP_1)
	s_or_b32 exec_lo, exec_lo, s28
	v_dual_add_f32 v3, v4, v3 :: v_dual_mov_b32 v5, v1
                                        ; implicit-def: $vgpr2
	s_delay_alu instid0(VALU_DEP_1) | instskip(SKIP_1) | instid1(VALU_DEP_2)
	v_and_b32_e32 v4, 0x7f800000, v3
	v_and_b32_e32 v0, 0x7fffff, v3
	v_cmp_ne_u64_e32 vcc_lo, 0x7f800000, v[4:5]
	v_lshrrev_b32_e32 v4, 24, v3
	s_and_saveexec_b32 s7, vcc_lo
	s_delay_alu instid0(SALU_CYCLE_1)
	s_xor_b32 s28, exec_lo, s7
	s_cbranch_execz .LBB6_12931
; %bb.12918:                            ;   in Loop: Header=BB6_8449 Depth=2
	v_and_b32_e32 v12, 0x7fffffff, v3
	v_mov_b32_e32 v13, v1
                                        ; implicit-def: $vgpr2
	s_delay_alu instid0(VALU_DEP_1) | instskip(SKIP_2) | instid1(SALU_CYCLE_1)
	v_cmp_gt_u64_e32 vcc_lo, 0x47600001, v[12:13]
	v_and_b32_e32 v12, 0x80, v4
	s_and_saveexec_b32 s7, vcc_lo
	s_xor_b32 s29, exec_lo, s7
	s_cbranch_execz .LBB6_12928
; %bb.12919:                            ;   in Loop: Header=BB6_8449 Depth=2
	v_mov_b32_e32 v2, 0
	s_mov_b32 s40, exec_lo
	v_cmpx_ne_u32_e32 0, v3
	s_cbranch_execz .LBB6_12927
; %bb.12920:                            ;   in Loop: Header=BB6_8449 Depth=2
	v_bfe_u32 v13, v3, 23, 8
	v_or_b32_e32 v3, 0x800000, v0
	s_delay_alu instid0(VALU_DEP_2) | instskip(SKIP_2) | instid1(VALU_DEP_2)
	v_cmp_gt_u32_e64 s7, 0x72, v13
	v_sub_nc_u32_e32 v2, 0x71, v13
	v_cmp_eq_u32_e32 vcc_lo, 0, v13
	v_cndmask_b32_e64 v2, 0, v2, s7
	s_delay_alu instid0(VALU_DEP_1) | instskip(SKIP_1) | instid1(VALU_DEP_2)
	v_cndmask_b32_e64 v33, v2, 0x70, vcc_lo
	v_dual_cndmask_b32 v2, v3, v0 :: v_dual_mov_b32 v3, v1
	v_add_nc_u32_e32 v0, 21, v33
	s_delay_alu instid0(VALU_DEP_1) | instskip(SKIP_1) | instid1(VALU_DEP_1)
	v_lshlrev_b64_e64 v[4:5], v0, -1
	v_add_nc_u32_e32 v0, 20, v33
	v_lshlrev_b64_e64 v[62:63], v0, 1
	s_delay_alu instid0(VALU_DEP_3) | instskip(SKIP_2) | instid1(VALU_DEP_1)
	v_bfi_b32 v4, v4, 0, v2
	v_lshrrev_b64 v[2:3], v33, v[2:3]
	v_bfi_b32 v5, v5, 0, 0
	v_cmp_eq_u64_e64 s7, v[4:5], v[62:63]
	s_delay_alu instid0(VALU_DEP_3)
	v_mov_b64_e32 v[4:5], v[2:3]
	s_and_saveexec_b32 s41, s7
; %bb.12921:                            ;   in Loop: Header=BB6_8449 Depth=2
	v_bfe_u32 v4, v2, 21, 1
	v_mov_b32_e32 v5, v1
	s_delay_alu instid0(VALU_DEP_1) | instskip(NEXT) | instid1(VALU_DEP_1)
	v_add_nc_u64_e32 v[4:5], v[2:3], v[4:5]
	v_add_nc_u64_e32 v[4:5], -1, v[4:5]
; %bb.12922:                            ;   in Loop: Header=BB6_8449 Depth=2
	s_or_b32 exec_lo, exec_lo, s41
	v_add_nc_u32_e32 v0, 0xffffff81, v13
	s_delay_alu instid0(VALU_DEP_2) | instskip(SKIP_2) | instid1(VALU_DEP_3)
	v_and_b32_e32 v4, 0x1fffff, v4
	v_lshrrev_b32_e32 v3, 23, v2
	s_mov_b32 s7, exec_lo
	v_cndmask_b32_e64 v0, v0, 0xffffff82, vcc_lo
	s_delay_alu instid0(VALU_DEP_1) | instskip(SKIP_1) | instid1(VALU_DEP_2)
	v_add3_u32 v13, v33, v0, v3
	v_add_nc_u32_e32 v0, v4, v2
                                        ; implicit-def: $vgpr2_vgpr3
                                        ; implicit-def: $vgpr4
	v_add_nc_u32_e32 v5, 14, v13
	s_delay_alu instid0(VALU_DEP_1)
	v_cmpx_ne_u32_e32 0, v5
	s_xor_b32 s7, exec_lo, s7
; %bb.12923:                            ;   in Loop: Header=BB6_8449 Depth=2
	s_delay_alu instid0(VALU_DEP_3) | instskip(SKIP_1) | instid1(VALU_DEP_1)
	v_cmp_lt_u64_e32 vcc_lo, 0xffffff, v[0:1]
	v_add_nc_u32_e32 v2, 15, v13
	v_cndmask_b32_e32 v4, v5, v2, vcc_lo
	v_cndmask_b32_e64 v2, 0, 1, vcc_lo
	s_delay_alu instid0(VALU_DEP_1)
	v_lshrrev_b64 v[2:3], v2, v[0:1]
; %bb.12924:                            ;   in Loop: Header=BB6_8449 Depth=2
	s_and_not1_saveexec_b32 s7, s7
; %bb.12925:                            ;   in Loop: Header=BB6_8449 Depth=2
	v_mov_b64_e32 v[2:3], v[0:1]
	v_bfe_u32 v4, v0, 23, 1
; %bb.12926:                            ;   in Loop: Header=BB6_8449 Depth=2
	s_or_b32 exec_lo, exec_lo, s7
	s_delay_alu instid0(VALU_DEP_2) | instskip(NEXT) | instid1(VALU_DEP_2)
	v_lshrrev_b64 v[2:3], 21, v[2:3]
	v_cmp_gt_i32_e32 vcc_lo, 32, v4
	v_min_i32_e32 v0, 31, v4
	v_cmp_eq_u32_e64 s7, 0, v4
	s_delay_alu instid0(VALU_DEP_2) | instskip(SKIP_1) | instid1(VALU_DEP_2)
	v_dual_cndmask_b32 v3, 0, v3 :: v_dual_lshlrev_b32 v0, 2, v0
	v_cndmask_b32_e32 v2, 3, v2, vcc_lo
	v_and_b32_e32 v0, 0xfc, v0
	s_delay_alu instid0(VALU_DEP_2) | instskip(NEXT) | instid1(VALU_DEP_2)
	v_cmp_eq_u64_e32 vcc_lo, 0, v[2:3]
	v_and_or_b32 v0, v2, 3, v0
	s_and_b32 s7, s7, vcc_lo
	s_delay_alu instid0(VALU_DEP_1) | instid1(SALU_CYCLE_1)
	v_cndmask_b32_e64 v0, v0, 0, s7
	s_delay_alu instid0(VALU_DEP_1)
	v_or_b32_e32 v2, v0, v12
.LBB6_12927:                            ;   in Loop: Header=BB6_8449 Depth=2
	s_or_b32 exec_lo, exec_lo, s40
                                        ; implicit-def: $vgpr12
.LBB6_12928:                            ;   in Loop: Header=BB6_8449 Depth=2
	s_and_not1_saveexec_b32 s7, s29
; %bb.12929:                            ;   in Loop: Header=BB6_8449 Depth=2
	v_or_b32_e32 v2, 0x7b, v12
; %bb.12930:                            ;   in Loop: Header=BB6_8449 Depth=2
	s_or_b32 exec_lo, exec_lo, s7
                                        ; implicit-def: $vgpr3
                                        ; implicit-def: $vgpr4
.LBB6_12931:                            ;   in Loop: Header=BB6_8449 Depth=2
	s_and_not1_saveexec_b32 s7, s28
	s_cbranch_execz .LBB6_8448
; %bb.12932:                            ;   in Loop: Header=BB6_8449 Depth=2
	s_mov_b32 s28, exec_lo
                                        ; implicit-def: $vgpr2
	v_cmpx_ne_u64_e32 0, v[0:1]
	s_xor_b32 s28, exec_lo, s28
; %bb.12933:                            ;   in Loop: Header=BB6_8449 Depth=2
	v_or_b32_e32 v2, 0x7f, v4
                                        ; implicit-def: $vgpr3
; %bb.12934:                            ;   in Loop: Header=BB6_8449 Depth=2
	s_and_not1_saveexec_b32 s28, s28
	s_cbranch_execz .LBB6_8447
; %bb.12935:                            ;   in Loop: Header=BB6_8449 Depth=2
	v_cmp_lt_i32_e32 vcc_lo, -1, v3
	v_mov_b32_e32 v0, 0x7c
	s_delay_alu instid0(VALU_DEP_1)
	v_cndmask_b32_e32 v2, 0xfc, v0, vcc_lo
	s_branch .LBB6_8447
.LBB6_12936:                            ;   in Loop: Header=BB6_8372 Depth=1
	s_or_b32 exec_lo, exec_lo, s25
	v_dual_mov_b32 v101, v78 :: v_dual_mov_b32 v99, v79
	v_mov_b32_e32 v103, v88
.LBB6_12937:                            ;   in Loop: Header=BB6_8372 Depth=1
	s_or_b32 exec_lo, exec_lo, s10
	s_delay_alu instid0(VALU_DEP_1) | instskip(SKIP_3) | instid1(VALU_DEP_2)
	v_and_b32_e32 v0, 0x3ffff800, v103
	v_mov_b32_e32 v10, 0
	s_mov_b32 s7, 0
	s_mov_b32 s11, exec_lo
                                        ; implicit-def: $vgpr4
                                        ; implicit-def: $vgpr5
	v_cmpx_ne_u32_e64 v103, v0
	s_cbranch_execz .LBB6_14007
; %bb.12938:                            ;   in Loop: Header=BB6_8372 Depth=1
	scratch_load_b32 v3, off, s33 offset:356 ; 4-byte Folded Reload
	v_lshlrev_b32_e32 v2, 5, v6
	v_and_b32_e32 v9, 0x1ff, v103
	v_bfe_u32 v5, v103, 9, 2
	s_mov_b32 s25, exec_lo
	s_delay_alu instid0(VALU_DEP_2) | instskip(NEXT) | instid1(VALU_DEP_1)
	v_cmp_lt_u32_e64 s7, 15, v9
	v_add_co_ci_u32_e64 v5, null, 0, v5, s7
	s_wait_loadcnt 0x0
	v_sub_nc_u32_e32 v2, v3, v2
	s_delay_alu instid0(VALU_DEP_1) | instskip(NEXT) | instid1(VALU_DEP_1)
	v_ashrrev_i32_e32 v3, 31, v2
	v_lshrrev_b32_e32 v3, 27, v3
	s_delay_alu instid0(VALU_DEP_1) | instskip(NEXT) | instid1(VALU_DEP_1)
	v_add_nc_u32_e32 v3, v2, v3
	v_and_b32_e32 v4, 0xffffffe0, v3
	s_delay_alu instid0(VALU_DEP_1) | instskip(SKIP_1) | instid1(VALU_DEP_2)
	v_dual_ashrrev_i32 v3, 5, v3 :: v_dual_sub_nc_u32 v8, v2, v4
	v_and_b32_e32 v4, 0x7ff, v103
	v_dual_sub_nc_u32 v20, v5, v3 :: v_dual_lshlrev_b32 v2, 4, v8
	s_delay_alu instid0(VALU_DEP_1) | instskip(NEXT) | instid1(VALU_DEP_1)
	v_lshl_add_u32 v2, v3, 9, v2
	v_sub_nc_u32_e32 v21, v4, v2
	s_wait_xcnt 0x0
	s_delay_alu instid0(VALU_DEP_1)
	v_cmpx_lt_i32_e32 15, v21
	s_cbranch_execz .LBB6_14006
; %bb.12939:                            ;   in Loop: Header=BB6_8372 Depth=1
	s_trap 2
	ds_load_b64 v[4:5], v0
	v_add_nc_u32_e32 v2, v2, v0
	s_delay_alu instid0(VALU_DEP_1) | instskip(NEXT) | instid1(VALU_DEP_1)
	v_ashrrev_i32_e32 v3, 31, v2
	v_add_nc_u64_e32 v[14:15], v[2:3], v[86:87]
	v_add_nc_u64_e32 v[16:17], v[2:3], v[96:97]
	s_wait_dscnt 0x0
	v_readfirstlane_b32 s26, v4
	v_readfirstlane_b32 s27, v5
	v_add_nc_u64_e32 v[18:19], v[4:5], v[2:3]
	s_and_b32 s28, s26, 3
	s_bfe_i32 s10, s26, 0x80000
	s_clz_i32_u32 s41, s28
	s_bfe_u32 s29, s26, 0x50002
	s_min_u32 s41, s41, 32
	s_and_b32 s40, s26, 0x7c
	s_sub_co_i32 s44, s41, 29
	s_lshl_b32 s42, s26, 24
	s_sext_i32_i8 s43, s26
	s_lshl_b64 s[26:27], s[26:27], s44
	s_and_b32 s42, s42, 0x80000000
	s_sub_co_i32 s27, 30, s41
	s_and_b32 s26, s26, 3
	s_cmp_gt_i32 s43, -1
	s_cselect_b32 s41, s22, 0xff800000
	s_cmp_eq_u32 s28, 0
	s_cselect_b32 s41, s41, 0x7f800001
	s_cmp_eq_u32 s29, 0
	s_cselect_b32 s27, s27, s29
	s_cselect_b32 s26, s26, s28
	s_lshl_b32 s27, s27, 23
	s_lshl_b32 s26, s26, 21
	s_add_co_i32 s27, s27, s42
	s_delay_alu instid0(SALU_CYCLE_1) | instskip(NEXT) | instid1(SALU_CYCLE_1)
	s_or_b32 s26, s27, s26
	s_add_co_i32 s27, s26, 0x38000000
	s_cmp_eq_u32 s40, 0x7c
	s_mov_b32 s26, 0
	s_cselect_b32 s27, s41, s27
	s_and_b32 s28, s10, 0xff
	s_branch .LBB6_12942
.LBB6_12940:                            ;   in Loop: Header=BB6_12942 Depth=2
	s_or_b32 exec_lo, exec_lo, s29
.LBB6_12941:                            ;   in Loop: Header=BB6_12942 Depth=2
	s_delay_alu instid0(SALU_CYCLE_1)
	s_or_b32 exec_lo, exec_lo, s10
	v_dual_lshlrev_b32 v3, 16, v36 :: v_dual_lshlrev_b32 v4, 24, v10
	v_lshl_or_b32 v5, v24, 8, v22
	v_dual_lshlrev_b32 v10, 16, v27 :: v_dual_lshlrev_b32 v12, 24, v30
	v_dual_lshlrev_b32 v24, 24, v2 :: v_dual_lshlrev_b32 v23, 16, v23
	v_lshl_or_b32 v6, v7, 8, v6
	v_lshl_or_b32 v0, v35, 8, v33
	;; [unrolled: 1-line block ×3, first 2 shown]
	v_dual_lshlrev_b32 v13, 16, v29 :: v_dual_lshlrev_b32 v22, 24, v32
	v_or3_b32 v2, v5, v10, v12
	v_or3_b32 v5, v6, v23, v24
	scratch_load_b64 v[6:7], off, s33 offset:324 ; 8-byte Folded Reload
	v_or3_b32 v3, v0, v3, v4
	v_or3_b32 v4, v11, v13, v22
	global_store_b128 v[16:17], v[2:5], off th:TH_STORE_NT
	scratch_load_b64 v[2:3], off, s33 offset:276 ; 8-byte Folded Reload
	s_wait_loadcnt 0x1
	v_sub_nc_u32_e32 v21, v21, v6
	v_add_nc_u64_e32 v[14:15], v[14:15], v[6:7]
	v_add_nc_u64_e32 v[18:19], v[18:19], v[6:7]
	;; [unrolled: 1-line block ×3, first 2 shown]
	s_delay_alu instid0(VALU_DEP_4)
	v_cmp_gt_i32_e32 vcc_lo, 16, v21
	s_wait_loadcnt 0x0
	v_sub_nc_u32_e32 v20, v20, v2
	s_or_b32 s26, vcc_lo, s26
	s_wait_xcnt 0x0
	s_and_not1_b32 exec_lo, exec_lo, s26
	s_cbranch_execz .LBB6_14005
.LBB6_12942:                            ;   Parent Loop BB6_8372 Depth=1
                                        ; =>  This Inner Loop Header: Depth=2
	s_cmp_lt_i32 s28, 0x80
	s_cbranch_scc1 .LBB6_12946
; %bb.12943:                            ;   in Loop: Header=BB6_12942 Depth=2
	s_and_b32 s10, 0xffff, s28
	s_delay_alu instid0(SALU_CYCLE_1)
	s_cmp_eq_u32 s10, 0x80
	s_mov_b32 s10, -1
	s_cbranch_scc0 .LBB6_12945
; %bb.12944:                            ;   in Loop: Header=BB6_12942 Depth=2
	s_mov_b32 s10, 0
.LBB6_12945:                            ;   in Loop: Header=BB6_12942 Depth=2
	s_brev_b32 s29, 1
	s_branch .LBB6_12948
.LBB6_12946:                            ;   in Loop: Header=BB6_12942 Depth=2
	s_mov_b32 s10, 0
	s_brev_b32 s29, 1
	s_cbranch_execz .LBB6_12948
; %bb.12947:                            ;   in Loop: Header=BB6_12942 Depth=2
	s_and_b32 s10, 0xffff, s28
	s_mov_b32 s29, 0
	s_cmp_lg_u32 s10, 0
	s_cselect_b32 s10, -1, 0
.LBB6_12948:                            ;   in Loop: Header=BB6_12942 Depth=2
	s_delay_alu instid0(SALU_CYCLE_1)
	s_and_not1_b32 vcc_lo, exec_lo, s10
	s_cbranch_vccnz .LBB6_12950
; %bb.12949:                            ;   in Loop: Header=BB6_12942 Depth=2
	s_mov_b32 s29, s27
.LBB6_12950:                            ;   in Loop: Header=BB6_12942 Depth=2
	global_load_b128 v[10:13], v[14:15], off th:TH_LOAD_NT
	s_wait_loadcnt 0x0
	v_and_b32_e32 v0, 0xff, v10
	s_delay_alu instid0(VALU_DEP_1)
	v_cmp_ne_u16_e32 vcc_lo, 0, v0
	v_mov_b32_e32 v0, 0
	s_wait_xcnt 0x0
	s_and_saveexec_b32 s10, vcc_lo
	s_cbranch_execz .LBB6_12960
; %bb.12951:                            ;   in Loop: Header=BB6_12942 Depth=2
	v_bfe_i32 v3, v10, 0, 8
	v_bfrev_b32_e32 v0, 1
	s_mov_b32 s40, exec_lo
	s_delay_alu instid0(VALU_DEP_2)
	v_cmpx_ne_u16_e32 0xff80, v3
	s_cbranch_execz .LBB6_12959
; %bb.12952:                            ;   in Loop: Header=BB6_12942 Depth=2
	v_and_b32_e32 v0, 0x7c, v10
	v_and_b32_e32 v2, 3, v10
	s_delay_alu instid0(VALU_DEP_2) | instskip(SKIP_1) | instid1(SALU_CYCLE_1)
	v_cmp_ne_u32_e32 vcc_lo, 0x7c, v0
                                        ; implicit-def: $vgpr0
	s_and_saveexec_b32 s41, vcc_lo
	s_xor_b32 s41, exec_lo, s41
	s_cbranch_execz .LBB6_12956
; %bb.12953:                            ;   in Loop: Header=BB6_12942 Depth=2
	v_bfe_u32 v0, v10, 2, 5
	s_mov_b32 s42, exec_lo
	s_delay_alu instid0(VALU_DEP_1)
	v_cmpx_eq_u32_e32 0, v0
; %bb.12954:                            ;   in Loop: Header=BB6_12942 Depth=2
	v_clz_i32_u32_e32 v0, v2
	s_delay_alu instid0(VALU_DEP_1) | instskip(NEXT) | instid1(VALU_DEP_1)
	v_min_u32_e32 v0, 32, v0
	v_subrev_nc_u32_e32 v2, 29, v0
	s_delay_alu instid0(VALU_DEP_1) | instskip(NEXT) | instid1(VALU_DEP_1)
	v_lshlrev_b64_e32 v[2:3], v2, v[10:11]
	v_dual_sub_nc_u32 v0, 30, v0 :: v_dual_bitop2_b32 v2, 3, v2 bitop3:0x40
; %bb.12955:                            ;   in Loop: Header=BB6_12942 Depth=2
	s_or_b32 exec_lo, exec_lo, s42
	v_lshlrev_b32_e32 v3, 24, v10
	s_delay_alu instid0(VALU_DEP_1) | instskip(NEXT) | instid1(VALU_DEP_1)
	v_and_b32_e32 v3, 0x80000000, v3
	v_lshl_add_u32 v0, v0, 23, v3
                                        ; implicit-def: $vgpr3
	s_delay_alu instid0(VALU_DEP_1) | instskip(NEXT) | instid1(VALU_DEP_1)
	v_lshl_or_b32 v0, v2, 21, v0
                                        ; implicit-def: $vgpr2
	v_add_nc_u32_e32 v0, 0x38000000, v0
.LBB6_12956:                            ;   in Loop: Header=BB6_12942 Depth=2
	s_and_not1_saveexec_b32 s41, s41
; %bb.12957:                            ;   in Loop: Header=BB6_12942 Depth=2
	v_cmp_lt_i16_e32 vcc_lo, -1, v3
	v_mov_b32_e32 v0, 0x7f800000
	s_delay_alu instid0(VALU_DEP_1) | instskip(SKIP_1) | instid1(VALU_DEP_2)
	v_cndmask_b32_e32 v0, 0xff800000, v0, vcc_lo
	v_cmp_eq_u32_e32 vcc_lo, 0, v2
	v_cndmask_b32_e32 v0, 0x7f800001, v0, vcc_lo
; %bb.12958:                            ;   in Loop: Header=BB6_12942 Depth=2
	s_or_b32 exec_lo, exec_lo, s41
.LBB6_12959:                            ;   in Loop: Header=BB6_12942 Depth=2
	s_delay_alu instid0(SALU_CYCLE_1)
	s_or_b32 exec_lo, exec_lo, s40
.LBB6_12960:                            ;   in Loop: Header=BB6_12942 Depth=2
	s_delay_alu instid0(SALU_CYCLE_1) | instskip(NEXT) | instid1(VALU_DEP_1)
	s_or_b32 exec_lo, exec_lo, s10
	v_dual_mul_f32 v2, s29, v0 :: v_dual_mov_b32 v5, v1
                                        ; implicit-def: $vgpr7
	s_mov_b32 s10, exec_lo
	s_delay_alu instid0(VALU_DEP_1) | instskip(SKIP_2) | instid1(VALU_DEP_3)
	v_and_b32_e32 v4, 0x7f800000, v2
	v_and_b32_e32 v0, 0x7fffff, v2
	v_lshrrev_b32_e32 v3, 24, v2
	v_cmpx_ne_u64_e32 0x7f800000, v[4:5]
	s_xor_b32 s40, exec_lo, s10
	s_cbranch_execz .LBB6_12974
; %bb.12961:                            ;   in Loop: Header=BB6_12942 Depth=2
	v_and_b32_e32 v4, 0x7fffffff, v2
	v_mov_b32_e32 v5, v1
	v_and_b32_e32 v6, 0x80, v3
                                        ; implicit-def: $vgpr7
	s_mov_b32 s10, exec_lo
	s_delay_alu instid0(VALU_DEP_2)
	v_cmpx_gt_u64_e32 0x47600001, v[4:5]
	s_xor_b32 s41, exec_lo, s10
	s_cbranch_execz .LBB6_12971
; %bb.12962:                            ;   in Loop: Header=BB6_12942 Depth=2
	v_mov_b32_e32 v7, 0
	s_mov_b32 s42, exec_lo
	v_cmpx_ne_u32_e32 0, v2
	s_cbranch_execz .LBB6_12970
; %bb.12963:                            ;   in Loop: Header=BB6_12942 Depth=2
	v_bfe_u32 v7, v2, 23, 8
	v_or_b32_e32 v4, 0x800000, v0
	s_mov_b32 s43, exec_lo
	s_delay_alu instid0(VALU_DEP_2) | instskip(SKIP_1) | instid1(VALU_DEP_2)
	v_dual_mov_b32 v5, v1 :: v_dual_sub_nc_u32 v2, 0x71, v7
	v_cmp_gt_u32_e32 vcc_lo, 0x72, v7
	v_cndmask_b32_e32 v2, 0, v2, vcc_lo
	v_cmp_eq_u32_e32 vcc_lo, 0, v7
	v_cndmask_b32_e32 v4, v4, v0, vcc_lo
	s_delay_alu instid0(VALU_DEP_3) | instskip(NEXT) | instid1(VALU_DEP_1)
	v_cndmask_b32_e64 v22, v2, 0x70, vcc_lo
	v_dual_add_nc_u32 v2, 21, v22 :: v_dual_add_nc_u32 v23, 20, v22
	s_delay_alu instid0(VALU_DEP_1) | instskip(NEXT) | instid1(VALU_DEP_2)
	v_lshlrev_b64_e64 v[2:3], v2, -1
	v_lshlrev_b64_e64 v[24:25], v23, 1
	s_delay_alu instid0(VALU_DEP_2) | instskip(NEXT) | instid1(VALU_DEP_3)
	v_bfi_b32 v27, v3, 0, 0
	v_bfi_b32 v26, v2, 0, v4
	v_lshrrev_b64 v[2:3], v22, v[4:5]
	s_delay_alu instid0(VALU_DEP_1) | instskip(NEXT) | instid1(VALU_DEP_3)
	v_mov_b64_e32 v[4:5], v[2:3]
	v_cmpx_eq_u64_e64 v[26:27], v[24:25]
; %bb.12964:                            ;   in Loop: Header=BB6_12942 Depth=2
	v_bfe_u32 v4, v2, 21, 1
	v_mov_b32_e32 v5, v1
	s_delay_alu instid0(VALU_DEP_1) | instskip(NEXT) | instid1(VALU_DEP_1)
	v_add_nc_u64_e32 v[4:5], v[2:3], v[4:5]
	v_add_nc_u64_e32 v[4:5], -1, v[4:5]
; %bb.12965:                            ;   in Loop: Header=BB6_12942 Depth=2
	s_or_b32 exec_lo, exec_lo, s43
	v_add_nc_u32_e32 v0, 0xffffff81, v7
	s_delay_alu instid0(VALU_DEP_2) | instskip(SKIP_2) | instid1(VALU_DEP_3)
	v_and_b32_e32 v4, 0x1fffff, v4
	v_lshrrev_b32_e32 v3, 23, v2
	s_mov_b32 s10, exec_lo
	v_cndmask_b32_e64 v0, v0, 0xffffff82, vcc_lo
	s_delay_alu instid0(VALU_DEP_1) | instskip(SKIP_1) | instid1(VALU_DEP_2)
	v_add3_u32 v5, v22, v0, v3
	v_add_nc_u32_e32 v0, v4, v2
                                        ; implicit-def: $vgpr2_vgpr3
                                        ; implicit-def: $vgpr4
	v_add_nc_u32_e32 v7, 14, v5
	s_delay_alu instid0(VALU_DEP_1)
	v_cmpx_ne_u32_e32 0, v7
	s_xor_b32 s10, exec_lo, s10
; %bb.12966:                            ;   in Loop: Header=BB6_12942 Depth=2
	s_delay_alu instid0(VALU_DEP_3) | instskip(SKIP_1) | instid1(VALU_DEP_1)
	v_cmp_lt_u64_e32 vcc_lo, 0xffffff, v[0:1]
	v_add_nc_u32_e32 v2, 15, v5
	v_cndmask_b32_e32 v4, v7, v2, vcc_lo
	v_cndmask_b32_e64 v2, 0, 1, vcc_lo
	s_delay_alu instid0(VALU_DEP_1)
	v_lshrrev_b64 v[2:3], v2, v[0:1]
; %bb.12967:                            ;   in Loop: Header=BB6_12942 Depth=2
	s_and_not1_saveexec_b32 s10, s10
; %bb.12968:                            ;   in Loop: Header=BB6_12942 Depth=2
	v_mov_b64_e32 v[2:3], v[0:1]
	v_bfe_u32 v4, v0, 23, 1
; %bb.12969:                            ;   in Loop: Header=BB6_12942 Depth=2
	s_or_b32 exec_lo, exec_lo, s10
	s_delay_alu instid0(VALU_DEP_2) | instskip(NEXT) | instid1(VALU_DEP_2)
	v_lshrrev_b64 v[2:3], 21, v[2:3]
	v_cmp_gt_i32_e32 vcc_lo, 32, v4
	v_min_i32_e32 v0, 31, v4
	v_cmp_eq_u32_e64 s10, 0, v4
	s_delay_alu instid0(VALU_DEP_2) | instskip(SKIP_1) | instid1(VALU_DEP_2)
	v_dual_cndmask_b32 v3, 0, v3 :: v_dual_lshlrev_b32 v0, 2, v0
	v_cndmask_b32_e32 v2, 3, v2, vcc_lo
	v_and_b32_e32 v0, 0xfc, v0
	s_delay_alu instid0(VALU_DEP_2) | instskip(NEXT) | instid1(VALU_DEP_2)
	v_cmp_eq_u64_e32 vcc_lo, 0, v[2:3]
	v_and_or_b32 v0, v2, 3, v0
	s_and_b32 s10, s10, vcc_lo
	s_delay_alu instid0(VALU_DEP_1) | instid1(SALU_CYCLE_1)
	v_cndmask_b32_e64 v0, v0, 0, s10
	s_delay_alu instid0(VALU_DEP_1)
	v_or_b32_e32 v7, v0, v6
.LBB6_12970:                            ;   in Loop: Header=BB6_12942 Depth=2
	s_or_b32 exec_lo, exec_lo, s42
                                        ; implicit-def: $vgpr6
.LBB6_12971:                            ;   in Loop: Header=BB6_12942 Depth=2
	s_and_not1_saveexec_b32 s10, s41
; %bb.12972:                            ;   in Loop: Header=BB6_12942 Depth=2
	v_or_b32_e32 v7, 0x7b, v6
; %bb.12973:                            ;   in Loop: Header=BB6_12942 Depth=2
	s_or_b32 exec_lo, exec_lo, s10
                                        ; implicit-def: $vgpr2
                                        ; implicit-def: $vgpr3
.LBB6_12974:                            ;   in Loop: Header=BB6_12942 Depth=2
	s_and_not1_saveexec_b32 s10, s40
	s_cbranch_execz .LBB6_12980
; %bb.12975:                            ;   in Loop: Header=BB6_12942 Depth=2
	s_mov_b32 s40, exec_lo
                                        ; implicit-def: $vgpr7
	v_cmpx_ne_u64_e32 0, v[0:1]
	s_xor_b32 s40, exec_lo, s40
; %bb.12976:                            ;   in Loop: Header=BB6_12942 Depth=2
	v_or_b32_e32 v7, 0x7f, v3
                                        ; implicit-def: $vgpr2
; %bb.12977:                            ;   in Loop: Header=BB6_12942 Depth=2
	s_and_not1_saveexec_b32 s40, s40
; %bb.12978:                            ;   in Loop: Header=BB6_12942 Depth=2
	v_cmp_lt_i32_e32 vcc_lo, -1, v2
	v_mov_b32_e32 v0, 0x7c
	s_delay_alu instid0(VALU_DEP_1)
	v_cndmask_b32_e32 v7, 0xfc, v0, vcc_lo
; %bb.12979:                            ;   in Loop: Header=BB6_12942 Depth=2
	s_or_b32 exec_lo, exec_lo, s40
.LBB6_12980:                            ;   in Loop: Header=BB6_12942 Depth=2
	s_delay_alu instid0(SALU_CYCLE_1) | instskip(SKIP_3) | instid1(VALU_DEP_2)
	s_or_b32 exec_lo, exec_lo, s10
	v_lshrrev_b16 v2, 8, v10
	v_mov_b32_e32 v3, 0
	s_mov_b32 s10, exec_lo
	v_cmpx_ne_u16_e32 0, v2
	s_cbranch_execz .LBB6_12990
; %bb.12981:                            ;   in Loop: Header=BB6_12942 Depth=2
	v_bfrev_b32_e32 v3, 1
	s_mov_b32 s40, exec_lo
	v_cmpx_ne_u16_e32 0x80, v2
	s_cbranch_execz .LBB6_12989
; %bb.12982:                            ;   in Loop: Header=BB6_12942 Depth=2
	v_and_b32_e32 v4, 0xffff, v2
	s_delay_alu instid0(VALU_DEP_1) | instskip(SKIP_1) | instid1(VALU_DEP_2)
	v_and_b32_e32 v3, 0x7c, v4
	v_and_b32_e32 v0, 3, v4
	v_cmp_ne_u32_e32 vcc_lo, 0x7c, v3
                                        ; implicit-def: $vgpr3
	s_and_saveexec_b32 s41, vcc_lo
	s_delay_alu instid0(SALU_CYCLE_1)
	s_xor_b32 s41, exec_lo, s41
	s_cbranch_execz .LBB6_12986
; %bb.12983:                            ;   in Loop: Header=BB6_12942 Depth=2
	v_bfe_u32 v3, v4, 2, 5
	s_mov_b32 s42, exec_lo
	s_delay_alu instid0(VALU_DEP_1)
	v_cmpx_eq_u32_e32 0, v3
; %bb.12984:                            ;   in Loop: Header=BB6_12942 Depth=2
	v_clz_i32_u32_e32 v0, v0
	v_mov_b32_e32 v3, v1
	s_delay_alu instid0(VALU_DEP_2) | instskip(NEXT) | instid1(VALU_DEP_1)
	v_min_u32_e32 v0, 32, v0
	v_subrev_nc_u32_e32 v4, 29, v0
	s_delay_alu instid0(VALU_DEP_1) | instskip(NEXT) | instid1(VALU_DEP_1)
	v_lshlrev_b64_e32 v[2:3], v4, v[2:3]
	v_dual_sub_nc_u32 v3, 30, v0 :: v_dual_bitop2_b32 v0, 3, v2 bitop3:0x40
; %bb.12985:                            ;   in Loop: Header=BB6_12942 Depth=2
	s_or_b32 exec_lo, exec_lo, s42
	v_lshlrev_b32_e32 v2, 16, v10
	s_delay_alu instid0(VALU_DEP_1) | instskip(NEXT) | instid1(VALU_DEP_1)
	v_and_b32_e32 v2, 0x80000000, v2
	v_lshl_add_u32 v2, v3, 23, v2
	s_delay_alu instid0(VALU_DEP_1) | instskip(NEXT) | instid1(VALU_DEP_1)
	v_lshl_or_b32 v0, v0, 21, v2
	v_add_nc_u32_e32 v3, 0x38000000, v0
                                        ; implicit-def: $vgpr0
.LBB6_12986:                            ;   in Loop: Header=BB6_12942 Depth=2
	s_and_not1_saveexec_b32 s41, s41
; %bb.12987:                            ;   in Loop: Header=BB6_12942 Depth=2
	v_cmp_lt_i16_e32 vcc_lo, -1, v10
	v_mov_b32_e32 v2, 0x7f800000
	s_delay_alu instid0(VALU_DEP_1) | instskip(SKIP_1) | instid1(VALU_DEP_2)
	v_cndmask_b32_e32 v2, 0xff800000, v2, vcc_lo
	v_cmp_eq_u32_e32 vcc_lo, 0, v0
	v_cndmask_b32_e32 v3, 0x7f800001, v2, vcc_lo
; %bb.12988:                            ;   in Loop: Header=BB6_12942 Depth=2
	s_or_b32 exec_lo, exec_lo, s41
.LBB6_12989:                            ;   in Loop: Header=BB6_12942 Depth=2
	s_delay_alu instid0(SALU_CYCLE_1)
	s_or_b32 exec_lo, exec_lo, s40
.LBB6_12990:                            ;   in Loop: Header=BB6_12942 Depth=2
	s_delay_alu instid0(SALU_CYCLE_1) | instskip(NEXT) | instid1(VALU_DEP_1)
	s_or_b32 exec_lo, exec_lo, s10
	v_dual_mul_f32 v2, s29, v3 :: v_dual_mov_b32 v5, v1
                                        ; implicit-def: $vgpr22
	s_mov_b32 s10, exec_lo
	s_delay_alu instid0(VALU_DEP_1) | instskip(SKIP_2) | instid1(VALU_DEP_3)
	v_and_b32_e32 v4, 0x7f800000, v2
	v_and_b32_e32 v0, 0x7fffff, v2
	v_lshrrev_b32_e32 v3, 24, v2
	v_cmpx_ne_u64_e32 0x7f800000, v[4:5]
	s_xor_b32 s40, exec_lo, s10
	s_cbranch_execz .LBB6_13004
; %bb.12991:                            ;   in Loop: Header=BB6_12942 Depth=2
	v_and_b32_e32 v4, 0x7fffffff, v2
	v_mov_b32_e32 v5, v1
	v_and_b32_e32 v6, 0x80, v3
                                        ; implicit-def: $vgpr22
	s_mov_b32 s10, exec_lo
	s_delay_alu instid0(VALU_DEP_2)
	v_cmpx_gt_u64_e32 0x47600001, v[4:5]
	s_xor_b32 s41, exec_lo, s10
	s_cbranch_execz .LBB6_13001
; %bb.12992:                            ;   in Loop: Header=BB6_12942 Depth=2
	v_mov_b32_e32 v22, 0
	s_mov_b32 s42, exec_lo
	v_cmpx_ne_u32_e32 0, v2
	s_cbranch_execz .LBB6_13000
; %bb.12993:                            ;   in Loop: Header=BB6_12942 Depth=2
	v_bfe_u32 v22, v2, 23, 8
	v_or_b32_e32 v4, 0x800000, v0
	s_mov_b32 s43, exec_lo
	s_delay_alu instid0(VALU_DEP_2) | instskip(SKIP_1) | instid1(VALU_DEP_2)
	v_dual_mov_b32 v5, v1 :: v_dual_sub_nc_u32 v2, 0x71, v22
	v_cmp_gt_u32_e32 vcc_lo, 0x72, v22
	v_cndmask_b32_e32 v2, 0, v2, vcc_lo
	v_cmp_eq_u32_e32 vcc_lo, 0, v22
	s_delay_alu instid0(VALU_DEP_2) | instskip(NEXT) | instid1(VALU_DEP_1)
	v_cndmask_b32_e64 v23, v2, 0x70, vcc_lo
	v_dual_cndmask_b32 v4, v4, v0, vcc_lo :: v_dual_add_nc_u32 v2, 21, v23
	v_add_nc_u32_e32 v24, 20, v23
	s_delay_alu instid0(VALU_DEP_2) | instskip(NEXT) | instid1(VALU_DEP_2)
	v_lshlrev_b64_e64 v[2:3], v2, -1
	v_lshlrev_b64_e64 v[24:25], v24, 1
	s_delay_alu instid0(VALU_DEP_2) | instskip(NEXT) | instid1(VALU_DEP_3)
	v_bfi_b32 v27, v3, 0, 0
	v_bfi_b32 v26, v2, 0, v4
	v_lshrrev_b64 v[2:3], v23, v[4:5]
	s_delay_alu instid0(VALU_DEP_1) | instskip(NEXT) | instid1(VALU_DEP_3)
	v_mov_b64_e32 v[4:5], v[2:3]
	v_cmpx_eq_u64_e64 v[26:27], v[24:25]
; %bb.12994:                            ;   in Loop: Header=BB6_12942 Depth=2
	v_bfe_u32 v4, v2, 21, 1
	v_mov_b32_e32 v5, v1
	s_delay_alu instid0(VALU_DEP_1) | instskip(NEXT) | instid1(VALU_DEP_1)
	v_add_nc_u64_e32 v[4:5], v[2:3], v[4:5]
	v_add_nc_u64_e32 v[4:5], -1, v[4:5]
; %bb.12995:                            ;   in Loop: Header=BB6_12942 Depth=2
	s_or_b32 exec_lo, exec_lo, s43
	v_add_nc_u32_e32 v0, 0xffffff81, v22
	s_delay_alu instid0(VALU_DEP_2) | instskip(SKIP_2) | instid1(VALU_DEP_3)
	v_and_b32_e32 v4, 0x1fffff, v4
	v_lshrrev_b32_e32 v3, 23, v2
	s_mov_b32 s10, exec_lo
	v_cndmask_b32_e64 v0, v0, 0xffffff82, vcc_lo
	s_delay_alu instid0(VALU_DEP_1) | instskip(SKIP_1) | instid1(VALU_DEP_2)
	v_add3_u32 v5, v23, v0, v3
	v_add_nc_u32_e32 v0, v4, v2
                                        ; implicit-def: $vgpr2_vgpr3
                                        ; implicit-def: $vgpr4
	v_add_nc_u32_e32 v22, 14, v5
	s_delay_alu instid0(VALU_DEP_1)
	v_cmpx_ne_u32_e32 0, v22
	s_xor_b32 s10, exec_lo, s10
; %bb.12996:                            ;   in Loop: Header=BB6_12942 Depth=2
	s_delay_alu instid0(VALU_DEP_3) | instskip(SKIP_1) | instid1(VALU_DEP_1)
	v_cmp_lt_u64_e32 vcc_lo, 0xffffff, v[0:1]
	v_add_nc_u32_e32 v2, 15, v5
	v_cndmask_b32_e32 v4, v22, v2, vcc_lo
	v_cndmask_b32_e64 v2, 0, 1, vcc_lo
	s_delay_alu instid0(VALU_DEP_1)
	v_lshrrev_b64 v[2:3], v2, v[0:1]
; %bb.12997:                            ;   in Loop: Header=BB6_12942 Depth=2
	s_and_not1_saveexec_b32 s10, s10
; %bb.12998:                            ;   in Loop: Header=BB6_12942 Depth=2
	v_mov_b64_e32 v[2:3], v[0:1]
	v_bfe_u32 v4, v0, 23, 1
; %bb.12999:                            ;   in Loop: Header=BB6_12942 Depth=2
	s_or_b32 exec_lo, exec_lo, s10
	s_delay_alu instid0(VALU_DEP_2) | instskip(NEXT) | instid1(VALU_DEP_2)
	v_lshrrev_b64 v[2:3], 21, v[2:3]
	v_cmp_gt_i32_e32 vcc_lo, 32, v4
	v_min_i32_e32 v0, 31, v4
	v_cmp_eq_u32_e64 s10, 0, v4
	s_delay_alu instid0(VALU_DEP_2) | instskip(SKIP_1) | instid1(VALU_DEP_2)
	v_dual_cndmask_b32 v3, 0, v3 :: v_dual_lshlrev_b32 v0, 2, v0
	v_cndmask_b32_e32 v2, 3, v2, vcc_lo
	v_and_b32_e32 v0, 0xfc, v0
	s_delay_alu instid0(VALU_DEP_2) | instskip(NEXT) | instid1(VALU_DEP_2)
	v_cmp_eq_u64_e32 vcc_lo, 0, v[2:3]
	v_and_or_b32 v0, v2, 3, v0
	s_and_b32 s10, s10, vcc_lo
	s_delay_alu instid0(VALU_DEP_1) | instid1(SALU_CYCLE_1)
	v_cndmask_b32_e64 v0, v0, 0, s10
	s_delay_alu instid0(VALU_DEP_1)
	v_or_b32_e32 v22, v0, v6
.LBB6_13000:                            ;   in Loop: Header=BB6_12942 Depth=2
	s_or_b32 exec_lo, exec_lo, s42
                                        ; implicit-def: $vgpr6
.LBB6_13001:                            ;   in Loop: Header=BB6_12942 Depth=2
	s_and_not1_saveexec_b32 s10, s41
; %bb.13002:                            ;   in Loop: Header=BB6_12942 Depth=2
	v_or_b32_e32 v22, 0x7b, v6
; %bb.13003:                            ;   in Loop: Header=BB6_12942 Depth=2
	s_or_b32 exec_lo, exec_lo, s10
                                        ; implicit-def: $vgpr2
                                        ; implicit-def: $vgpr3
.LBB6_13004:                            ;   in Loop: Header=BB6_12942 Depth=2
	s_and_not1_saveexec_b32 s10, s40
	s_cbranch_execz .LBB6_13010
; %bb.13005:                            ;   in Loop: Header=BB6_12942 Depth=2
	s_mov_b32 s40, exec_lo
                                        ; implicit-def: $vgpr22
	v_cmpx_ne_u64_e32 0, v[0:1]
	s_xor_b32 s40, exec_lo, s40
; %bb.13006:                            ;   in Loop: Header=BB6_12942 Depth=2
	v_or_b32_e32 v22, 0x7f, v3
                                        ; implicit-def: $vgpr2
; %bb.13007:                            ;   in Loop: Header=BB6_12942 Depth=2
	s_and_not1_saveexec_b32 s40, s40
; %bb.13008:                            ;   in Loop: Header=BB6_12942 Depth=2
	v_cmp_lt_i32_e32 vcc_lo, -1, v2
	v_mov_b32_e32 v0, 0x7c
	s_delay_alu instid0(VALU_DEP_1)
	v_cndmask_b32_e32 v22, 0xfc, v0, vcc_lo
; %bb.13009:                            ;   in Loop: Header=BB6_12942 Depth=2
	s_or_b32 exec_lo, exec_lo, s40
.LBB6_13010:                            ;   in Loop: Header=BB6_12942 Depth=2
	s_delay_alu instid0(SALU_CYCLE_1) | instskip(SKIP_2) | instid1(VALU_DEP_1)
	s_or_b32 exec_lo, exec_lo, s10
	v_dual_lshrrev_b32 v0, 16, v10 :: v_dual_mov_b32 v2, 0
	s_mov_b32 s10, exec_lo
	v_and_b32_e32 v3, 0xff, v0
	s_delay_alu instid0(VALU_DEP_1)
	v_cmpx_ne_u16_e32 0, v3
	s_cbranch_execz .LBB6_13020
; %bb.13011:                            ;   in Loop: Header=BB6_12942 Depth=2
	v_bfrev_b32_e32 v2, 1
	s_mov_b32 s40, exec_lo
	v_cmpx_ne_u16_e32 0x80, v3
	s_cbranch_execz .LBB6_13019
; %bb.13012:                            ;   in Loop: Header=BB6_12942 Depth=2
	v_and_b32_e32 v2, 0x7c0000, v10
	v_bfe_u32 v3, v10, 16, 2
	s_delay_alu instid0(VALU_DEP_2) | instskip(SKIP_1) | instid1(SALU_CYCLE_1)
	v_cmp_ne_u32_e32 vcc_lo, 0x7c0000, v2
                                        ; implicit-def: $vgpr2
	s_and_saveexec_b32 s41, vcc_lo
	s_xor_b32 s41, exec_lo, s41
	s_cbranch_execz .LBB6_13016
; %bb.13013:                            ;   in Loop: Header=BB6_12942 Depth=2
	v_bfe_u32 v2, v10, 18, 5
	s_mov_b32 s42, exec_lo
	s_delay_alu instid0(VALU_DEP_1)
	v_cmpx_eq_u32_e32 0, v2
; %bb.13014:                            ;   in Loop: Header=BB6_12942 Depth=2
	v_clz_i32_u32_e32 v2, v3
	s_delay_alu instid0(VALU_DEP_1) | instskip(NEXT) | instid1(VALU_DEP_1)
	v_min_u32_e32 v2, 32, v2
	v_subrev_nc_u32_e32 v3, 29, v2
	s_delay_alu instid0(VALU_DEP_1) | instskip(NEXT) | instid1(VALU_DEP_1)
	v_lshlrev_b64_e32 v[4:5], v3, v[0:1]
	v_dual_sub_nc_u32 v2, 30, v2 :: v_dual_bitop2_b32 v3, 3, v4 bitop3:0x40
; %bb.13015:                            ;   in Loop: Header=BB6_12942 Depth=2
	s_or_b32 exec_lo, exec_lo, s42
	v_lshlrev_b32_e32 v0, 24, v0
	s_delay_alu instid0(VALU_DEP_1) | instskip(NEXT) | instid1(VALU_DEP_1)
	v_and_b32_e32 v0, 0x80000000, v0
	v_lshl_add_u32 v0, v2, 23, v0
	s_delay_alu instid0(VALU_DEP_1) | instskip(NEXT) | instid1(VALU_DEP_1)
	v_lshl_or_b32 v0, v3, 21, v0
                                        ; implicit-def: $vgpr3
	v_add_nc_u32_e32 v2, 0x38000000, v0
                                        ; implicit-def: $vgpr0
.LBB6_13016:                            ;   in Loop: Header=BB6_12942 Depth=2
	s_and_not1_saveexec_b32 s41, s41
; %bb.13017:                            ;   in Loop: Header=BB6_12942 Depth=2
	v_bfe_i32 v0, v0, 0, 8
	s_delay_alu instid0(VALU_DEP_1) | instskip(SKIP_1) | instid1(VALU_DEP_1)
	v_cmp_lt_i16_e32 vcc_lo, -1, v0
	v_mov_b32_e32 v0, 0x7f800000
	v_cndmask_b32_e32 v0, 0xff800000, v0, vcc_lo
	v_cmp_eq_u32_e32 vcc_lo, 0, v3
	s_delay_alu instid0(VALU_DEP_2)
	v_cndmask_b32_e32 v2, 0x7f800001, v0, vcc_lo
; %bb.13018:                            ;   in Loop: Header=BB6_12942 Depth=2
	s_or_b32 exec_lo, exec_lo, s41
.LBB6_13019:                            ;   in Loop: Header=BB6_12942 Depth=2
	s_delay_alu instid0(SALU_CYCLE_1)
	s_or_b32 exec_lo, exec_lo, s40
.LBB6_13020:                            ;   in Loop: Header=BB6_12942 Depth=2
	s_delay_alu instid0(SALU_CYCLE_1) | instskip(NEXT) | instid1(VALU_DEP_1)
	s_or_b32 exec_lo, exec_lo, s10
	v_dual_mul_f32 v2, s29, v2 :: v_dual_mov_b32 v5, v1
                                        ; implicit-def: $vgpr24
	s_mov_b32 s10, exec_lo
	s_delay_alu instid0(VALU_DEP_1) | instskip(SKIP_2) | instid1(VALU_DEP_3)
	v_and_b32_e32 v4, 0x7f800000, v2
	v_and_b32_e32 v0, 0x7fffff, v2
	v_lshrrev_b32_e32 v3, 24, v2
	v_cmpx_ne_u64_e32 0x7f800000, v[4:5]
	s_xor_b32 s40, exec_lo, s10
	s_cbranch_execz .LBB6_13034
; %bb.13021:                            ;   in Loop: Header=BB6_12942 Depth=2
	v_and_b32_e32 v4, 0x7fffffff, v2
	v_mov_b32_e32 v5, v1
	v_and_b32_e32 v6, 0x80, v3
                                        ; implicit-def: $vgpr24
	s_mov_b32 s10, exec_lo
	s_delay_alu instid0(VALU_DEP_2)
	v_cmpx_gt_u64_e32 0x47600001, v[4:5]
	s_xor_b32 s41, exec_lo, s10
	s_cbranch_execz .LBB6_13031
; %bb.13022:                            ;   in Loop: Header=BB6_12942 Depth=2
	v_mov_b32_e32 v24, 0
	s_mov_b32 s42, exec_lo
	v_cmpx_ne_u32_e32 0, v2
	s_cbranch_execz .LBB6_13030
; %bb.13023:                            ;   in Loop: Header=BB6_12942 Depth=2
	v_bfe_u32 v23, v2, 23, 8
	v_or_b32_e32 v4, 0x800000, v0
	s_mov_b32 s43, exec_lo
	s_delay_alu instid0(VALU_DEP_2) | instskip(SKIP_1) | instid1(VALU_DEP_2)
	v_dual_mov_b32 v5, v1 :: v_dual_sub_nc_u32 v2, 0x71, v23
	v_cmp_gt_u32_e32 vcc_lo, 0x72, v23
	v_cndmask_b32_e32 v2, 0, v2, vcc_lo
	v_cmp_eq_u32_e32 vcc_lo, 0, v23
	s_delay_alu instid0(VALU_DEP_2) | instskip(SKIP_1) | instid1(VALU_DEP_2)
	v_cndmask_b32_e64 v24, v2, 0x70, vcc_lo
	v_cndmask_b32_e32 v4, v4, v0, vcc_lo
	v_dual_add_nc_u32 v2, 21, v24 :: v_dual_add_nc_u32 v25, 20, v24
	s_delay_alu instid0(VALU_DEP_1) | instskip(NEXT) | instid1(VALU_DEP_2)
	v_lshlrev_b64_e64 v[2:3], v2, -1
	v_lshlrev_b64_e64 v[26:27], v25, 1
	s_delay_alu instid0(VALU_DEP_2) | instskip(NEXT) | instid1(VALU_DEP_3)
	v_bfi_b32 v29, v3, 0, 0
	v_bfi_b32 v28, v2, 0, v4
	v_lshrrev_b64 v[2:3], v24, v[4:5]
	s_delay_alu instid0(VALU_DEP_1) | instskip(NEXT) | instid1(VALU_DEP_3)
	v_mov_b64_e32 v[4:5], v[2:3]
	v_cmpx_eq_u64_e64 v[28:29], v[26:27]
; %bb.13024:                            ;   in Loop: Header=BB6_12942 Depth=2
	v_bfe_u32 v4, v2, 21, 1
	v_mov_b32_e32 v5, v1
	s_delay_alu instid0(VALU_DEP_1) | instskip(NEXT) | instid1(VALU_DEP_1)
	v_add_nc_u64_e32 v[4:5], v[2:3], v[4:5]
	v_add_nc_u64_e32 v[4:5], -1, v[4:5]
; %bb.13025:                            ;   in Loop: Header=BB6_12942 Depth=2
	s_or_b32 exec_lo, exec_lo, s43
	v_add_nc_u32_e32 v0, 0xffffff81, v23
	s_delay_alu instid0(VALU_DEP_2) | instskip(SKIP_2) | instid1(VALU_DEP_3)
	v_and_b32_e32 v4, 0x1fffff, v4
	v_lshrrev_b32_e32 v3, 23, v2
	s_mov_b32 s10, exec_lo
	v_cndmask_b32_e64 v0, v0, 0xffffff82, vcc_lo
	s_delay_alu instid0(VALU_DEP_1) | instskip(SKIP_1) | instid1(VALU_DEP_2)
	v_add3_u32 v5, v24, v0, v3
	v_add_nc_u32_e32 v0, v4, v2
                                        ; implicit-def: $vgpr2_vgpr3
                                        ; implicit-def: $vgpr4
	v_add_nc_u32_e32 v23, 14, v5
	s_delay_alu instid0(VALU_DEP_1)
	v_cmpx_ne_u32_e32 0, v23
	s_xor_b32 s10, exec_lo, s10
; %bb.13026:                            ;   in Loop: Header=BB6_12942 Depth=2
	s_delay_alu instid0(VALU_DEP_3) | instskip(SKIP_1) | instid1(VALU_DEP_1)
	v_cmp_lt_u64_e32 vcc_lo, 0xffffff, v[0:1]
	v_add_nc_u32_e32 v2, 15, v5
	v_cndmask_b32_e32 v4, v23, v2, vcc_lo
	v_cndmask_b32_e64 v2, 0, 1, vcc_lo
	s_delay_alu instid0(VALU_DEP_1)
	v_lshrrev_b64 v[2:3], v2, v[0:1]
; %bb.13027:                            ;   in Loop: Header=BB6_12942 Depth=2
	s_and_not1_saveexec_b32 s10, s10
; %bb.13028:                            ;   in Loop: Header=BB6_12942 Depth=2
	v_mov_b64_e32 v[2:3], v[0:1]
	v_bfe_u32 v4, v0, 23, 1
; %bb.13029:                            ;   in Loop: Header=BB6_12942 Depth=2
	s_or_b32 exec_lo, exec_lo, s10
	s_delay_alu instid0(VALU_DEP_2) | instskip(NEXT) | instid1(VALU_DEP_2)
	v_lshrrev_b64 v[2:3], 21, v[2:3]
	v_cmp_gt_i32_e32 vcc_lo, 32, v4
	v_min_i32_e32 v0, 31, v4
	v_cmp_eq_u32_e64 s10, 0, v4
	s_delay_alu instid0(VALU_DEP_2) | instskip(SKIP_1) | instid1(VALU_DEP_2)
	v_dual_cndmask_b32 v3, 0, v3 :: v_dual_lshlrev_b32 v0, 2, v0
	v_cndmask_b32_e32 v2, 3, v2, vcc_lo
	v_and_b32_e32 v0, 0xfc, v0
	s_delay_alu instid0(VALU_DEP_2) | instskip(NEXT) | instid1(VALU_DEP_2)
	v_cmp_eq_u64_e32 vcc_lo, 0, v[2:3]
	v_and_or_b32 v0, v2, 3, v0
	s_and_b32 s10, s10, vcc_lo
	s_delay_alu instid0(VALU_DEP_1) | instid1(SALU_CYCLE_1)
	v_cndmask_b32_e64 v0, v0, 0, s10
	s_delay_alu instid0(VALU_DEP_1)
	v_or_b32_e32 v24, v0, v6
.LBB6_13030:                            ;   in Loop: Header=BB6_12942 Depth=2
	s_or_b32 exec_lo, exec_lo, s42
                                        ; implicit-def: $vgpr6
.LBB6_13031:                            ;   in Loop: Header=BB6_12942 Depth=2
	s_and_not1_saveexec_b32 s10, s41
; %bb.13032:                            ;   in Loop: Header=BB6_12942 Depth=2
	v_or_b32_e32 v24, 0x7b, v6
; %bb.13033:                            ;   in Loop: Header=BB6_12942 Depth=2
	s_or_b32 exec_lo, exec_lo, s10
                                        ; implicit-def: $vgpr2
                                        ; implicit-def: $vgpr3
.LBB6_13034:                            ;   in Loop: Header=BB6_12942 Depth=2
	s_and_not1_saveexec_b32 s10, s40
	s_cbranch_execz .LBB6_13040
; %bb.13035:                            ;   in Loop: Header=BB6_12942 Depth=2
	s_mov_b32 s40, exec_lo
                                        ; implicit-def: $vgpr24
	v_cmpx_ne_u64_e32 0, v[0:1]
	s_xor_b32 s40, exec_lo, s40
; %bb.13036:                            ;   in Loop: Header=BB6_12942 Depth=2
	v_or_b32_e32 v24, 0x7f, v3
                                        ; implicit-def: $vgpr2
; %bb.13037:                            ;   in Loop: Header=BB6_12942 Depth=2
	s_and_not1_saveexec_b32 s40, s40
; %bb.13038:                            ;   in Loop: Header=BB6_12942 Depth=2
	v_cmp_lt_i32_e32 vcc_lo, -1, v2
	v_mov_b32_e32 v0, 0x7c
	s_delay_alu instid0(VALU_DEP_1)
	v_cndmask_b32_e32 v24, 0xfc, v0, vcc_lo
; %bb.13039:                            ;   in Loop: Header=BB6_12942 Depth=2
	s_or_b32 exec_lo, exec_lo, s40
.LBB6_13040:                            ;   in Loop: Header=BB6_12942 Depth=2
	s_delay_alu instid0(SALU_CYCLE_1)
	s_or_b32 exec_lo, exec_lo, s10
	v_mov_b32_e32 v2, 0
	s_mov_b32 s10, exec_lo
	v_cmpx_lt_u32_e32 0xffffff, v10
	s_cbranch_execz .LBB6_13050
; %bb.13041:                            ;   in Loop: Header=BB6_12942 Depth=2
	v_lshrrev_b32_e32 v0, 24, v10
	v_bfrev_b32_e32 v2, 1
	s_mov_b32 s40, exec_lo
	s_delay_alu instid0(VALU_DEP_2)
	v_cmpx_ne_u32_e32 0x80, v0
	s_cbranch_execz .LBB6_13049
; %bb.13042:                            ;   in Loop: Header=BB6_12942 Depth=2
	v_and_b32_e32 v2, 0x7c000000, v10
	v_bfe_u32 v3, v10, 24, 2
	s_delay_alu instid0(VALU_DEP_2) | instskip(SKIP_1) | instid1(SALU_CYCLE_1)
	v_cmp_ne_u32_e32 vcc_lo, 0x7c000000, v2
                                        ; implicit-def: $vgpr2
	s_and_saveexec_b32 s41, vcc_lo
	s_xor_b32 s41, exec_lo, s41
	s_cbranch_execz .LBB6_13046
; %bb.13043:                            ;   in Loop: Header=BB6_12942 Depth=2
	v_bfe_u32 v2, v10, 26, 5
	s_mov_b32 s42, exec_lo
	s_delay_alu instid0(VALU_DEP_1)
	v_cmpx_eq_u32_e32 0, v2
; %bb.13044:                            ;   in Loop: Header=BB6_12942 Depth=2
	v_clz_i32_u32_e32 v2, v3
	s_delay_alu instid0(VALU_DEP_1) | instskip(NEXT) | instid1(VALU_DEP_1)
	v_min_u32_e32 v2, 32, v2
	v_subrev_nc_u32_e32 v3, 29, v2
	s_delay_alu instid0(VALU_DEP_1) | instskip(NEXT) | instid1(VALU_DEP_1)
	v_lshlrev_b64_e32 v[4:5], v3, v[0:1]
	v_dual_sub_nc_u32 v2, 30, v2 :: v_dual_bitop2_b32 v3, 3, v4 bitop3:0x40
; %bb.13045:                            ;   in Loop: Header=BB6_12942 Depth=2
	s_or_b32 exec_lo, exec_lo, s42
	v_and_b32_e32 v0, 0x80000000, v10
	s_delay_alu instid0(VALU_DEP_1) | instskip(NEXT) | instid1(VALU_DEP_1)
	v_lshl_add_u32 v0, v2, 23, v0
	v_lshl_or_b32 v0, v3, 21, v0
                                        ; implicit-def: $vgpr3
	s_delay_alu instid0(VALU_DEP_1)
	v_add_nc_u32_e32 v2, 0x38000000, v0
.LBB6_13046:                            ;   in Loop: Header=BB6_12942 Depth=2
	s_and_not1_saveexec_b32 s41, s41
; %bb.13047:                            ;   in Loop: Header=BB6_12942 Depth=2
	v_cmp_lt_i32_e32 vcc_lo, -1, v10
	v_mov_b32_e32 v0, 0x7f800000
	s_delay_alu instid0(VALU_DEP_1) | instskip(SKIP_1) | instid1(VALU_DEP_2)
	v_cndmask_b32_e32 v0, 0xff800000, v0, vcc_lo
	v_cmp_eq_u32_e32 vcc_lo, 0, v3
	v_cndmask_b32_e32 v2, 0x7f800001, v0, vcc_lo
; %bb.13048:                            ;   in Loop: Header=BB6_12942 Depth=2
	s_or_b32 exec_lo, exec_lo, s41
.LBB6_13049:                            ;   in Loop: Header=BB6_12942 Depth=2
	s_delay_alu instid0(SALU_CYCLE_1)
	s_or_b32 exec_lo, exec_lo, s40
.LBB6_13050:                            ;   in Loop: Header=BB6_12942 Depth=2
	s_delay_alu instid0(SALU_CYCLE_1) | instskip(NEXT) | instid1(VALU_DEP_1)
	s_or_b32 exec_lo, exec_lo, s10
	v_dual_mul_f32 v2, s29, v2 :: v_dual_mov_b32 v5, v1
                                        ; implicit-def: $vgpr27
	s_mov_b32 s10, exec_lo
	s_delay_alu instid0(VALU_DEP_1) | instskip(SKIP_2) | instid1(VALU_DEP_3)
	v_and_b32_e32 v4, 0x7f800000, v2
	v_and_b32_e32 v0, 0x7fffff, v2
	v_lshrrev_b32_e32 v3, 24, v2
	v_cmpx_ne_u64_e32 0x7f800000, v[4:5]
	s_xor_b32 s40, exec_lo, s10
	s_cbranch_execz .LBB6_13064
; %bb.13051:                            ;   in Loop: Header=BB6_12942 Depth=2
	v_and_b32_e32 v4, 0x7fffffff, v2
	v_mov_b32_e32 v5, v1
	v_and_b32_e32 v6, 0x80, v3
                                        ; implicit-def: $vgpr27
	s_mov_b32 s10, exec_lo
	s_delay_alu instid0(VALU_DEP_2)
	v_cmpx_gt_u64_e32 0x47600001, v[4:5]
	s_xor_b32 s41, exec_lo, s10
	s_cbranch_execz .LBB6_13061
; %bb.13052:                            ;   in Loop: Header=BB6_12942 Depth=2
	v_mov_b32_e32 v27, 0
	s_mov_b32 s42, exec_lo
	v_cmpx_ne_u32_e32 0, v2
	s_cbranch_execz .LBB6_13060
; %bb.13053:                            ;   in Loop: Header=BB6_12942 Depth=2
	v_bfe_u32 v23, v2, 23, 8
	v_or_b32_e32 v4, 0x800000, v0
	s_mov_b32 s43, exec_lo
	s_delay_alu instid0(VALU_DEP_2) | instskip(SKIP_1) | instid1(VALU_DEP_2)
	v_dual_mov_b32 v5, v1 :: v_dual_sub_nc_u32 v2, 0x71, v23
	v_cmp_gt_u32_e32 vcc_lo, 0x72, v23
	v_cndmask_b32_e32 v2, 0, v2, vcc_lo
	v_cmp_eq_u32_e32 vcc_lo, 0, v23
	s_delay_alu instid0(VALU_DEP_2) | instskip(NEXT) | instid1(VALU_DEP_1)
	v_cndmask_b32_e64 v25, v2, 0x70, vcc_lo
	v_dual_cndmask_b32 v4, v4, v0, vcc_lo :: v_dual_add_nc_u32 v2, 21, v25
	v_add_nc_u32_e32 v26, 20, v25
	s_delay_alu instid0(VALU_DEP_2) | instskip(NEXT) | instid1(VALU_DEP_2)
	v_lshlrev_b64_e64 v[2:3], v2, -1
	v_lshlrev_b64_e64 v[26:27], v26, 1
	s_delay_alu instid0(VALU_DEP_2) | instskip(NEXT) | instid1(VALU_DEP_3)
	v_bfi_b32 v29, v3, 0, 0
	v_bfi_b32 v28, v2, 0, v4
	v_lshrrev_b64 v[2:3], v25, v[4:5]
	s_delay_alu instid0(VALU_DEP_1) | instskip(NEXT) | instid1(VALU_DEP_3)
	v_mov_b64_e32 v[4:5], v[2:3]
	v_cmpx_eq_u64_e64 v[28:29], v[26:27]
; %bb.13054:                            ;   in Loop: Header=BB6_12942 Depth=2
	v_bfe_u32 v4, v2, 21, 1
	v_mov_b32_e32 v5, v1
	s_delay_alu instid0(VALU_DEP_1) | instskip(NEXT) | instid1(VALU_DEP_1)
	v_add_nc_u64_e32 v[4:5], v[2:3], v[4:5]
	v_add_nc_u64_e32 v[4:5], -1, v[4:5]
; %bb.13055:                            ;   in Loop: Header=BB6_12942 Depth=2
	s_or_b32 exec_lo, exec_lo, s43
	v_add_nc_u32_e32 v0, 0xffffff81, v23
	s_delay_alu instid0(VALU_DEP_2) | instskip(SKIP_2) | instid1(VALU_DEP_3)
	v_and_b32_e32 v4, 0x1fffff, v4
	v_lshrrev_b32_e32 v3, 23, v2
	s_mov_b32 s10, exec_lo
	v_cndmask_b32_e64 v0, v0, 0xffffff82, vcc_lo
	s_delay_alu instid0(VALU_DEP_1) | instskip(SKIP_1) | instid1(VALU_DEP_2)
	v_add3_u32 v5, v25, v0, v3
	v_add_nc_u32_e32 v0, v4, v2
                                        ; implicit-def: $vgpr2_vgpr3
                                        ; implicit-def: $vgpr4
	v_add_nc_u32_e32 v23, 14, v5
	s_delay_alu instid0(VALU_DEP_1)
	v_cmpx_ne_u32_e32 0, v23
	s_xor_b32 s10, exec_lo, s10
; %bb.13056:                            ;   in Loop: Header=BB6_12942 Depth=2
	s_delay_alu instid0(VALU_DEP_3) | instskip(SKIP_1) | instid1(VALU_DEP_1)
	v_cmp_lt_u64_e32 vcc_lo, 0xffffff, v[0:1]
	v_add_nc_u32_e32 v2, 15, v5
	v_cndmask_b32_e32 v4, v23, v2, vcc_lo
	v_cndmask_b32_e64 v2, 0, 1, vcc_lo
	s_delay_alu instid0(VALU_DEP_1)
	v_lshrrev_b64 v[2:3], v2, v[0:1]
; %bb.13057:                            ;   in Loop: Header=BB6_12942 Depth=2
	s_and_not1_saveexec_b32 s10, s10
; %bb.13058:                            ;   in Loop: Header=BB6_12942 Depth=2
	v_mov_b64_e32 v[2:3], v[0:1]
	v_bfe_u32 v4, v0, 23, 1
; %bb.13059:                            ;   in Loop: Header=BB6_12942 Depth=2
	s_or_b32 exec_lo, exec_lo, s10
	s_delay_alu instid0(VALU_DEP_2) | instskip(NEXT) | instid1(VALU_DEP_2)
	v_lshrrev_b64 v[2:3], 21, v[2:3]
	v_cmp_gt_i32_e32 vcc_lo, 32, v4
	v_min_i32_e32 v0, 31, v4
	v_cmp_eq_u32_e64 s10, 0, v4
	s_delay_alu instid0(VALU_DEP_2) | instskip(SKIP_1) | instid1(VALU_DEP_2)
	v_dual_cndmask_b32 v3, 0, v3 :: v_dual_lshlrev_b32 v0, 2, v0
	v_cndmask_b32_e32 v2, 3, v2, vcc_lo
	v_and_b32_e32 v0, 0xfc, v0
	s_delay_alu instid0(VALU_DEP_2) | instskip(NEXT) | instid1(VALU_DEP_2)
	v_cmp_eq_u64_e32 vcc_lo, 0, v[2:3]
	v_and_or_b32 v0, v2, 3, v0
	s_and_b32 s10, s10, vcc_lo
	s_delay_alu instid0(VALU_DEP_1) | instid1(SALU_CYCLE_1)
	v_cndmask_b32_e64 v0, v0, 0, s10
	s_delay_alu instid0(VALU_DEP_1)
	v_or_b32_e32 v27, v0, v6
.LBB6_13060:                            ;   in Loop: Header=BB6_12942 Depth=2
	s_or_b32 exec_lo, exec_lo, s42
                                        ; implicit-def: $vgpr6
.LBB6_13061:                            ;   in Loop: Header=BB6_12942 Depth=2
	s_and_not1_saveexec_b32 s10, s41
; %bb.13062:                            ;   in Loop: Header=BB6_12942 Depth=2
	v_or_b32_e32 v27, 0x7b, v6
; %bb.13063:                            ;   in Loop: Header=BB6_12942 Depth=2
	s_or_b32 exec_lo, exec_lo, s10
                                        ; implicit-def: $vgpr2
                                        ; implicit-def: $vgpr3
.LBB6_13064:                            ;   in Loop: Header=BB6_12942 Depth=2
	s_and_not1_saveexec_b32 s10, s40
	s_cbranch_execz .LBB6_13070
; %bb.13065:                            ;   in Loop: Header=BB6_12942 Depth=2
	s_mov_b32 s40, exec_lo
                                        ; implicit-def: $vgpr27
	v_cmpx_ne_u64_e32 0, v[0:1]
	s_xor_b32 s40, exec_lo, s40
; %bb.13066:                            ;   in Loop: Header=BB6_12942 Depth=2
	v_or_b32_e32 v27, 0x7f, v3
                                        ; implicit-def: $vgpr2
; %bb.13067:                            ;   in Loop: Header=BB6_12942 Depth=2
	s_and_not1_saveexec_b32 s40, s40
; %bb.13068:                            ;   in Loop: Header=BB6_12942 Depth=2
	v_cmp_lt_i32_e32 vcc_lo, -1, v2
	v_mov_b32_e32 v0, 0x7c
	s_delay_alu instid0(VALU_DEP_1)
	v_cndmask_b32_e32 v27, 0xfc, v0, vcc_lo
; %bb.13069:                            ;   in Loop: Header=BB6_12942 Depth=2
	s_or_b32 exec_lo, exec_lo, s40
.LBB6_13070:                            ;   in Loop: Header=BB6_12942 Depth=2
	s_delay_alu instid0(SALU_CYCLE_1) | instskip(SKIP_3) | instid1(VALU_DEP_2)
	s_or_b32 exec_lo, exec_lo, s10
	v_and_b32_e32 v3, 0xff, v11
	v_dual_mov_b32 v0, v11 :: v_dual_mov_b32 v2, 0
	s_mov_b32 s10, exec_lo
	v_cmpx_ne_u16_e32 0, v3
	s_cbranch_execz .LBB6_13080
; %bb.13071:                            ;   in Loop: Header=BB6_12942 Depth=2
	v_bfrev_b32_e32 v2, 1
	s_mov_b32 s40, exec_lo
	v_cmpx_ne_u16_e32 0x80, v3
	s_cbranch_execz .LBB6_13079
; %bb.13072:                            ;   in Loop: Header=BB6_12942 Depth=2
	v_and_b32_e32 v2, 0x7c, v11
	v_and_b32_e32 v3, 3, v11
	s_delay_alu instid0(VALU_DEP_2) | instskip(SKIP_1) | instid1(SALU_CYCLE_1)
	v_cmp_ne_u32_e32 vcc_lo, 0x7c, v2
                                        ; implicit-def: $vgpr2
	s_and_saveexec_b32 s41, vcc_lo
	s_xor_b32 s41, exec_lo, s41
	s_cbranch_execz .LBB6_13076
; %bb.13073:                            ;   in Loop: Header=BB6_12942 Depth=2
	v_bfe_u32 v2, v11, 2, 5
	s_mov_b32 s42, exec_lo
	s_delay_alu instid0(VALU_DEP_1)
	v_cmpx_eq_u32_e32 0, v2
; %bb.13074:                            ;   in Loop: Header=BB6_12942 Depth=2
	v_clz_i32_u32_e32 v2, v3
	s_delay_alu instid0(VALU_DEP_1) | instskip(NEXT) | instid1(VALU_DEP_1)
	v_min_u32_e32 v2, 32, v2
	v_subrev_nc_u32_e32 v3, 29, v2
	s_delay_alu instid0(VALU_DEP_1) | instskip(NEXT) | instid1(VALU_DEP_1)
	v_lshlrev_b64_e32 v[4:5], v3, v[0:1]
	v_dual_sub_nc_u32 v2, 30, v2 :: v_dual_bitop2_b32 v3, 3, v4 bitop3:0x40
; %bb.13075:                            ;   in Loop: Header=BB6_12942 Depth=2
	s_or_b32 exec_lo, exec_lo, s42
	v_lshlrev_b32_e32 v4, 24, v11
	s_delay_alu instid0(VALU_DEP_1) | instskip(NEXT) | instid1(VALU_DEP_1)
	v_and_b32_e32 v4, 0x80000000, v4
	v_lshl_add_u32 v2, v2, 23, v4
	s_delay_alu instid0(VALU_DEP_1) | instskip(NEXT) | instid1(VALU_DEP_1)
	v_lshl_or_b32 v2, v3, 21, v2
                                        ; implicit-def: $vgpr3
	v_add_nc_u32_e32 v2, 0x38000000, v2
.LBB6_13076:                            ;   in Loop: Header=BB6_12942 Depth=2
	s_and_not1_saveexec_b32 s41, s41
; %bb.13077:                            ;   in Loop: Header=BB6_12942 Depth=2
	v_bfe_i32 v2, v11, 0, 8
	s_delay_alu instid0(VALU_DEP_1) | instskip(SKIP_1) | instid1(VALU_DEP_1)
	v_cmp_lt_i16_e32 vcc_lo, -1, v2
	v_mov_b32_e32 v2, 0x7f800000
	v_cndmask_b32_e32 v2, 0xff800000, v2, vcc_lo
	v_cmp_eq_u32_e32 vcc_lo, 0, v3
	s_delay_alu instid0(VALU_DEP_2)
	v_cndmask_b32_e32 v2, 0x7f800001, v2, vcc_lo
; %bb.13078:                            ;   in Loop: Header=BB6_12942 Depth=2
	s_or_b32 exec_lo, exec_lo, s41
.LBB6_13079:                            ;   in Loop: Header=BB6_12942 Depth=2
	s_delay_alu instid0(SALU_CYCLE_1)
	s_or_b32 exec_lo, exec_lo, s40
.LBB6_13080:                            ;   in Loop: Header=BB6_12942 Depth=2
	s_delay_alu instid0(SALU_CYCLE_1) | instskip(NEXT) | instid1(VALU_DEP_1)
	s_or_b32 exec_lo, exec_lo, s10
	v_dual_mul_f32 v4, s29, v2 :: v_dual_mov_b32 v29, v1
	v_mov_b32_e32 v3, v1
                                        ; implicit-def: $vgpr6
	s_mov_b32 s10, exec_lo
	s_delay_alu instid0(VALU_DEP_2) | instskip(SKIP_2) | instid1(VALU_DEP_3)
	v_and_b32_e32 v28, 0x7f800000, v4
	v_and_b32_e32 v2, 0x7fffff, v4
	v_lshrrev_b32_e32 v5, 24, v4
	v_cmpx_ne_u64_e32 0x7f800000, v[28:29]
	s_xor_b32 s40, exec_lo, s10
	s_cbranch_execz .LBB6_13094
; %bb.13081:                            ;   in Loop: Header=BB6_12942 Depth=2
	v_and_b32_e32 v28, 0x7fffffff, v4
	v_mov_b32_e32 v29, v1
	v_and_b32_e32 v23, 0x80, v5
                                        ; implicit-def: $vgpr6
	s_mov_b32 s10, exec_lo
	s_delay_alu instid0(VALU_DEP_2)
	v_cmpx_gt_u64_e32 0x47600001, v[28:29]
	s_xor_b32 s41, exec_lo, s10
	s_cbranch_execz .LBB6_13091
; %bb.13082:                            ;   in Loop: Header=BB6_12942 Depth=2
	v_mov_b32_e32 v6, 0
	s_mov_b32 s42, exec_lo
	v_cmpx_ne_u32_e32 0, v4
	s_cbranch_execz .LBB6_13090
; %bb.13083:                            ;   in Loop: Header=BB6_12942 Depth=2
	v_bfe_u32 v6, v4, 23, 8
	v_or_b32_e32 v26, 0x800000, v2
	s_delay_alu instid0(VALU_DEP_2) | instskip(SKIP_1) | instid1(VALU_DEP_2)
	v_sub_nc_u32_e32 v4, 0x71, v6
	v_cmp_gt_u32_e32 vcc_lo, 0x72, v6
	v_cndmask_b32_e32 v4, 0, v4, vcc_lo
	v_cmp_eq_u32_e32 vcc_lo, 0, v6
	s_delay_alu instid0(VALU_DEP_2) | instskip(NEXT) | instid1(VALU_DEP_1)
	v_cndmask_b32_e64 v25, v4, 0x70, vcc_lo
	v_dual_cndmask_b32 v2, v26, v2, vcc_lo :: v_dual_add_nc_u32 v4, 21, v25
	v_add_nc_u32_e32 v28, 20, v25
	s_delay_alu instid0(VALU_DEP_2) | instskip(NEXT) | instid1(VALU_DEP_2)
	v_lshlrev_b64_e64 v[4:5], v4, -1
	v_lshlrev_b64_e64 v[28:29], v28, 1
	s_delay_alu instid0(VALU_DEP_2) | instskip(SKIP_1) | instid1(VALU_DEP_4)
	v_bfi_b32 v4, v4, 0, v2
	v_lshrrev_b64 v[2:3], v25, v[2:3]
	v_bfi_b32 v5, v5, 0, 0
	s_delay_alu instid0(VALU_DEP_1) | instskip(NEXT) | instid1(VALU_DEP_3)
	v_cmp_eq_u64_e64 s10, v[4:5], v[28:29]
	v_mov_b64_e32 v[4:5], v[2:3]
	s_and_saveexec_b32 s43, s10
; %bb.13084:                            ;   in Loop: Header=BB6_12942 Depth=2
	v_bfe_u32 v4, v2, 21, 1
	v_mov_b32_e32 v5, v1
	s_delay_alu instid0(VALU_DEP_1) | instskip(NEXT) | instid1(VALU_DEP_1)
	v_add_nc_u64_e32 v[4:5], v[2:3], v[4:5]
	v_add_nc_u64_e32 v[4:5], -1, v[4:5]
; %bb.13085:                            ;   in Loop: Header=BB6_12942 Depth=2
	s_or_b32 exec_lo, exec_lo, s43
	v_add_nc_u32_e32 v3, 0xffffff81, v6
	v_lshrrev_b32_e32 v5, 23, v2
	s_mov_b32 s10, exec_lo
	s_delay_alu instid0(VALU_DEP_2) | instskip(NEXT) | instid1(VALU_DEP_1)
	v_cndmask_b32_e64 v3, v3, 0xffffff82, vcc_lo
	v_add3_u32 v5, v25, v3, v5
	v_and_b32_e32 v3, 0x1fffff, v4
                                        ; implicit-def: $vgpr4
	s_delay_alu instid0(VALU_DEP_1) | instskip(SKIP_1) | instid1(VALU_DEP_2)
	v_dual_add_nc_u32 v6, 14, v5 :: v_dual_add_nc_u32 v2, v3, v2
	v_mov_b32_e32 v3, v1
	v_cmpx_ne_u32_e32 0, v6
	s_xor_b32 s10, exec_lo, s10
; %bb.13086:                            ;   in Loop: Header=BB6_12942 Depth=2
	s_delay_alu instid0(VALU_DEP_2) | instskip(SKIP_2) | instid1(VALU_DEP_2)
	v_cmp_lt_u64_e32 vcc_lo, 0xffffff, v[2:3]
	v_add_nc_u32_e32 v4, 15, v5
	v_cndmask_b32_e64 v5, 0, 1, vcc_lo
	v_cndmask_b32_e32 v4, v6, v4, vcc_lo
	s_delay_alu instid0(VALU_DEP_2)
	v_lshrrev_b64 v[2:3], v5, v[2:3]
; %bb.13087:                            ;   in Loop: Header=BB6_12942 Depth=2
	s_and_not1_saveexec_b32 s10, s10
; %bb.13088:                            ;   in Loop: Header=BB6_12942 Depth=2
	s_delay_alu instid0(VALU_DEP_1)
	v_bfe_u32 v4, v2, 23, 1
; %bb.13089:                            ;   in Loop: Header=BB6_12942 Depth=2
	s_or_b32 exec_lo, exec_lo, s10
	s_delay_alu instid0(VALU_DEP_2) | instskip(NEXT) | instid1(VALU_DEP_2)
	v_lshrrev_b64 v[2:3], 21, v[2:3]
	v_cmp_gt_i32_e32 vcc_lo, 32, v4
	v_min_i32_e32 v5, 31, v4
	v_cmp_eq_u32_e64 s10, 0, v4
	s_delay_alu instid0(VALU_DEP_2) | instskip(SKIP_1) | instid1(VALU_DEP_2)
	v_dual_cndmask_b32 v3, 0, v3, vcc_lo :: v_dual_lshlrev_b32 v5, 2, v5
	v_cndmask_b32_e32 v2, 3, v2, vcc_lo
	v_and_b32_e32 v5, 0xfc, v5
	s_delay_alu instid0(VALU_DEP_2) | instskip(NEXT) | instid1(VALU_DEP_2)
	v_cmp_eq_u64_e32 vcc_lo, 0, v[2:3]
	v_and_or_b32 v2, v2, 3, v5
	s_and_b32 s10, s10, vcc_lo
	s_delay_alu instid0(VALU_DEP_1) | instid1(SALU_CYCLE_1)
	v_cndmask_b32_e64 v2, v2, 0, s10
	s_delay_alu instid0(VALU_DEP_1)
	v_or_b32_e32 v6, v2, v23
.LBB6_13090:                            ;   in Loop: Header=BB6_12942 Depth=2
	s_or_b32 exec_lo, exec_lo, s42
                                        ; implicit-def: $vgpr23
.LBB6_13091:                            ;   in Loop: Header=BB6_12942 Depth=2
	s_and_not1_saveexec_b32 s10, s41
; %bb.13092:                            ;   in Loop: Header=BB6_12942 Depth=2
	v_or_b32_e32 v6, 0x7b, v23
; %bb.13093:                            ;   in Loop: Header=BB6_12942 Depth=2
	s_or_b32 exec_lo, exec_lo, s10
                                        ; implicit-def: $vgpr4
                                        ; implicit-def: $vgpr2_vgpr3
                                        ; implicit-def: $vgpr5
.LBB6_13094:                            ;   in Loop: Header=BB6_12942 Depth=2
	s_and_not1_saveexec_b32 s10, s40
	s_cbranch_execz .LBB6_13100
; %bb.13095:                            ;   in Loop: Header=BB6_12942 Depth=2
	s_mov_b32 s40, exec_lo
                                        ; implicit-def: $vgpr6
	v_cmpx_ne_u64_e32 0, v[2:3]
	s_xor_b32 s40, exec_lo, s40
; %bb.13096:                            ;   in Loop: Header=BB6_12942 Depth=2
	v_or_b32_e32 v6, 0x7f, v5
                                        ; implicit-def: $vgpr4
; %bb.13097:                            ;   in Loop: Header=BB6_12942 Depth=2
	s_and_not1_saveexec_b32 s40, s40
; %bb.13098:                            ;   in Loop: Header=BB6_12942 Depth=2
	v_cmp_lt_i32_e32 vcc_lo, -1, v4
	v_mov_b32_e32 v2, 0x7c
	s_delay_alu instid0(VALU_DEP_1)
	v_cndmask_b32_e32 v6, 0xfc, v2, vcc_lo
; %bb.13099:                            ;   in Loop: Header=BB6_12942 Depth=2
	s_or_b32 exec_lo, exec_lo, s40
.LBB6_13100:                            ;   in Loop: Header=BB6_12942 Depth=2
	s_delay_alu instid0(SALU_CYCLE_1) | instskip(SKIP_3) | instid1(VALU_DEP_2)
	s_or_b32 exec_lo, exec_lo, s10
	v_lshrrev_b16 v2, 8, v0
	v_mov_b32_e32 v4, 0
	s_mov_b32 s10, exec_lo
	v_cmpx_ne_u16_e32 0, v2
	s_cbranch_execz .LBB6_13110
; %bb.13101:                            ;   in Loop: Header=BB6_12942 Depth=2
	v_bfrev_b32_e32 v4, 1
	s_mov_b32 s40, exec_lo
	v_cmpx_ne_u16_e32 0x80, v2
	s_cbranch_execz .LBB6_13109
; %bb.13102:                            ;   in Loop: Header=BB6_12942 Depth=2
	v_and_b32_e32 v5, 0xffff, v2
	s_delay_alu instid0(VALU_DEP_1) | instskip(SKIP_1) | instid1(VALU_DEP_2)
	v_and_b32_e32 v4, 0x7c, v5
	v_and_b32_e32 v3, 3, v5
	v_cmp_ne_u32_e32 vcc_lo, 0x7c, v4
                                        ; implicit-def: $vgpr4
	s_and_saveexec_b32 s41, vcc_lo
	s_delay_alu instid0(SALU_CYCLE_1)
	s_xor_b32 s41, exec_lo, s41
	s_cbranch_execz .LBB6_13106
; %bb.13103:                            ;   in Loop: Header=BB6_12942 Depth=2
	v_bfe_u32 v4, v5, 2, 5
	s_mov_b32 s42, exec_lo
	s_delay_alu instid0(VALU_DEP_1)
	v_cmpx_eq_u32_e32 0, v4
	s_cbranch_execz .LBB6_13105
; %bb.13104:                            ;   in Loop: Header=BB6_12942 Depth=2
	v_clz_i32_u32_e32 v3, v3
	s_delay_alu instid0(VALU_DEP_1) | instskip(SKIP_1) | instid1(VALU_DEP_2)
	v_min_u32_e32 v4, 32, v3
	v_mov_b32_e32 v3, v1
	v_subrev_nc_u32_e32 v5, 29, v4
	v_sub_nc_u32_e32 v4, 30, v4
	s_delay_alu instid0(VALU_DEP_2) | instskip(NEXT) | instid1(VALU_DEP_1)
	v_lshlrev_b64_e32 v[2:3], v5, v[2:3]
	v_and_b32_e32 v3, 3, v2
.LBB6_13105:                            ;   in Loop: Header=BB6_12942 Depth=2
	s_or_b32 exec_lo, exec_lo, s42
	v_lshlrev_b32_e32 v0, 16, v0
	s_delay_alu instid0(VALU_DEP_1) | instskip(NEXT) | instid1(VALU_DEP_1)
	v_and_b32_e32 v0, 0x80000000, v0
	v_lshl_add_u32 v0, v4, 23, v0
	s_delay_alu instid0(VALU_DEP_1) | instskip(NEXT) | instid1(VALU_DEP_1)
	v_lshl_or_b32 v0, v3, 21, v0
                                        ; implicit-def: $vgpr3
	v_add_nc_u32_e32 v4, 0x38000000, v0
.LBB6_13106:                            ;   in Loop: Header=BB6_12942 Depth=2
	s_and_not1_saveexec_b32 s41, s41
; %bb.13107:                            ;   in Loop: Header=BB6_12942 Depth=2
	v_cmp_lt_i16_e32 vcc_lo, -1, v0
	v_mov_b32_e32 v0, 0x7f800000
	s_delay_alu instid0(VALU_DEP_1) | instskip(SKIP_1) | instid1(VALU_DEP_2)
	v_cndmask_b32_e32 v0, 0xff800000, v0, vcc_lo
	v_cmp_eq_u32_e32 vcc_lo, 0, v3
	v_cndmask_b32_e32 v4, 0x7f800001, v0, vcc_lo
; %bb.13108:                            ;   in Loop: Header=BB6_12942 Depth=2
	s_or_b32 exec_lo, exec_lo, s41
.LBB6_13109:                            ;   in Loop: Header=BB6_12942 Depth=2
	s_delay_alu instid0(SALU_CYCLE_1)
	s_or_b32 exec_lo, exec_lo, s40
.LBB6_13110:                            ;   in Loop: Header=BB6_12942 Depth=2
	s_delay_alu instid0(SALU_CYCLE_1) | instskip(NEXT) | instid1(VALU_DEP_1)
	s_or_b32 exec_lo, exec_lo, s10
	v_dual_mul_f32 v2, s29, v4 :: v_dual_mov_b32 v5, v1
                                        ; implicit-def: $vgpr33
	s_mov_b32 s10, exec_lo
	s_delay_alu instid0(VALU_DEP_1) | instskip(SKIP_2) | instid1(VALU_DEP_3)
	v_and_b32_e32 v4, 0x7f800000, v2
	v_and_b32_e32 v0, 0x7fffff, v2
	v_lshrrev_b32_e32 v3, 24, v2
	v_cmpx_ne_u64_e32 0x7f800000, v[4:5]
	s_xor_b32 s40, exec_lo, s10
	s_cbranch_execz .LBB6_13124
; %bb.13111:                            ;   in Loop: Header=BB6_12942 Depth=2
	v_and_b32_e32 v4, 0x7fffffff, v2
	v_mov_b32_e32 v5, v1
	v_and_b32_e32 v23, 0x80, v3
                                        ; implicit-def: $vgpr33
	s_mov_b32 s10, exec_lo
	s_delay_alu instid0(VALU_DEP_2)
	v_cmpx_gt_u64_e32 0x47600001, v[4:5]
	s_xor_b32 s41, exec_lo, s10
	s_cbranch_execz .LBB6_13121
; %bb.13112:                            ;   in Loop: Header=BB6_12942 Depth=2
	v_mov_b32_e32 v33, 0
	s_mov_b32 s42, exec_lo
	v_cmpx_ne_u32_e32 0, v2
	s_cbranch_execz .LBB6_13120
; %bb.13113:                            ;   in Loop: Header=BB6_12942 Depth=2
	v_bfe_u32 v25, v2, 23, 8
	v_or_b32_e32 v4, 0x800000, v0
	s_mov_b32 s43, exec_lo
	s_delay_alu instid0(VALU_DEP_2) | instskip(SKIP_1) | instid1(VALU_DEP_2)
	v_dual_mov_b32 v5, v1 :: v_dual_sub_nc_u32 v2, 0x71, v25
	v_cmp_gt_u32_e32 vcc_lo, 0x72, v25
	v_cndmask_b32_e32 v2, 0, v2, vcc_lo
	v_cmp_eq_u32_e32 vcc_lo, 0, v25
	v_cndmask_b32_e32 v4, v4, v0, vcc_lo
	s_delay_alu instid0(VALU_DEP_3) | instskip(NEXT) | instid1(VALU_DEP_1)
	v_cndmask_b32_e64 v26, v2, 0x70, vcc_lo
	v_dual_add_nc_u32 v2, 21, v26 :: v_dual_add_nc_u32 v28, 20, v26
	s_delay_alu instid0(VALU_DEP_1) | instskip(NEXT) | instid1(VALU_DEP_2)
	v_lshlrev_b64_e64 v[2:3], v2, -1
	v_lshlrev_b64_e64 v[28:29], v28, 1
	s_delay_alu instid0(VALU_DEP_2) | instskip(NEXT) | instid1(VALU_DEP_3)
	v_bfi_b32 v31, v3, 0, 0
	v_bfi_b32 v30, v2, 0, v4
	v_lshrrev_b64 v[2:3], v26, v[4:5]
	s_delay_alu instid0(VALU_DEP_1) | instskip(NEXT) | instid1(VALU_DEP_3)
	v_mov_b64_e32 v[4:5], v[2:3]
	v_cmpx_eq_u64_e64 v[30:31], v[28:29]
; %bb.13114:                            ;   in Loop: Header=BB6_12942 Depth=2
	v_bfe_u32 v4, v2, 21, 1
	v_mov_b32_e32 v5, v1
	s_delay_alu instid0(VALU_DEP_1) | instskip(NEXT) | instid1(VALU_DEP_1)
	v_add_nc_u64_e32 v[4:5], v[2:3], v[4:5]
	v_add_nc_u64_e32 v[4:5], -1, v[4:5]
; %bb.13115:                            ;   in Loop: Header=BB6_12942 Depth=2
	s_or_b32 exec_lo, exec_lo, s43
	v_add_nc_u32_e32 v0, 0xffffff81, v25
	s_delay_alu instid0(VALU_DEP_2) | instskip(SKIP_2) | instid1(VALU_DEP_3)
	v_and_b32_e32 v4, 0x1fffff, v4
	v_lshrrev_b32_e32 v3, 23, v2
	s_mov_b32 s10, exec_lo
	v_cndmask_b32_e64 v0, v0, 0xffffff82, vcc_lo
	s_delay_alu instid0(VALU_DEP_1) | instskip(SKIP_1) | instid1(VALU_DEP_2)
	v_add3_u32 v5, v26, v0, v3
	v_add_nc_u32_e32 v0, v4, v2
                                        ; implicit-def: $vgpr2_vgpr3
                                        ; implicit-def: $vgpr4
	v_add_nc_u32_e32 v25, 14, v5
	s_delay_alu instid0(VALU_DEP_1)
	v_cmpx_ne_u32_e32 0, v25
	s_xor_b32 s10, exec_lo, s10
; %bb.13116:                            ;   in Loop: Header=BB6_12942 Depth=2
	s_delay_alu instid0(VALU_DEP_3) | instskip(SKIP_1) | instid1(VALU_DEP_1)
	v_cmp_lt_u64_e32 vcc_lo, 0xffffff, v[0:1]
	v_add_nc_u32_e32 v2, 15, v5
	v_cndmask_b32_e32 v4, v25, v2, vcc_lo
	v_cndmask_b32_e64 v2, 0, 1, vcc_lo
	s_delay_alu instid0(VALU_DEP_1)
	v_lshrrev_b64 v[2:3], v2, v[0:1]
; %bb.13117:                            ;   in Loop: Header=BB6_12942 Depth=2
	s_and_not1_saveexec_b32 s10, s10
; %bb.13118:                            ;   in Loop: Header=BB6_12942 Depth=2
	v_mov_b64_e32 v[2:3], v[0:1]
	v_bfe_u32 v4, v0, 23, 1
; %bb.13119:                            ;   in Loop: Header=BB6_12942 Depth=2
	s_or_b32 exec_lo, exec_lo, s10
	s_delay_alu instid0(VALU_DEP_2) | instskip(NEXT) | instid1(VALU_DEP_2)
	v_lshrrev_b64 v[2:3], 21, v[2:3]
	v_cmp_gt_i32_e32 vcc_lo, 32, v4
	v_min_i32_e32 v0, 31, v4
	v_cmp_eq_u32_e64 s10, 0, v4
	s_delay_alu instid0(VALU_DEP_2) | instskip(SKIP_1) | instid1(VALU_DEP_2)
	v_dual_cndmask_b32 v3, 0, v3 :: v_dual_lshlrev_b32 v0, 2, v0
	v_cndmask_b32_e32 v2, 3, v2, vcc_lo
	v_and_b32_e32 v0, 0xfc, v0
	s_delay_alu instid0(VALU_DEP_2) | instskip(NEXT) | instid1(VALU_DEP_2)
	v_cmp_eq_u64_e32 vcc_lo, 0, v[2:3]
	v_and_or_b32 v0, v2, 3, v0
	s_and_b32 s10, s10, vcc_lo
	s_delay_alu instid0(VALU_DEP_1) | instid1(SALU_CYCLE_1)
	v_cndmask_b32_e64 v0, v0, 0, s10
	s_delay_alu instid0(VALU_DEP_1)
	v_or_b32_e32 v33, v0, v23
.LBB6_13120:                            ;   in Loop: Header=BB6_12942 Depth=2
	s_or_b32 exec_lo, exec_lo, s42
                                        ; implicit-def: $vgpr23
.LBB6_13121:                            ;   in Loop: Header=BB6_12942 Depth=2
	s_and_not1_saveexec_b32 s10, s41
; %bb.13122:                            ;   in Loop: Header=BB6_12942 Depth=2
	v_or_b32_e32 v33, 0x7b, v23
; %bb.13123:                            ;   in Loop: Header=BB6_12942 Depth=2
	s_or_b32 exec_lo, exec_lo, s10
                                        ; implicit-def: $vgpr2
                                        ; implicit-def: $vgpr3
.LBB6_13124:                            ;   in Loop: Header=BB6_12942 Depth=2
	s_and_not1_saveexec_b32 s10, s40
	s_cbranch_execz .LBB6_13130
; %bb.13125:                            ;   in Loop: Header=BB6_12942 Depth=2
	s_mov_b32 s40, exec_lo
                                        ; implicit-def: $vgpr33
	v_cmpx_ne_u64_e32 0, v[0:1]
	s_xor_b32 s40, exec_lo, s40
; %bb.13126:                            ;   in Loop: Header=BB6_12942 Depth=2
	v_or_b32_e32 v33, 0x7f, v3
                                        ; implicit-def: $vgpr2
; %bb.13127:                            ;   in Loop: Header=BB6_12942 Depth=2
	s_and_not1_saveexec_b32 s40, s40
; %bb.13128:                            ;   in Loop: Header=BB6_12942 Depth=2
	v_cmp_lt_i32_e32 vcc_lo, -1, v2
	v_mov_b32_e32 v0, 0x7c
	s_delay_alu instid0(VALU_DEP_1)
	v_cndmask_b32_e32 v33, 0xfc, v0, vcc_lo
; %bb.13129:                            ;   in Loop: Header=BB6_12942 Depth=2
	s_or_b32 exec_lo, exec_lo, s40
.LBB6_13130:                            ;   in Loop: Header=BB6_12942 Depth=2
	s_delay_alu instid0(SALU_CYCLE_1) | instskip(SKIP_2) | instid1(VALU_DEP_1)
	s_or_b32 exec_lo, exec_lo, s10
	v_dual_lshrrev_b32 v0, 16, v11 :: v_dual_mov_b32 v2, 0
	s_mov_b32 s10, exec_lo
	v_and_b32_e32 v3, 0xff, v0
	s_delay_alu instid0(VALU_DEP_1)
	v_cmpx_ne_u16_e32 0, v3
	s_cbranch_execz .LBB6_13140
; %bb.13131:                            ;   in Loop: Header=BB6_12942 Depth=2
	v_bfrev_b32_e32 v2, 1
	s_mov_b32 s40, exec_lo
	v_cmpx_ne_u16_e32 0x80, v3
	s_cbranch_execz .LBB6_13139
; %bb.13132:                            ;   in Loop: Header=BB6_12942 Depth=2
	v_and_b32_e32 v2, 0x7c0000, v11
	v_bfe_u32 v3, v11, 16, 2
	s_delay_alu instid0(VALU_DEP_2) | instskip(SKIP_1) | instid1(SALU_CYCLE_1)
	v_cmp_ne_u32_e32 vcc_lo, 0x7c0000, v2
                                        ; implicit-def: $vgpr2
	s_and_saveexec_b32 s41, vcc_lo
	s_xor_b32 s41, exec_lo, s41
	s_cbranch_execz .LBB6_13136
; %bb.13133:                            ;   in Loop: Header=BB6_12942 Depth=2
	v_bfe_u32 v2, v11, 18, 5
	s_mov_b32 s42, exec_lo
	s_delay_alu instid0(VALU_DEP_1)
	v_cmpx_eq_u32_e32 0, v2
; %bb.13134:                            ;   in Loop: Header=BB6_12942 Depth=2
	v_clz_i32_u32_e32 v2, v3
	s_delay_alu instid0(VALU_DEP_1) | instskip(NEXT) | instid1(VALU_DEP_1)
	v_min_u32_e32 v2, 32, v2
	v_subrev_nc_u32_e32 v3, 29, v2
	s_delay_alu instid0(VALU_DEP_1) | instskip(NEXT) | instid1(VALU_DEP_1)
	v_lshlrev_b64_e32 v[4:5], v3, v[0:1]
	v_dual_sub_nc_u32 v2, 30, v2 :: v_dual_bitop2_b32 v3, 3, v4 bitop3:0x40
; %bb.13135:                            ;   in Loop: Header=BB6_12942 Depth=2
	s_or_b32 exec_lo, exec_lo, s42
	v_lshlrev_b32_e32 v0, 24, v0
	s_delay_alu instid0(VALU_DEP_1) | instskip(NEXT) | instid1(VALU_DEP_1)
	v_and_b32_e32 v0, 0x80000000, v0
	v_lshl_add_u32 v0, v2, 23, v0
	s_delay_alu instid0(VALU_DEP_1) | instskip(NEXT) | instid1(VALU_DEP_1)
	v_lshl_or_b32 v0, v3, 21, v0
                                        ; implicit-def: $vgpr3
	v_add_nc_u32_e32 v2, 0x38000000, v0
                                        ; implicit-def: $vgpr0
.LBB6_13136:                            ;   in Loop: Header=BB6_12942 Depth=2
	s_and_not1_saveexec_b32 s41, s41
; %bb.13137:                            ;   in Loop: Header=BB6_12942 Depth=2
	v_bfe_i32 v0, v0, 0, 8
	s_delay_alu instid0(VALU_DEP_1) | instskip(SKIP_1) | instid1(VALU_DEP_1)
	v_cmp_lt_i16_e32 vcc_lo, -1, v0
	v_mov_b32_e32 v0, 0x7f800000
	v_cndmask_b32_e32 v0, 0xff800000, v0, vcc_lo
	v_cmp_eq_u32_e32 vcc_lo, 0, v3
	s_delay_alu instid0(VALU_DEP_2)
	v_cndmask_b32_e32 v2, 0x7f800001, v0, vcc_lo
; %bb.13138:                            ;   in Loop: Header=BB6_12942 Depth=2
	s_or_b32 exec_lo, exec_lo, s41
.LBB6_13139:                            ;   in Loop: Header=BB6_12942 Depth=2
	s_delay_alu instid0(SALU_CYCLE_1)
	s_or_b32 exec_lo, exec_lo, s40
.LBB6_13140:                            ;   in Loop: Header=BB6_12942 Depth=2
	s_delay_alu instid0(SALU_CYCLE_1) | instskip(NEXT) | instid1(VALU_DEP_1)
	s_or_b32 exec_lo, exec_lo, s10
	v_dual_mul_f32 v2, s29, v2 :: v_dual_mov_b32 v5, v1
                                        ; implicit-def: $vgpr35
	s_mov_b32 s10, exec_lo
	s_delay_alu instid0(VALU_DEP_1) | instskip(SKIP_2) | instid1(VALU_DEP_3)
	v_and_b32_e32 v4, 0x7f800000, v2
	v_and_b32_e32 v0, 0x7fffff, v2
	v_lshrrev_b32_e32 v3, 24, v2
	v_cmpx_ne_u64_e32 0x7f800000, v[4:5]
	s_xor_b32 s40, exec_lo, s10
	s_cbranch_execz .LBB6_13154
; %bb.13141:                            ;   in Loop: Header=BB6_12942 Depth=2
	v_and_b32_e32 v4, 0x7fffffff, v2
	v_mov_b32_e32 v5, v1
	v_and_b32_e32 v23, 0x80, v3
                                        ; implicit-def: $vgpr35
	s_mov_b32 s10, exec_lo
	s_delay_alu instid0(VALU_DEP_2)
	v_cmpx_gt_u64_e32 0x47600001, v[4:5]
	s_xor_b32 s41, exec_lo, s10
	s_cbranch_execz .LBB6_13151
; %bb.13142:                            ;   in Loop: Header=BB6_12942 Depth=2
	v_mov_b32_e32 v35, 0
	s_mov_b32 s42, exec_lo
	v_cmpx_ne_u32_e32 0, v2
	s_cbranch_execz .LBB6_13150
; %bb.13143:                            ;   in Loop: Header=BB6_12942 Depth=2
	v_bfe_u32 v25, v2, 23, 8
	v_or_b32_e32 v4, 0x800000, v0
	s_mov_b32 s43, exec_lo
	s_delay_alu instid0(VALU_DEP_2) | instskip(SKIP_1) | instid1(VALU_DEP_2)
	v_dual_mov_b32 v5, v1 :: v_dual_sub_nc_u32 v2, 0x71, v25
	v_cmp_gt_u32_e32 vcc_lo, 0x72, v25
	v_cndmask_b32_e32 v2, 0, v2, vcc_lo
	v_cmp_eq_u32_e32 vcc_lo, 0, v25
	v_cndmask_b32_e32 v4, v4, v0, vcc_lo
	s_delay_alu instid0(VALU_DEP_3) | instskip(NEXT) | instid1(VALU_DEP_1)
	v_cndmask_b32_e64 v26, v2, 0x70, vcc_lo
	v_dual_add_nc_u32 v2, 21, v26 :: v_dual_add_nc_u32 v28, 20, v26
	s_delay_alu instid0(VALU_DEP_1) | instskip(NEXT) | instid1(VALU_DEP_2)
	v_lshlrev_b64_e64 v[2:3], v2, -1
	v_lshlrev_b64_e64 v[28:29], v28, 1
	s_delay_alu instid0(VALU_DEP_2) | instskip(NEXT) | instid1(VALU_DEP_3)
	v_bfi_b32 v31, v3, 0, 0
	v_bfi_b32 v30, v2, 0, v4
	v_lshrrev_b64 v[2:3], v26, v[4:5]
	s_delay_alu instid0(VALU_DEP_1) | instskip(NEXT) | instid1(VALU_DEP_3)
	v_mov_b64_e32 v[4:5], v[2:3]
	v_cmpx_eq_u64_e64 v[30:31], v[28:29]
; %bb.13144:                            ;   in Loop: Header=BB6_12942 Depth=2
	v_bfe_u32 v4, v2, 21, 1
	v_mov_b32_e32 v5, v1
	s_delay_alu instid0(VALU_DEP_1) | instskip(NEXT) | instid1(VALU_DEP_1)
	v_add_nc_u64_e32 v[4:5], v[2:3], v[4:5]
	v_add_nc_u64_e32 v[4:5], -1, v[4:5]
; %bb.13145:                            ;   in Loop: Header=BB6_12942 Depth=2
	s_or_b32 exec_lo, exec_lo, s43
	v_add_nc_u32_e32 v0, 0xffffff81, v25
	s_delay_alu instid0(VALU_DEP_2) | instskip(SKIP_2) | instid1(VALU_DEP_3)
	v_and_b32_e32 v4, 0x1fffff, v4
	v_lshrrev_b32_e32 v3, 23, v2
	s_mov_b32 s10, exec_lo
	v_cndmask_b32_e64 v0, v0, 0xffffff82, vcc_lo
	s_delay_alu instid0(VALU_DEP_1) | instskip(SKIP_1) | instid1(VALU_DEP_2)
	v_add3_u32 v5, v26, v0, v3
	v_add_nc_u32_e32 v0, v4, v2
                                        ; implicit-def: $vgpr2_vgpr3
                                        ; implicit-def: $vgpr4
	v_add_nc_u32_e32 v25, 14, v5
	s_delay_alu instid0(VALU_DEP_1)
	v_cmpx_ne_u32_e32 0, v25
	s_xor_b32 s10, exec_lo, s10
; %bb.13146:                            ;   in Loop: Header=BB6_12942 Depth=2
	s_delay_alu instid0(VALU_DEP_3) | instskip(SKIP_1) | instid1(VALU_DEP_1)
	v_cmp_lt_u64_e32 vcc_lo, 0xffffff, v[0:1]
	v_add_nc_u32_e32 v2, 15, v5
	v_cndmask_b32_e32 v4, v25, v2, vcc_lo
	v_cndmask_b32_e64 v2, 0, 1, vcc_lo
	s_delay_alu instid0(VALU_DEP_1)
	v_lshrrev_b64 v[2:3], v2, v[0:1]
; %bb.13147:                            ;   in Loop: Header=BB6_12942 Depth=2
	s_and_not1_saveexec_b32 s10, s10
; %bb.13148:                            ;   in Loop: Header=BB6_12942 Depth=2
	v_mov_b64_e32 v[2:3], v[0:1]
	v_bfe_u32 v4, v0, 23, 1
; %bb.13149:                            ;   in Loop: Header=BB6_12942 Depth=2
	s_or_b32 exec_lo, exec_lo, s10
	s_delay_alu instid0(VALU_DEP_2) | instskip(NEXT) | instid1(VALU_DEP_2)
	v_lshrrev_b64 v[2:3], 21, v[2:3]
	v_cmp_gt_i32_e32 vcc_lo, 32, v4
	v_min_i32_e32 v0, 31, v4
	v_cmp_eq_u32_e64 s10, 0, v4
	s_delay_alu instid0(VALU_DEP_2) | instskip(SKIP_1) | instid1(VALU_DEP_2)
	v_dual_cndmask_b32 v3, 0, v3 :: v_dual_lshlrev_b32 v0, 2, v0
	v_cndmask_b32_e32 v2, 3, v2, vcc_lo
	v_and_b32_e32 v0, 0xfc, v0
	s_delay_alu instid0(VALU_DEP_2) | instskip(NEXT) | instid1(VALU_DEP_2)
	v_cmp_eq_u64_e32 vcc_lo, 0, v[2:3]
	v_and_or_b32 v0, v2, 3, v0
	s_and_b32 s10, s10, vcc_lo
	s_delay_alu instid0(VALU_DEP_1) | instid1(SALU_CYCLE_1)
	v_cndmask_b32_e64 v0, v0, 0, s10
	s_delay_alu instid0(VALU_DEP_1)
	v_or_b32_e32 v35, v0, v23
.LBB6_13150:                            ;   in Loop: Header=BB6_12942 Depth=2
	s_or_b32 exec_lo, exec_lo, s42
                                        ; implicit-def: $vgpr23
.LBB6_13151:                            ;   in Loop: Header=BB6_12942 Depth=2
	s_and_not1_saveexec_b32 s10, s41
; %bb.13152:                            ;   in Loop: Header=BB6_12942 Depth=2
	v_or_b32_e32 v35, 0x7b, v23
; %bb.13153:                            ;   in Loop: Header=BB6_12942 Depth=2
	s_or_b32 exec_lo, exec_lo, s10
                                        ; implicit-def: $vgpr2
                                        ; implicit-def: $vgpr3
.LBB6_13154:                            ;   in Loop: Header=BB6_12942 Depth=2
	s_and_not1_saveexec_b32 s10, s40
	s_cbranch_execz .LBB6_13160
; %bb.13155:                            ;   in Loop: Header=BB6_12942 Depth=2
	s_mov_b32 s40, exec_lo
                                        ; implicit-def: $vgpr35
	v_cmpx_ne_u64_e32 0, v[0:1]
	s_xor_b32 s40, exec_lo, s40
; %bb.13156:                            ;   in Loop: Header=BB6_12942 Depth=2
	v_or_b32_e32 v35, 0x7f, v3
                                        ; implicit-def: $vgpr2
; %bb.13157:                            ;   in Loop: Header=BB6_12942 Depth=2
	s_and_not1_saveexec_b32 s40, s40
; %bb.13158:                            ;   in Loop: Header=BB6_12942 Depth=2
	v_cmp_lt_i32_e32 vcc_lo, -1, v2
	v_mov_b32_e32 v0, 0x7c
	s_delay_alu instid0(VALU_DEP_1)
	v_cndmask_b32_e32 v35, 0xfc, v0, vcc_lo
; %bb.13159:                            ;   in Loop: Header=BB6_12942 Depth=2
	s_or_b32 exec_lo, exec_lo, s40
.LBB6_13160:                            ;   in Loop: Header=BB6_12942 Depth=2
	s_delay_alu instid0(SALU_CYCLE_1)
	s_or_b32 exec_lo, exec_lo, s10
	v_mov_b32_e32 v2, 0
	s_mov_b32 s10, exec_lo
	v_cmpx_lt_u64_e64 s[12:13], v[10:11]
	s_cbranch_execz .LBB6_13170
; %bb.13161:                            ;   in Loop: Header=BB6_12942 Depth=2
	v_lshrrev_b32_e32 v0, 24, v11
	v_bfrev_b32_e32 v2, 1
	s_mov_b32 s40, exec_lo
	s_delay_alu instid0(VALU_DEP_2)
	v_cmpx_ne_u32_e32 0x80, v0
	s_cbranch_execz .LBB6_13169
; %bb.13162:                            ;   in Loop: Header=BB6_12942 Depth=2
	v_and_b32_e32 v2, 0x7c000000, v11
	v_bfe_u32 v3, v11, 24, 2
	s_delay_alu instid0(VALU_DEP_2) | instskip(SKIP_1) | instid1(SALU_CYCLE_1)
	v_cmp_ne_u32_e32 vcc_lo, 0x7c000000, v2
                                        ; implicit-def: $vgpr2
	s_and_saveexec_b32 s41, vcc_lo
	s_xor_b32 s41, exec_lo, s41
	s_cbranch_execz .LBB6_13166
; %bb.13163:                            ;   in Loop: Header=BB6_12942 Depth=2
	v_bfe_u32 v2, v11, 26, 5
	s_mov_b32 s42, exec_lo
	s_delay_alu instid0(VALU_DEP_1)
	v_cmpx_eq_u32_e32 0, v2
; %bb.13164:                            ;   in Loop: Header=BB6_12942 Depth=2
	v_clz_i32_u32_e32 v2, v3
	s_delay_alu instid0(VALU_DEP_1) | instskip(NEXT) | instid1(VALU_DEP_1)
	v_min_u32_e32 v2, 32, v2
	v_subrev_nc_u32_e32 v3, 29, v2
	s_delay_alu instid0(VALU_DEP_1) | instskip(NEXT) | instid1(VALU_DEP_1)
	v_lshlrev_b64_e32 v[4:5], v3, v[0:1]
	v_dual_sub_nc_u32 v2, 30, v2 :: v_dual_bitop2_b32 v3, 3, v4 bitop3:0x40
; %bb.13165:                            ;   in Loop: Header=BB6_12942 Depth=2
	s_or_b32 exec_lo, exec_lo, s42
	v_and_b32_e32 v0, 0x80000000, v11
	s_delay_alu instid0(VALU_DEP_1) | instskip(NEXT) | instid1(VALU_DEP_1)
	v_lshl_add_u32 v0, v2, 23, v0
	v_lshl_or_b32 v0, v3, 21, v0
                                        ; implicit-def: $vgpr3
	s_delay_alu instid0(VALU_DEP_1)
	v_add_nc_u32_e32 v2, 0x38000000, v0
.LBB6_13166:                            ;   in Loop: Header=BB6_12942 Depth=2
	s_and_not1_saveexec_b32 s41, s41
; %bb.13167:                            ;   in Loop: Header=BB6_12942 Depth=2
	v_cmp_lt_i64_e32 vcc_lo, -1, v[10:11]
	v_mov_b32_e32 v0, 0x7f800000
	s_delay_alu instid0(VALU_DEP_1) | instskip(SKIP_1) | instid1(VALU_DEP_2)
	v_cndmask_b32_e32 v0, 0xff800000, v0, vcc_lo
	v_cmp_eq_u32_e32 vcc_lo, 0, v3
	v_cndmask_b32_e32 v2, 0x7f800001, v0, vcc_lo
; %bb.13168:                            ;   in Loop: Header=BB6_12942 Depth=2
	s_or_b32 exec_lo, exec_lo, s41
.LBB6_13169:                            ;   in Loop: Header=BB6_12942 Depth=2
	s_delay_alu instid0(SALU_CYCLE_1)
	s_or_b32 exec_lo, exec_lo, s40
.LBB6_13170:                            ;   in Loop: Header=BB6_12942 Depth=2
	s_delay_alu instid0(SALU_CYCLE_1) | instskip(NEXT) | instid1(VALU_DEP_1)
	s_or_b32 exec_lo, exec_lo, s10
	v_dual_mul_f32 v2, s29, v2 :: v_dual_mov_b32 v5, v1
                                        ; implicit-def: $vgpr36
	s_mov_b32 s10, exec_lo
	s_delay_alu instid0(VALU_DEP_1) | instskip(SKIP_2) | instid1(VALU_DEP_3)
	v_and_b32_e32 v4, 0x7f800000, v2
	v_and_b32_e32 v0, 0x7fffff, v2
	v_lshrrev_b32_e32 v3, 24, v2
	v_cmpx_ne_u64_e32 0x7f800000, v[4:5]
	s_xor_b32 s40, exec_lo, s10
	s_cbranch_execz .LBB6_13184
; %bb.13171:                            ;   in Loop: Header=BB6_12942 Depth=2
	v_and_b32_e32 v4, 0x7fffffff, v2
	v_mov_b32_e32 v5, v1
	v_and_b32_e32 v10, 0x80, v3
                                        ; implicit-def: $vgpr36
	s_mov_b32 s10, exec_lo
	s_delay_alu instid0(VALU_DEP_2)
	v_cmpx_gt_u64_e32 0x47600001, v[4:5]
	s_xor_b32 s41, exec_lo, s10
	s_cbranch_execz .LBB6_13181
; %bb.13172:                            ;   in Loop: Header=BB6_12942 Depth=2
	v_mov_b32_e32 v36, 0
	s_mov_b32 s42, exec_lo
	v_cmpx_ne_u32_e32 0, v2
	s_cbranch_execz .LBB6_13180
; %bb.13173:                            ;   in Loop: Header=BB6_12942 Depth=2
	v_bfe_u32 v11, v2, 23, 8
	v_or_b32_e32 v4, 0x800000, v0
	s_mov_b32 s43, exec_lo
	s_delay_alu instid0(VALU_DEP_2) | instskip(SKIP_1) | instid1(VALU_DEP_2)
	v_dual_mov_b32 v5, v1 :: v_dual_sub_nc_u32 v2, 0x71, v11
	v_cmp_gt_u32_e32 vcc_lo, 0x72, v11
	v_cndmask_b32_e32 v2, 0, v2, vcc_lo
	v_cmp_eq_u32_e32 vcc_lo, 0, v11
	s_delay_alu instid0(VALU_DEP_2) | instskip(NEXT) | instid1(VALU_DEP_1)
	v_cndmask_b32_e64 v23, v2, 0x70, vcc_lo
	v_dual_cndmask_b32 v4, v4, v0, vcc_lo :: v_dual_add_nc_u32 v2, 21, v23
	v_add_nc_u32_e32 v25, 20, v23
	s_delay_alu instid0(VALU_DEP_2) | instskip(NEXT) | instid1(VALU_DEP_2)
	v_lshlrev_b64_e64 v[2:3], v2, -1
	v_lshlrev_b64_e64 v[28:29], v25, 1
	s_delay_alu instid0(VALU_DEP_2) | instskip(NEXT) | instid1(VALU_DEP_3)
	v_bfi_b32 v31, v3, 0, 0
	v_bfi_b32 v30, v2, 0, v4
	v_lshrrev_b64 v[2:3], v23, v[4:5]
	s_delay_alu instid0(VALU_DEP_1) | instskip(NEXT) | instid1(VALU_DEP_3)
	v_mov_b64_e32 v[4:5], v[2:3]
	v_cmpx_eq_u64_e64 v[30:31], v[28:29]
; %bb.13174:                            ;   in Loop: Header=BB6_12942 Depth=2
	v_bfe_u32 v4, v2, 21, 1
	v_mov_b32_e32 v5, v1
	s_delay_alu instid0(VALU_DEP_1) | instskip(NEXT) | instid1(VALU_DEP_1)
	v_add_nc_u64_e32 v[4:5], v[2:3], v[4:5]
	v_add_nc_u64_e32 v[4:5], -1, v[4:5]
; %bb.13175:                            ;   in Loop: Header=BB6_12942 Depth=2
	s_or_b32 exec_lo, exec_lo, s43
	v_add_nc_u32_e32 v0, 0xffffff81, v11
	s_delay_alu instid0(VALU_DEP_2) | instskip(SKIP_2) | instid1(VALU_DEP_3)
	v_and_b32_e32 v4, 0x1fffff, v4
	v_lshrrev_b32_e32 v3, 23, v2
	s_mov_b32 s10, exec_lo
	v_cndmask_b32_e64 v0, v0, 0xffffff82, vcc_lo
	s_delay_alu instid0(VALU_DEP_1) | instskip(SKIP_1) | instid1(VALU_DEP_2)
	v_add3_u32 v5, v23, v0, v3
	v_add_nc_u32_e32 v0, v4, v2
                                        ; implicit-def: $vgpr2_vgpr3
                                        ; implicit-def: $vgpr4
	v_add_nc_u32_e32 v11, 14, v5
	s_delay_alu instid0(VALU_DEP_1)
	v_cmpx_ne_u32_e32 0, v11
	s_xor_b32 s10, exec_lo, s10
; %bb.13176:                            ;   in Loop: Header=BB6_12942 Depth=2
	s_delay_alu instid0(VALU_DEP_3) | instskip(SKIP_1) | instid1(VALU_DEP_1)
	v_cmp_lt_u64_e32 vcc_lo, 0xffffff, v[0:1]
	v_add_nc_u32_e32 v2, 15, v5
	v_cndmask_b32_e32 v4, v11, v2, vcc_lo
	v_cndmask_b32_e64 v2, 0, 1, vcc_lo
	s_delay_alu instid0(VALU_DEP_1)
	v_lshrrev_b64 v[2:3], v2, v[0:1]
; %bb.13177:                            ;   in Loop: Header=BB6_12942 Depth=2
	s_and_not1_saveexec_b32 s10, s10
; %bb.13178:                            ;   in Loop: Header=BB6_12942 Depth=2
	v_mov_b64_e32 v[2:3], v[0:1]
	v_bfe_u32 v4, v0, 23, 1
; %bb.13179:                            ;   in Loop: Header=BB6_12942 Depth=2
	s_or_b32 exec_lo, exec_lo, s10
	s_delay_alu instid0(VALU_DEP_2) | instskip(NEXT) | instid1(VALU_DEP_2)
	v_lshrrev_b64 v[2:3], 21, v[2:3]
	v_cmp_gt_i32_e32 vcc_lo, 32, v4
	v_min_i32_e32 v0, 31, v4
	v_cmp_eq_u32_e64 s10, 0, v4
	s_delay_alu instid0(VALU_DEP_2) | instskip(SKIP_1) | instid1(VALU_DEP_2)
	v_dual_cndmask_b32 v3, 0, v3 :: v_dual_lshlrev_b32 v0, 2, v0
	v_cndmask_b32_e32 v2, 3, v2, vcc_lo
	v_and_b32_e32 v0, 0xfc, v0
	s_delay_alu instid0(VALU_DEP_2) | instskip(NEXT) | instid1(VALU_DEP_2)
	v_cmp_eq_u64_e32 vcc_lo, 0, v[2:3]
	v_and_or_b32 v0, v2, 3, v0
	s_and_b32 s10, s10, vcc_lo
	s_delay_alu instid0(VALU_DEP_1) | instid1(SALU_CYCLE_1)
	v_cndmask_b32_e64 v0, v0, 0, s10
	s_delay_alu instid0(VALU_DEP_1)
	v_or_b32_e32 v36, v0, v10
.LBB6_13180:                            ;   in Loop: Header=BB6_12942 Depth=2
	s_or_b32 exec_lo, exec_lo, s42
                                        ; implicit-def: $vgpr10
.LBB6_13181:                            ;   in Loop: Header=BB6_12942 Depth=2
	s_and_not1_saveexec_b32 s10, s41
; %bb.13182:                            ;   in Loop: Header=BB6_12942 Depth=2
	v_or_b32_e32 v36, 0x7b, v10
; %bb.13183:                            ;   in Loop: Header=BB6_12942 Depth=2
	s_or_b32 exec_lo, exec_lo, s10
                                        ; implicit-def: $vgpr2
                                        ; implicit-def: $vgpr3
.LBB6_13184:                            ;   in Loop: Header=BB6_12942 Depth=2
	s_and_not1_saveexec_b32 s10, s40
	s_cbranch_execz .LBB6_13190
; %bb.13185:                            ;   in Loop: Header=BB6_12942 Depth=2
	s_mov_b32 s40, exec_lo
                                        ; implicit-def: $vgpr36
	v_cmpx_ne_u64_e32 0, v[0:1]
	s_xor_b32 s40, exec_lo, s40
; %bb.13186:                            ;   in Loop: Header=BB6_12942 Depth=2
	v_or_b32_e32 v36, 0x7f, v3
                                        ; implicit-def: $vgpr2
; %bb.13187:                            ;   in Loop: Header=BB6_12942 Depth=2
	s_and_not1_saveexec_b32 s40, s40
; %bb.13188:                            ;   in Loop: Header=BB6_12942 Depth=2
	v_cmp_lt_i32_e32 vcc_lo, -1, v2
	v_mov_b32_e32 v0, 0x7c
	s_delay_alu instid0(VALU_DEP_1)
	v_cndmask_b32_e32 v36, 0xfc, v0, vcc_lo
; %bb.13189:                            ;   in Loop: Header=BB6_12942 Depth=2
	s_or_b32 exec_lo, exec_lo, s40
.LBB6_13190:                            ;   in Loop: Header=BB6_12942 Depth=2
	s_delay_alu instid0(SALU_CYCLE_1) | instskip(SKIP_1) | instid1(VALU_DEP_1)
	s_or_b32 exec_lo, exec_lo, s10
	v_and_b32_e32 v0, 0xff, v12
	v_cmp_ne_u16_e32 vcc_lo, 0, v0
	v_mov_b32_e32 v0, 0
	s_and_saveexec_b32 s10, vcc_lo
	s_cbranch_execz .LBB6_13200
; %bb.13191:                            ;   in Loop: Header=BB6_12942 Depth=2
	v_bfe_i32 v3, v12, 0, 8
	v_bfrev_b32_e32 v0, 1
	s_mov_b32 s40, exec_lo
	s_delay_alu instid0(VALU_DEP_2)
	v_cmpx_ne_u16_e32 0xff80, v3
	s_cbranch_execz .LBB6_13199
; %bb.13192:                            ;   in Loop: Header=BB6_12942 Depth=2
	v_and_b32_e32 v0, 0x7c, v12
	v_and_b32_e32 v2, 3, v12
	s_delay_alu instid0(VALU_DEP_2) | instskip(SKIP_1) | instid1(SALU_CYCLE_1)
	v_cmp_ne_u32_e32 vcc_lo, 0x7c, v0
                                        ; implicit-def: $vgpr0
	s_and_saveexec_b32 s41, vcc_lo
	s_xor_b32 s41, exec_lo, s41
	s_cbranch_execz .LBB6_13196
; %bb.13193:                            ;   in Loop: Header=BB6_12942 Depth=2
	v_bfe_u32 v0, v12, 2, 5
	s_mov_b32 s42, exec_lo
	s_delay_alu instid0(VALU_DEP_1)
	v_cmpx_eq_u32_e32 0, v0
; %bb.13194:                            ;   in Loop: Header=BB6_12942 Depth=2
	v_clz_i32_u32_e32 v0, v2
	s_delay_alu instid0(VALU_DEP_1) | instskip(NEXT) | instid1(VALU_DEP_1)
	v_min_u32_e32 v0, 32, v0
	v_subrev_nc_u32_e32 v2, 29, v0
	s_delay_alu instid0(VALU_DEP_1) | instskip(NEXT) | instid1(VALU_DEP_1)
	v_lshlrev_b64_e32 v[2:3], v2, v[12:13]
	v_dual_sub_nc_u32 v0, 30, v0 :: v_dual_bitop2_b32 v2, 3, v2 bitop3:0x40
; %bb.13195:                            ;   in Loop: Header=BB6_12942 Depth=2
	s_or_b32 exec_lo, exec_lo, s42
	v_lshlrev_b32_e32 v3, 24, v12
	s_delay_alu instid0(VALU_DEP_1) | instskip(NEXT) | instid1(VALU_DEP_1)
	v_and_b32_e32 v3, 0x80000000, v3
	v_lshl_add_u32 v0, v0, 23, v3
                                        ; implicit-def: $vgpr3
	s_delay_alu instid0(VALU_DEP_1) | instskip(NEXT) | instid1(VALU_DEP_1)
	v_lshl_or_b32 v0, v2, 21, v0
                                        ; implicit-def: $vgpr2
	v_add_nc_u32_e32 v0, 0x38000000, v0
.LBB6_13196:                            ;   in Loop: Header=BB6_12942 Depth=2
	s_and_not1_saveexec_b32 s41, s41
; %bb.13197:                            ;   in Loop: Header=BB6_12942 Depth=2
	v_cmp_lt_i16_e32 vcc_lo, -1, v3
	v_mov_b32_e32 v0, 0x7f800000
	s_delay_alu instid0(VALU_DEP_1) | instskip(SKIP_1) | instid1(VALU_DEP_2)
	v_cndmask_b32_e32 v0, 0xff800000, v0, vcc_lo
	v_cmp_eq_u32_e32 vcc_lo, 0, v2
	v_cndmask_b32_e32 v0, 0x7f800001, v0, vcc_lo
; %bb.13198:                            ;   in Loop: Header=BB6_12942 Depth=2
	s_or_b32 exec_lo, exec_lo, s41
.LBB6_13199:                            ;   in Loop: Header=BB6_12942 Depth=2
	s_delay_alu instid0(SALU_CYCLE_1)
	s_or_b32 exec_lo, exec_lo, s40
.LBB6_13200:                            ;   in Loop: Header=BB6_12942 Depth=2
	s_delay_alu instid0(SALU_CYCLE_1) | instskip(NEXT) | instid1(VALU_DEP_1)
	s_or_b32 exec_lo, exec_lo, s10
	v_dual_mul_f32 v2, s29, v0 :: v_dual_mov_b32 v5, v1
                                        ; implicit-def: $vgpr25
	s_mov_b32 s10, exec_lo
	s_delay_alu instid0(VALU_DEP_1) | instskip(SKIP_2) | instid1(VALU_DEP_3)
	v_and_b32_e32 v4, 0x7f800000, v2
	v_and_b32_e32 v0, 0x7fffff, v2
	v_lshrrev_b32_e32 v3, 24, v2
	v_cmpx_ne_u64_e32 0x7f800000, v[4:5]
	s_xor_b32 s40, exec_lo, s10
	s_cbranch_execz .LBB6_13214
; %bb.13201:                            ;   in Loop: Header=BB6_12942 Depth=2
	v_and_b32_e32 v4, 0x7fffffff, v2
	v_mov_b32_e32 v5, v1
	v_and_b32_e32 v10, 0x80, v3
                                        ; implicit-def: $vgpr25
	s_mov_b32 s10, exec_lo
	s_delay_alu instid0(VALU_DEP_2)
	v_cmpx_gt_u64_e32 0x47600001, v[4:5]
	s_xor_b32 s41, exec_lo, s10
	s_cbranch_execz .LBB6_13211
; %bb.13202:                            ;   in Loop: Header=BB6_12942 Depth=2
	v_mov_b32_e32 v25, 0
	s_mov_b32 s42, exec_lo
	v_cmpx_ne_u32_e32 0, v2
	s_cbranch_execz .LBB6_13210
; %bb.13203:                            ;   in Loop: Header=BB6_12942 Depth=2
	v_bfe_u32 v11, v2, 23, 8
	v_or_b32_e32 v4, 0x800000, v0
	s_mov_b32 s43, exec_lo
	s_delay_alu instid0(VALU_DEP_2) | instskip(SKIP_1) | instid1(VALU_DEP_2)
	v_dual_mov_b32 v5, v1 :: v_dual_sub_nc_u32 v2, 0x71, v11
	v_cmp_gt_u32_e32 vcc_lo, 0x72, v11
	v_cndmask_b32_e32 v2, 0, v2, vcc_lo
	v_cmp_eq_u32_e32 vcc_lo, 0, v11
	s_delay_alu instid0(VALU_DEP_2) | instskip(NEXT) | instid1(VALU_DEP_1)
	v_cndmask_b32_e64 v23, v2, 0x70, vcc_lo
	v_dual_cndmask_b32 v4, v4, v0, vcc_lo :: v_dual_add_nc_u32 v2, 21, v23
	v_add_nc_u32_e32 v25, 20, v23
	s_delay_alu instid0(VALU_DEP_2) | instskip(NEXT) | instid1(VALU_DEP_2)
	v_lshlrev_b64_e64 v[2:3], v2, -1
	v_lshlrev_b64_e64 v[28:29], v25, 1
	s_delay_alu instid0(VALU_DEP_2) | instskip(NEXT) | instid1(VALU_DEP_3)
	v_bfi_b32 v31, v3, 0, 0
	v_bfi_b32 v30, v2, 0, v4
	v_lshrrev_b64 v[2:3], v23, v[4:5]
	s_delay_alu instid0(VALU_DEP_1) | instskip(NEXT) | instid1(VALU_DEP_3)
	v_mov_b64_e32 v[4:5], v[2:3]
	v_cmpx_eq_u64_e64 v[30:31], v[28:29]
; %bb.13204:                            ;   in Loop: Header=BB6_12942 Depth=2
	v_bfe_u32 v4, v2, 21, 1
	v_mov_b32_e32 v5, v1
	s_delay_alu instid0(VALU_DEP_1) | instskip(NEXT) | instid1(VALU_DEP_1)
	v_add_nc_u64_e32 v[4:5], v[2:3], v[4:5]
	v_add_nc_u64_e32 v[4:5], -1, v[4:5]
; %bb.13205:                            ;   in Loop: Header=BB6_12942 Depth=2
	s_or_b32 exec_lo, exec_lo, s43
	v_add_nc_u32_e32 v0, 0xffffff81, v11
	s_delay_alu instid0(VALU_DEP_2) | instskip(SKIP_2) | instid1(VALU_DEP_3)
	v_and_b32_e32 v4, 0x1fffff, v4
	v_lshrrev_b32_e32 v3, 23, v2
	s_mov_b32 s10, exec_lo
	v_cndmask_b32_e64 v0, v0, 0xffffff82, vcc_lo
	s_delay_alu instid0(VALU_DEP_1) | instskip(SKIP_1) | instid1(VALU_DEP_2)
	v_add3_u32 v5, v23, v0, v3
	v_add_nc_u32_e32 v0, v4, v2
                                        ; implicit-def: $vgpr2_vgpr3
                                        ; implicit-def: $vgpr4
	v_add_nc_u32_e32 v11, 14, v5
	s_delay_alu instid0(VALU_DEP_1)
	v_cmpx_ne_u32_e32 0, v11
	s_xor_b32 s10, exec_lo, s10
; %bb.13206:                            ;   in Loop: Header=BB6_12942 Depth=2
	s_delay_alu instid0(VALU_DEP_3) | instskip(SKIP_1) | instid1(VALU_DEP_1)
	v_cmp_lt_u64_e32 vcc_lo, 0xffffff, v[0:1]
	v_add_nc_u32_e32 v2, 15, v5
	v_cndmask_b32_e32 v4, v11, v2, vcc_lo
	v_cndmask_b32_e64 v2, 0, 1, vcc_lo
	s_delay_alu instid0(VALU_DEP_1)
	v_lshrrev_b64 v[2:3], v2, v[0:1]
; %bb.13207:                            ;   in Loop: Header=BB6_12942 Depth=2
	s_and_not1_saveexec_b32 s10, s10
; %bb.13208:                            ;   in Loop: Header=BB6_12942 Depth=2
	v_mov_b64_e32 v[2:3], v[0:1]
	v_bfe_u32 v4, v0, 23, 1
; %bb.13209:                            ;   in Loop: Header=BB6_12942 Depth=2
	s_or_b32 exec_lo, exec_lo, s10
	s_delay_alu instid0(VALU_DEP_2) | instskip(NEXT) | instid1(VALU_DEP_2)
	v_lshrrev_b64 v[2:3], 21, v[2:3]
	v_cmp_gt_i32_e32 vcc_lo, 32, v4
	v_min_i32_e32 v0, 31, v4
	v_cmp_eq_u32_e64 s10, 0, v4
	s_delay_alu instid0(VALU_DEP_2) | instskip(SKIP_1) | instid1(VALU_DEP_2)
	v_dual_cndmask_b32 v3, 0, v3 :: v_dual_lshlrev_b32 v0, 2, v0
	v_cndmask_b32_e32 v2, 3, v2, vcc_lo
	v_and_b32_e32 v0, 0xfc, v0
	s_delay_alu instid0(VALU_DEP_2) | instskip(NEXT) | instid1(VALU_DEP_2)
	v_cmp_eq_u64_e32 vcc_lo, 0, v[2:3]
	v_and_or_b32 v0, v2, 3, v0
	s_and_b32 s10, s10, vcc_lo
	s_delay_alu instid0(VALU_DEP_1) | instid1(SALU_CYCLE_1)
	v_cndmask_b32_e64 v0, v0, 0, s10
	s_delay_alu instid0(VALU_DEP_1)
	v_or_b32_e32 v25, v0, v10
.LBB6_13210:                            ;   in Loop: Header=BB6_12942 Depth=2
	s_or_b32 exec_lo, exec_lo, s42
                                        ; implicit-def: $vgpr10
.LBB6_13211:                            ;   in Loop: Header=BB6_12942 Depth=2
	s_and_not1_saveexec_b32 s10, s41
; %bb.13212:                            ;   in Loop: Header=BB6_12942 Depth=2
	v_or_b32_e32 v25, 0x7b, v10
; %bb.13213:                            ;   in Loop: Header=BB6_12942 Depth=2
	s_or_b32 exec_lo, exec_lo, s10
                                        ; implicit-def: $vgpr2
                                        ; implicit-def: $vgpr3
.LBB6_13214:                            ;   in Loop: Header=BB6_12942 Depth=2
	s_and_not1_saveexec_b32 s10, s40
	s_cbranch_execz .LBB6_13220
; %bb.13215:                            ;   in Loop: Header=BB6_12942 Depth=2
	s_mov_b32 s40, exec_lo
                                        ; implicit-def: $vgpr25
	v_cmpx_ne_u64_e32 0, v[0:1]
	s_xor_b32 s40, exec_lo, s40
; %bb.13216:                            ;   in Loop: Header=BB6_12942 Depth=2
	v_or_b32_e32 v25, 0x7f, v3
                                        ; implicit-def: $vgpr2
; %bb.13217:                            ;   in Loop: Header=BB6_12942 Depth=2
	s_and_not1_saveexec_b32 s40, s40
; %bb.13218:                            ;   in Loop: Header=BB6_12942 Depth=2
	v_cmp_lt_i32_e32 vcc_lo, -1, v2
	v_mov_b32_e32 v0, 0x7c
	s_delay_alu instid0(VALU_DEP_1)
	v_cndmask_b32_e32 v25, 0xfc, v0, vcc_lo
; %bb.13219:                            ;   in Loop: Header=BB6_12942 Depth=2
	s_or_b32 exec_lo, exec_lo, s40
.LBB6_13220:                            ;   in Loop: Header=BB6_12942 Depth=2
	s_delay_alu instid0(SALU_CYCLE_1) | instskip(SKIP_3) | instid1(VALU_DEP_2)
	s_or_b32 exec_lo, exec_lo, s10
	v_lshrrev_b16 v2, 8, v12
	v_mov_b32_e32 v3, 0
	s_mov_b32 s10, exec_lo
	v_cmpx_ne_u16_e32 0, v2
	s_cbranch_execz .LBB6_13230
; %bb.13221:                            ;   in Loop: Header=BB6_12942 Depth=2
	v_bfrev_b32_e32 v3, 1
	s_mov_b32 s40, exec_lo
	v_cmpx_ne_u16_e32 0x80, v2
	s_cbranch_execz .LBB6_13229
; %bb.13222:                            ;   in Loop: Header=BB6_12942 Depth=2
	v_and_b32_e32 v4, 0xffff, v2
	s_delay_alu instid0(VALU_DEP_1) | instskip(SKIP_1) | instid1(VALU_DEP_2)
	v_and_b32_e32 v3, 0x7c, v4
	v_and_b32_e32 v0, 3, v4
	v_cmp_ne_u32_e32 vcc_lo, 0x7c, v3
                                        ; implicit-def: $vgpr3
	s_and_saveexec_b32 s41, vcc_lo
	s_delay_alu instid0(SALU_CYCLE_1)
	s_xor_b32 s41, exec_lo, s41
	s_cbranch_execz .LBB6_13226
; %bb.13223:                            ;   in Loop: Header=BB6_12942 Depth=2
	v_bfe_u32 v3, v4, 2, 5
	s_mov_b32 s42, exec_lo
	s_delay_alu instid0(VALU_DEP_1)
	v_cmpx_eq_u32_e32 0, v3
; %bb.13224:                            ;   in Loop: Header=BB6_12942 Depth=2
	v_clz_i32_u32_e32 v0, v0
	v_mov_b32_e32 v3, v1
	s_delay_alu instid0(VALU_DEP_2) | instskip(NEXT) | instid1(VALU_DEP_1)
	v_min_u32_e32 v0, 32, v0
	v_subrev_nc_u32_e32 v4, 29, v0
	s_delay_alu instid0(VALU_DEP_1) | instskip(NEXT) | instid1(VALU_DEP_1)
	v_lshlrev_b64_e32 v[2:3], v4, v[2:3]
	v_dual_sub_nc_u32 v3, 30, v0 :: v_dual_bitop2_b32 v0, 3, v2 bitop3:0x40
; %bb.13225:                            ;   in Loop: Header=BB6_12942 Depth=2
	s_or_b32 exec_lo, exec_lo, s42
	v_lshlrev_b32_e32 v2, 16, v12
	s_delay_alu instid0(VALU_DEP_1) | instskip(NEXT) | instid1(VALU_DEP_1)
	v_and_b32_e32 v2, 0x80000000, v2
	v_lshl_add_u32 v2, v3, 23, v2
	s_delay_alu instid0(VALU_DEP_1) | instskip(NEXT) | instid1(VALU_DEP_1)
	v_lshl_or_b32 v0, v0, 21, v2
	v_add_nc_u32_e32 v3, 0x38000000, v0
                                        ; implicit-def: $vgpr0
.LBB6_13226:                            ;   in Loop: Header=BB6_12942 Depth=2
	s_and_not1_saveexec_b32 s41, s41
; %bb.13227:                            ;   in Loop: Header=BB6_12942 Depth=2
	v_cmp_lt_i16_e32 vcc_lo, -1, v12
	v_mov_b32_e32 v2, 0x7f800000
	s_delay_alu instid0(VALU_DEP_1) | instskip(SKIP_1) | instid1(VALU_DEP_2)
	v_cndmask_b32_e32 v2, 0xff800000, v2, vcc_lo
	v_cmp_eq_u32_e32 vcc_lo, 0, v0
	v_cndmask_b32_e32 v3, 0x7f800001, v2, vcc_lo
; %bb.13228:                            ;   in Loop: Header=BB6_12942 Depth=2
	s_or_b32 exec_lo, exec_lo, s41
.LBB6_13229:                            ;   in Loop: Header=BB6_12942 Depth=2
	s_delay_alu instid0(SALU_CYCLE_1)
	s_or_b32 exec_lo, exec_lo, s40
.LBB6_13230:                            ;   in Loop: Header=BB6_12942 Depth=2
	s_delay_alu instid0(SALU_CYCLE_1) | instskip(NEXT) | instid1(VALU_DEP_1)
	s_or_b32 exec_lo, exec_lo, s10
	v_dual_mul_f32 v2, s29, v3 :: v_dual_mov_b32 v5, v1
                                        ; implicit-def: $vgpr29
	s_mov_b32 s10, exec_lo
	s_delay_alu instid0(VALU_DEP_1) | instskip(SKIP_2) | instid1(VALU_DEP_3)
	v_and_b32_e32 v4, 0x7f800000, v2
	v_and_b32_e32 v0, 0x7fffff, v2
	v_lshrrev_b32_e32 v3, 24, v2
	v_cmpx_ne_u64_e32 0x7f800000, v[4:5]
	s_xor_b32 s40, exec_lo, s10
	s_cbranch_execz .LBB6_13244
; %bb.13231:                            ;   in Loop: Header=BB6_12942 Depth=2
	v_and_b32_e32 v4, 0x7fffffff, v2
	v_mov_b32_e32 v5, v1
	v_and_b32_e32 v10, 0x80, v3
                                        ; implicit-def: $vgpr29
	s_mov_b32 s10, exec_lo
	s_delay_alu instid0(VALU_DEP_2)
	v_cmpx_gt_u64_e32 0x47600001, v[4:5]
	s_xor_b32 s41, exec_lo, s10
	s_cbranch_execz .LBB6_13241
; %bb.13232:                            ;   in Loop: Header=BB6_12942 Depth=2
	v_mov_b32_e32 v29, 0
	s_mov_b32 s42, exec_lo
	v_cmpx_ne_u32_e32 0, v2
	s_cbranch_execz .LBB6_13240
; %bb.13233:                            ;   in Loop: Header=BB6_12942 Depth=2
	v_bfe_u32 v11, v2, 23, 8
	v_or_b32_e32 v4, 0x800000, v0
	s_mov_b32 s43, exec_lo
	s_delay_alu instid0(VALU_DEP_2) | instskip(SKIP_1) | instid1(VALU_DEP_2)
	v_dual_mov_b32 v5, v1 :: v_dual_sub_nc_u32 v2, 0x71, v11
	v_cmp_gt_u32_e32 vcc_lo, 0x72, v11
	v_cndmask_b32_e32 v2, 0, v2, vcc_lo
	v_cmp_eq_u32_e32 vcc_lo, 0, v11
	s_delay_alu instid0(VALU_DEP_2) | instskip(NEXT) | instid1(VALU_DEP_1)
	v_cndmask_b32_e64 v23, v2, 0x70, vcc_lo
	v_dual_cndmask_b32 v4, v4, v0, vcc_lo :: v_dual_add_nc_u32 v2, 21, v23
	v_add_nc_u32_e32 v26, 20, v23
	s_delay_alu instid0(VALU_DEP_2) | instskip(NEXT) | instid1(VALU_DEP_2)
	v_lshlrev_b64_e64 v[2:3], v2, -1
	v_lshlrev_b64_e64 v[28:29], v26, 1
	s_delay_alu instid0(VALU_DEP_2) | instskip(NEXT) | instid1(VALU_DEP_3)
	v_bfi_b32 v31, v3, 0, 0
	v_bfi_b32 v30, v2, 0, v4
	v_lshrrev_b64 v[2:3], v23, v[4:5]
	s_delay_alu instid0(VALU_DEP_1) | instskip(NEXT) | instid1(VALU_DEP_3)
	v_mov_b64_e32 v[4:5], v[2:3]
	v_cmpx_eq_u64_e64 v[30:31], v[28:29]
; %bb.13234:                            ;   in Loop: Header=BB6_12942 Depth=2
	v_bfe_u32 v4, v2, 21, 1
	v_mov_b32_e32 v5, v1
	s_delay_alu instid0(VALU_DEP_1) | instskip(NEXT) | instid1(VALU_DEP_1)
	v_add_nc_u64_e32 v[4:5], v[2:3], v[4:5]
	v_add_nc_u64_e32 v[4:5], -1, v[4:5]
; %bb.13235:                            ;   in Loop: Header=BB6_12942 Depth=2
	s_or_b32 exec_lo, exec_lo, s43
	v_add_nc_u32_e32 v0, 0xffffff81, v11
	s_delay_alu instid0(VALU_DEP_2) | instskip(SKIP_2) | instid1(VALU_DEP_3)
	v_and_b32_e32 v4, 0x1fffff, v4
	v_lshrrev_b32_e32 v3, 23, v2
	s_mov_b32 s10, exec_lo
	v_cndmask_b32_e64 v0, v0, 0xffffff82, vcc_lo
	s_delay_alu instid0(VALU_DEP_1) | instskip(SKIP_1) | instid1(VALU_DEP_2)
	v_add3_u32 v5, v23, v0, v3
	v_add_nc_u32_e32 v0, v4, v2
                                        ; implicit-def: $vgpr2_vgpr3
                                        ; implicit-def: $vgpr4
	v_add_nc_u32_e32 v11, 14, v5
	s_delay_alu instid0(VALU_DEP_1)
	v_cmpx_ne_u32_e32 0, v11
	s_xor_b32 s10, exec_lo, s10
; %bb.13236:                            ;   in Loop: Header=BB6_12942 Depth=2
	s_delay_alu instid0(VALU_DEP_3) | instskip(SKIP_1) | instid1(VALU_DEP_1)
	v_cmp_lt_u64_e32 vcc_lo, 0xffffff, v[0:1]
	v_add_nc_u32_e32 v2, 15, v5
	v_cndmask_b32_e32 v4, v11, v2, vcc_lo
	v_cndmask_b32_e64 v2, 0, 1, vcc_lo
	s_delay_alu instid0(VALU_DEP_1)
	v_lshrrev_b64 v[2:3], v2, v[0:1]
; %bb.13237:                            ;   in Loop: Header=BB6_12942 Depth=2
	s_and_not1_saveexec_b32 s10, s10
; %bb.13238:                            ;   in Loop: Header=BB6_12942 Depth=2
	v_mov_b64_e32 v[2:3], v[0:1]
	v_bfe_u32 v4, v0, 23, 1
; %bb.13239:                            ;   in Loop: Header=BB6_12942 Depth=2
	s_or_b32 exec_lo, exec_lo, s10
	s_delay_alu instid0(VALU_DEP_2) | instskip(NEXT) | instid1(VALU_DEP_2)
	v_lshrrev_b64 v[2:3], 21, v[2:3]
	v_cmp_gt_i32_e32 vcc_lo, 32, v4
	v_min_i32_e32 v0, 31, v4
	v_cmp_eq_u32_e64 s10, 0, v4
	s_delay_alu instid0(VALU_DEP_2) | instskip(SKIP_1) | instid1(VALU_DEP_2)
	v_dual_cndmask_b32 v3, 0, v3 :: v_dual_lshlrev_b32 v0, 2, v0
	v_cndmask_b32_e32 v2, 3, v2, vcc_lo
	v_and_b32_e32 v0, 0xfc, v0
	s_delay_alu instid0(VALU_DEP_2) | instskip(NEXT) | instid1(VALU_DEP_2)
	v_cmp_eq_u64_e32 vcc_lo, 0, v[2:3]
	v_and_or_b32 v0, v2, 3, v0
	s_and_b32 s10, s10, vcc_lo
	s_delay_alu instid0(VALU_DEP_1) | instid1(SALU_CYCLE_1)
	v_cndmask_b32_e64 v0, v0, 0, s10
	s_delay_alu instid0(VALU_DEP_1)
	v_or_b32_e32 v29, v0, v10
.LBB6_13240:                            ;   in Loop: Header=BB6_12942 Depth=2
	s_or_b32 exec_lo, exec_lo, s42
                                        ; implicit-def: $vgpr10
.LBB6_13241:                            ;   in Loop: Header=BB6_12942 Depth=2
	s_and_not1_saveexec_b32 s10, s41
; %bb.13242:                            ;   in Loop: Header=BB6_12942 Depth=2
	v_or_b32_e32 v29, 0x7b, v10
; %bb.13243:                            ;   in Loop: Header=BB6_12942 Depth=2
	s_or_b32 exec_lo, exec_lo, s10
                                        ; implicit-def: $vgpr2
                                        ; implicit-def: $vgpr3
.LBB6_13244:                            ;   in Loop: Header=BB6_12942 Depth=2
	s_and_not1_saveexec_b32 s10, s40
	s_cbranch_execz .LBB6_13250
; %bb.13245:                            ;   in Loop: Header=BB6_12942 Depth=2
	s_mov_b32 s40, exec_lo
                                        ; implicit-def: $vgpr29
	v_cmpx_ne_u64_e32 0, v[0:1]
	s_xor_b32 s40, exec_lo, s40
; %bb.13246:                            ;   in Loop: Header=BB6_12942 Depth=2
	v_or_b32_e32 v29, 0x7f, v3
                                        ; implicit-def: $vgpr2
; %bb.13247:                            ;   in Loop: Header=BB6_12942 Depth=2
	s_and_not1_saveexec_b32 s40, s40
; %bb.13248:                            ;   in Loop: Header=BB6_12942 Depth=2
	v_cmp_lt_i32_e32 vcc_lo, -1, v2
	v_mov_b32_e32 v0, 0x7c
	s_delay_alu instid0(VALU_DEP_1)
	v_cndmask_b32_e32 v29, 0xfc, v0, vcc_lo
; %bb.13249:                            ;   in Loop: Header=BB6_12942 Depth=2
	s_or_b32 exec_lo, exec_lo, s40
.LBB6_13250:                            ;   in Loop: Header=BB6_12942 Depth=2
	s_delay_alu instid0(SALU_CYCLE_1) | instskip(SKIP_2) | instid1(VALU_DEP_1)
	s_or_b32 exec_lo, exec_lo, s10
	v_dual_lshrrev_b32 v0, 16, v12 :: v_dual_mov_b32 v2, 0
	s_mov_b32 s10, exec_lo
	v_and_b32_e32 v3, 0xff, v0
	s_delay_alu instid0(VALU_DEP_1)
	v_cmpx_ne_u16_e32 0, v3
	s_cbranch_execz .LBB6_13260
; %bb.13251:                            ;   in Loop: Header=BB6_12942 Depth=2
	v_bfrev_b32_e32 v2, 1
	s_mov_b32 s40, exec_lo
	v_cmpx_ne_u16_e32 0x80, v3
	s_cbranch_execz .LBB6_13259
; %bb.13252:                            ;   in Loop: Header=BB6_12942 Depth=2
	v_and_b32_e32 v2, 0x7c0000, v12
	v_bfe_u32 v3, v12, 16, 2
	s_delay_alu instid0(VALU_DEP_2) | instskip(SKIP_1) | instid1(SALU_CYCLE_1)
	v_cmp_ne_u32_e32 vcc_lo, 0x7c0000, v2
                                        ; implicit-def: $vgpr2
	s_and_saveexec_b32 s41, vcc_lo
	s_xor_b32 s41, exec_lo, s41
	s_cbranch_execz .LBB6_13256
; %bb.13253:                            ;   in Loop: Header=BB6_12942 Depth=2
	v_bfe_u32 v2, v12, 18, 5
	s_mov_b32 s42, exec_lo
	s_delay_alu instid0(VALU_DEP_1)
	v_cmpx_eq_u32_e32 0, v2
; %bb.13254:                            ;   in Loop: Header=BB6_12942 Depth=2
	v_clz_i32_u32_e32 v2, v3
	s_delay_alu instid0(VALU_DEP_1) | instskip(NEXT) | instid1(VALU_DEP_1)
	v_min_u32_e32 v2, 32, v2
	v_subrev_nc_u32_e32 v3, 29, v2
	s_delay_alu instid0(VALU_DEP_1) | instskip(NEXT) | instid1(VALU_DEP_1)
	v_lshlrev_b64_e32 v[4:5], v3, v[0:1]
	v_dual_sub_nc_u32 v2, 30, v2 :: v_dual_bitop2_b32 v3, 3, v4 bitop3:0x40
; %bb.13255:                            ;   in Loop: Header=BB6_12942 Depth=2
	s_or_b32 exec_lo, exec_lo, s42
	v_lshlrev_b32_e32 v0, 24, v0
	s_delay_alu instid0(VALU_DEP_1) | instskip(NEXT) | instid1(VALU_DEP_1)
	v_and_b32_e32 v0, 0x80000000, v0
	v_lshl_add_u32 v0, v2, 23, v0
	s_delay_alu instid0(VALU_DEP_1) | instskip(NEXT) | instid1(VALU_DEP_1)
	v_lshl_or_b32 v0, v3, 21, v0
                                        ; implicit-def: $vgpr3
	v_add_nc_u32_e32 v2, 0x38000000, v0
                                        ; implicit-def: $vgpr0
.LBB6_13256:                            ;   in Loop: Header=BB6_12942 Depth=2
	s_and_not1_saveexec_b32 s41, s41
; %bb.13257:                            ;   in Loop: Header=BB6_12942 Depth=2
	v_bfe_i32 v0, v0, 0, 8
	s_delay_alu instid0(VALU_DEP_1) | instskip(SKIP_1) | instid1(VALU_DEP_1)
	v_cmp_lt_i16_e32 vcc_lo, -1, v0
	v_mov_b32_e32 v0, 0x7f800000
	v_cndmask_b32_e32 v0, 0xff800000, v0, vcc_lo
	v_cmp_eq_u32_e32 vcc_lo, 0, v3
	s_delay_alu instid0(VALU_DEP_2)
	v_cndmask_b32_e32 v2, 0x7f800001, v0, vcc_lo
; %bb.13258:                            ;   in Loop: Header=BB6_12942 Depth=2
	s_or_b32 exec_lo, exec_lo, s41
.LBB6_13259:                            ;   in Loop: Header=BB6_12942 Depth=2
	s_delay_alu instid0(SALU_CYCLE_1)
	s_or_b32 exec_lo, exec_lo, s40
.LBB6_13260:                            ;   in Loop: Header=BB6_12942 Depth=2
	s_delay_alu instid0(SALU_CYCLE_1) | instskip(NEXT) | instid1(VALU_DEP_1)
	s_or_b32 exec_lo, exec_lo, s10
	v_dual_mul_f32 v2, s29, v2 :: v_dual_mov_b32 v5, v1
                                        ; implicit-def: $vgpr32
	s_mov_b32 s10, exec_lo
	s_delay_alu instid0(VALU_DEP_1) | instskip(SKIP_2) | instid1(VALU_DEP_3)
	v_and_b32_e32 v4, 0x7f800000, v2
	v_and_b32_e32 v0, 0x7fffff, v2
	v_lshrrev_b32_e32 v3, 24, v2
	v_cmpx_ne_u64_e32 0x7f800000, v[4:5]
	s_xor_b32 s40, exec_lo, s10
	s_cbranch_execz .LBB6_13274
; %bb.13261:                            ;   in Loop: Header=BB6_12942 Depth=2
	v_and_b32_e32 v4, 0x7fffffff, v2
	v_mov_b32_e32 v5, v1
	v_and_b32_e32 v10, 0x80, v3
                                        ; implicit-def: $vgpr32
	s_mov_b32 s10, exec_lo
	s_delay_alu instid0(VALU_DEP_2)
	v_cmpx_gt_u64_e32 0x47600001, v[4:5]
	s_xor_b32 s41, exec_lo, s10
	s_cbranch_execz .LBB6_13271
; %bb.13262:                            ;   in Loop: Header=BB6_12942 Depth=2
	v_mov_b32_e32 v32, 0
	s_mov_b32 s42, exec_lo
	v_cmpx_ne_u32_e32 0, v2
	s_cbranch_execz .LBB6_13270
; %bb.13263:                            ;   in Loop: Header=BB6_12942 Depth=2
	v_bfe_u32 v11, v2, 23, 8
	v_or_b32_e32 v4, 0x800000, v0
	s_mov_b32 s43, exec_lo
	s_delay_alu instid0(VALU_DEP_2) | instskip(SKIP_1) | instid1(VALU_DEP_2)
	v_dual_mov_b32 v5, v1 :: v_dual_sub_nc_u32 v2, 0x71, v11
	v_cmp_gt_u32_e32 vcc_lo, 0x72, v11
	v_cndmask_b32_e32 v2, 0, v2, vcc_lo
	v_cmp_eq_u32_e32 vcc_lo, 0, v11
	s_delay_alu instid0(VALU_DEP_2) | instskip(NEXT) | instid1(VALU_DEP_1)
	v_cndmask_b32_e64 v23, v2, 0x70, vcc_lo
	v_dual_cndmask_b32 v4, v4, v0, vcc_lo :: v_dual_add_nc_u32 v2, 21, v23
	v_add_nc_u32_e32 v26, 20, v23
	s_delay_alu instid0(VALU_DEP_2) | instskip(NEXT) | instid1(VALU_DEP_2)
	v_lshlrev_b64_e64 v[2:3], v2, -1
	v_lshlrev_b64_e64 v[30:31], v26, 1
	s_delay_alu instid0(VALU_DEP_2) | instskip(NEXT) | instid1(VALU_DEP_3)
	v_bfi_b32 v39, v3, 0, 0
	v_bfi_b32 v38, v2, 0, v4
	v_lshrrev_b64 v[2:3], v23, v[4:5]
	s_delay_alu instid0(VALU_DEP_1) | instskip(NEXT) | instid1(VALU_DEP_3)
	v_mov_b64_e32 v[4:5], v[2:3]
	v_cmpx_eq_u64_e64 v[38:39], v[30:31]
; %bb.13264:                            ;   in Loop: Header=BB6_12942 Depth=2
	v_bfe_u32 v4, v2, 21, 1
	v_mov_b32_e32 v5, v1
	s_delay_alu instid0(VALU_DEP_1) | instskip(NEXT) | instid1(VALU_DEP_1)
	v_add_nc_u64_e32 v[4:5], v[2:3], v[4:5]
	v_add_nc_u64_e32 v[4:5], -1, v[4:5]
; %bb.13265:                            ;   in Loop: Header=BB6_12942 Depth=2
	s_or_b32 exec_lo, exec_lo, s43
	v_add_nc_u32_e32 v0, 0xffffff81, v11
	s_delay_alu instid0(VALU_DEP_2) | instskip(SKIP_2) | instid1(VALU_DEP_3)
	v_and_b32_e32 v4, 0x1fffff, v4
	v_lshrrev_b32_e32 v3, 23, v2
	s_mov_b32 s10, exec_lo
	v_cndmask_b32_e64 v0, v0, 0xffffff82, vcc_lo
	s_delay_alu instid0(VALU_DEP_1) | instskip(SKIP_1) | instid1(VALU_DEP_2)
	v_add3_u32 v5, v23, v0, v3
	v_add_nc_u32_e32 v0, v4, v2
                                        ; implicit-def: $vgpr2_vgpr3
                                        ; implicit-def: $vgpr4
	v_add_nc_u32_e32 v11, 14, v5
	s_delay_alu instid0(VALU_DEP_1)
	v_cmpx_ne_u32_e32 0, v11
	s_xor_b32 s10, exec_lo, s10
; %bb.13266:                            ;   in Loop: Header=BB6_12942 Depth=2
	s_delay_alu instid0(VALU_DEP_3) | instskip(SKIP_1) | instid1(VALU_DEP_1)
	v_cmp_lt_u64_e32 vcc_lo, 0xffffff, v[0:1]
	v_add_nc_u32_e32 v2, 15, v5
	v_cndmask_b32_e32 v4, v11, v2, vcc_lo
	v_cndmask_b32_e64 v2, 0, 1, vcc_lo
	s_delay_alu instid0(VALU_DEP_1)
	v_lshrrev_b64 v[2:3], v2, v[0:1]
; %bb.13267:                            ;   in Loop: Header=BB6_12942 Depth=2
	s_and_not1_saveexec_b32 s10, s10
; %bb.13268:                            ;   in Loop: Header=BB6_12942 Depth=2
	v_mov_b64_e32 v[2:3], v[0:1]
	v_bfe_u32 v4, v0, 23, 1
; %bb.13269:                            ;   in Loop: Header=BB6_12942 Depth=2
	s_or_b32 exec_lo, exec_lo, s10
	s_delay_alu instid0(VALU_DEP_2) | instskip(NEXT) | instid1(VALU_DEP_2)
	v_lshrrev_b64 v[2:3], 21, v[2:3]
	v_cmp_gt_i32_e32 vcc_lo, 32, v4
	v_min_i32_e32 v0, 31, v4
	v_cmp_eq_u32_e64 s10, 0, v4
	s_delay_alu instid0(VALU_DEP_2) | instskip(SKIP_1) | instid1(VALU_DEP_2)
	v_dual_cndmask_b32 v3, 0, v3 :: v_dual_lshlrev_b32 v0, 2, v0
	v_cndmask_b32_e32 v2, 3, v2, vcc_lo
	v_and_b32_e32 v0, 0xfc, v0
	s_delay_alu instid0(VALU_DEP_2) | instskip(NEXT) | instid1(VALU_DEP_2)
	v_cmp_eq_u64_e32 vcc_lo, 0, v[2:3]
	v_and_or_b32 v0, v2, 3, v0
	s_and_b32 s10, s10, vcc_lo
	s_delay_alu instid0(VALU_DEP_1) | instid1(SALU_CYCLE_1)
	v_cndmask_b32_e64 v0, v0, 0, s10
	s_delay_alu instid0(VALU_DEP_1)
	v_or_b32_e32 v32, v0, v10
.LBB6_13270:                            ;   in Loop: Header=BB6_12942 Depth=2
	s_or_b32 exec_lo, exec_lo, s42
                                        ; implicit-def: $vgpr10
.LBB6_13271:                            ;   in Loop: Header=BB6_12942 Depth=2
	s_and_not1_saveexec_b32 s10, s41
; %bb.13272:                            ;   in Loop: Header=BB6_12942 Depth=2
	v_or_b32_e32 v32, 0x7b, v10
; %bb.13273:                            ;   in Loop: Header=BB6_12942 Depth=2
	s_or_b32 exec_lo, exec_lo, s10
                                        ; implicit-def: $vgpr2
                                        ; implicit-def: $vgpr3
.LBB6_13274:                            ;   in Loop: Header=BB6_12942 Depth=2
	s_and_not1_saveexec_b32 s10, s40
	s_cbranch_execz .LBB6_13280
; %bb.13275:                            ;   in Loop: Header=BB6_12942 Depth=2
	s_mov_b32 s40, exec_lo
                                        ; implicit-def: $vgpr32
	v_cmpx_ne_u64_e32 0, v[0:1]
	s_xor_b32 s40, exec_lo, s40
; %bb.13276:                            ;   in Loop: Header=BB6_12942 Depth=2
	v_or_b32_e32 v32, 0x7f, v3
                                        ; implicit-def: $vgpr2
; %bb.13277:                            ;   in Loop: Header=BB6_12942 Depth=2
	s_and_not1_saveexec_b32 s40, s40
; %bb.13278:                            ;   in Loop: Header=BB6_12942 Depth=2
	v_cmp_lt_i32_e32 vcc_lo, -1, v2
	v_mov_b32_e32 v0, 0x7c
	s_delay_alu instid0(VALU_DEP_1)
	v_cndmask_b32_e32 v32, 0xfc, v0, vcc_lo
; %bb.13279:                            ;   in Loop: Header=BB6_12942 Depth=2
	s_or_b32 exec_lo, exec_lo, s40
.LBB6_13280:                            ;   in Loop: Header=BB6_12942 Depth=2
	s_delay_alu instid0(SALU_CYCLE_1)
	s_or_b32 exec_lo, exec_lo, s10
	v_mov_b32_e32 v2, 0
	s_mov_b32 s10, exec_lo
	v_cmpx_lt_u32_e32 0xffffff, v12
	s_cbranch_execz .LBB6_13290
; %bb.13281:                            ;   in Loop: Header=BB6_12942 Depth=2
	v_lshrrev_b32_e32 v0, 24, v12
	v_bfrev_b32_e32 v2, 1
	s_mov_b32 s40, exec_lo
	s_delay_alu instid0(VALU_DEP_2)
	v_cmpx_ne_u32_e32 0x80, v0
	s_cbranch_execz .LBB6_13289
; %bb.13282:                            ;   in Loop: Header=BB6_12942 Depth=2
	v_and_b32_e32 v2, 0x7c000000, v12
	v_bfe_u32 v3, v12, 24, 2
	s_delay_alu instid0(VALU_DEP_2) | instskip(SKIP_1) | instid1(SALU_CYCLE_1)
	v_cmp_ne_u32_e32 vcc_lo, 0x7c000000, v2
                                        ; implicit-def: $vgpr2
	s_and_saveexec_b32 s41, vcc_lo
	s_xor_b32 s41, exec_lo, s41
	s_cbranch_execz .LBB6_13286
; %bb.13283:                            ;   in Loop: Header=BB6_12942 Depth=2
	v_bfe_u32 v2, v12, 26, 5
	s_mov_b32 s42, exec_lo
	s_delay_alu instid0(VALU_DEP_1)
	v_cmpx_eq_u32_e32 0, v2
; %bb.13284:                            ;   in Loop: Header=BB6_12942 Depth=2
	v_clz_i32_u32_e32 v2, v3
	s_delay_alu instid0(VALU_DEP_1) | instskip(NEXT) | instid1(VALU_DEP_1)
	v_min_u32_e32 v2, 32, v2
	v_subrev_nc_u32_e32 v3, 29, v2
	s_delay_alu instid0(VALU_DEP_1) | instskip(NEXT) | instid1(VALU_DEP_1)
	v_lshlrev_b64_e32 v[4:5], v3, v[0:1]
	v_dual_sub_nc_u32 v2, 30, v2 :: v_dual_bitop2_b32 v3, 3, v4 bitop3:0x40
; %bb.13285:                            ;   in Loop: Header=BB6_12942 Depth=2
	s_or_b32 exec_lo, exec_lo, s42
	v_and_b32_e32 v0, 0x80000000, v12
	s_delay_alu instid0(VALU_DEP_1) | instskip(NEXT) | instid1(VALU_DEP_1)
	v_lshl_add_u32 v0, v2, 23, v0
	v_lshl_or_b32 v0, v3, 21, v0
                                        ; implicit-def: $vgpr3
	s_delay_alu instid0(VALU_DEP_1)
	v_add_nc_u32_e32 v2, 0x38000000, v0
.LBB6_13286:                            ;   in Loop: Header=BB6_12942 Depth=2
	s_and_not1_saveexec_b32 s41, s41
; %bb.13287:                            ;   in Loop: Header=BB6_12942 Depth=2
	v_cmp_lt_i32_e32 vcc_lo, -1, v12
	v_mov_b32_e32 v0, 0x7f800000
	s_delay_alu instid0(VALU_DEP_1) | instskip(SKIP_1) | instid1(VALU_DEP_2)
	v_cndmask_b32_e32 v0, 0xff800000, v0, vcc_lo
	v_cmp_eq_u32_e32 vcc_lo, 0, v3
	v_cndmask_b32_e32 v2, 0x7f800001, v0, vcc_lo
; %bb.13288:                            ;   in Loop: Header=BB6_12942 Depth=2
	s_or_b32 exec_lo, exec_lo, s41
.LBB6_13289:                            ;   in Loop: Header=BB6_12942 Depth=2
	s_delay_alu instid0(SALU_CYCLE_1)
	s_or_b32 exec_lo, exec_lo, s40
.LBB6_13290:                            ;   in Loop: Header=BB6_12942 Depth=2
	s_delay_alu instid0(SALU_CYCLE_1) | instskip(NEXT) | instid1(VALU_DEP_1)
	s_or_b32 exec_lo, exec_lo, s10
	v_dual_mul_f32 v2, s29, v2 :: v_dual_mov_b32 v5, v1
                                        ; implicit-def: $vgpr34
	s_mov_b32 s10, exec_lo
	s_delay_alu instid0(VALU_DEP_1) | instskip(SKIP_2) | instid1(VALU_DEP_3)
	v_and_b32_e32 v4, 0x7f800000, v2
	v_and_b32_e32 v0, 0x7fffff, v2
	v_lshrrev_b32_e32 v3, 24, v2
	v_cmpx_ne_u64_e32 0x7f800000, v[4:5]
	s_xor_b32 s40, exec_lo, s10
	s_cbranch_execz .LBB6_13304
; %bb.13291:                            ;   in Loop: Header=BB6_12942 Depth=2
	v_and_b32_e32 v4, 0x7fffffff, v2
	v_mov_b32_e32 v5, v1
	v_and_b32_e32 v10, 0x80, v3
                                        ; implicit-def: $vgpr34
	s_mov_b32 s10, exec_lo
	s_delay_alu instid0(VALU_DEP_2)
	v_cmpx_gt_u64_e32 0x47600001, v[4:5]
	s_xor_b32 s41, exec_lo, s10
	s_cbranch_execz .LBB6_13301
; %bb.13292:                            ;   in Loop: Header=BB6_12942 Depth=2
	v_mov_b32_e32 v34, 0
	s_mov_b32 s42, exec_lo
	v_cmpx_ne_u32_e32 0, v2
	s_cbranch_execz .LBB6_13300
; %bb.13293:                            ;   in Loop: Header=BB6_12942 Depth=2
	v_bfe_u32 v11, v2, 23, 8
	v_or_b32_e32 v4, 0x800000, v0
	s_mov_b32 s43, exec_lo
	s_delay_alu instid0(VALU_DEP_2) | instskip(SKIP_1) | instid1(VALU_DEP_2)
	v_dual_mov_b32 v5, v1 :: v_dual_sub_nc_u32 v2, 0x71, v11
	v_cmp_gt_u32_e32 vcc_lo, 0x72, v11
	v_cndmask_b32_e32 v2, 0, v2, vcc_lo
	v_cmp_eq_u32_e32 vcc_lo, 0, v11
	s_delay_alu instid0(VALU_DEP_2) | instskip(NEXT) | instid1(VALU_DEP_1)
	v_cndmask_b32_e64 v23, v2, 0x70, vcc_lo
	v_dual_cndmask_b32 v4, v4, v0, vcc_lo :: v_dual_add_nc_u32 v2, 21, v23
	v_add_nc_u32_e32 v26, 20, v23
	s_delay_alu instid0(VALU_DEP_2) | instskip(NEXT) | instid1(VALU_DEP_2)
	v_lshlrev_b64_e64 v[2:3], v2, -1
	v_lshlrev_b64_e64 v[30:31], v26, 1
	s_delay_alu instid0(VALU_DEP_2) | instskip(NEXT) | instid1(VALU_DEP_3)
	v_bfi_b32 v39, v3, 0, 0
	v_bfi_b32 v38, v2, 0, v4
	v_lshrrev_b64 v[2:3], v23, v[4:5]
	s_delay_alu instid0(VALU_DEP_1) | instskip(NEXT) | instid1(VALU_DEP_3)
	v_mov_b64_e32 v[4:5], v[2:3]
	v_cmpx_eq_u64_e64 v[38:39], v[30:31]
; %bb.13294:                            ;   in Loop: Header=BB6_12942 Depth=2
	v_bfe_u32 v4, v2, 21, 1
	v_mov_b32_e32 v5, v1
	s_delay_alu instid0(VALU_DEP_1) | instskip(NEXT) | instid1(VALU_DEP_1)
	v_add_nc_u64_e32 v[4:5], v[2:3], v[4:5]
	v_add_nc_u64_e32 v[4:5], -1, v[4:5]
; %bb.13295:                            ;   in Loop: Header=BB6_12942 Depth=2
	s_or_b32 exec_lo, exec_lo, s43
	v_add_nc_u32_e32 v0, 0xffffff81, v11
	s_delay_alu instid0(VALU_DEP_2) | instskip(SKIP_2) | instid1(VALU_DEP_3)
	v_and_b32_e32 v4, 0x1fffff, v4
	v_lshrrev_b32_e32 v3, 23, v2
	s_mov_b32 s10, exec_lo
	v_cndmask_b32_e64 v0, v0, 0xffffff82, vcc_lo
	s_delay_alu instid0(VALU_DEP_1) | instskip(SKIP_1) | instid1(VALU_DEP_2)
	v_add3_u32 v5, v23, v0, v3
	v_add_nc_u32_e32 v0, v4, v2
                                        ; implicit-def: $vgpr2_vgpr3
                                        ; implicit-def: $vgpr4
	v_add_nc_u32_e32 v11, 14, v5
	s_delay_alu instid0(VALU_DEP_1)
	v_cmpx_ne_u32_e32 0, v11
	s_xor_b32 s10, exec_lo, s10
; %bb.13296:                            ;   in Loop: Header=BB6_12942 Depth=2
	s_delay_alu instid0(VALU_DEP_3) | instskip(SKIP_1) | instid1(VALU_DEP_1)
	v_cmp_lt_u64_e32 vcc_lo, 0xffffff, v[0:1]
	v_add_nc_u32_e32 v2, 15, v5
	v_cndmask_b32_e32 v4, v11, v2, vcc_lo
	v_cndmask_b32_e64 v2, 0, 1, vcc_lo
	s_delay_alu instid0(VALU_DEP_1)
	v_lshrrev_b64 v[2:3], v2, v[0:1]
; %bb.13297:                            ;   in Loop: Header=BB6_12942 Depth=2
	s_and_not1_saveexec_b32 s10, s10
; %bb.13298:                            ;   in Loop: Header=BB6_12942 Depth=2
	v_mov_b64_e32 v[2:3], v[0:1]
	v_bfe_u32 v4, v0, 23, 1
; %bb.13299:                            ;   in Loop: Header=BB6_12942 Depth=2
	s_or_b32 exec_lo, exec_lo, s10
	s_delay_alu instid0(VALU_DEP_2) | instskip(NEXT) | instid1(VALU_DEP_2)
	v_lshrrev_b64 v[2:3], 21, v[2:3]
	v_cmp_gt_i32_e32 vcc_lo, 32, v4
	v_min_i32_e32 v0, 31, v4
	v_cmp_eq_u32_e64 s10, 0, v4
	s_delay_alu instid0(VALU_DEP_2) | instskip(SKIP_1) | instid1(VALU_DEP_2)
	v_dual_cndmask_b32 v3, 0, v3 :: v_dual_lshlrev_b32 v0, 2, v0
	v_cndmask_b32_e32 v2, 3, v2, vcc_lo
	v_and_b32_e32 v0, 0xfc, v0
	s_delay_alu instid0(VALU_DEP_2) | instskip(NEXT) | instid1(VALU_DEP_2)
	v_cmp_eq_u64_e32 vcc_lo, 0, v[2:3]
	v_and_or_b32 v0, v2, 3, v0
	s_and_b32 s10, s10, vcc_lo
	s_delay_alu instid0(VALU_DEP_1) | instid1(SALU_CYCLE_1)
	v_cndmask_b32_e64 v0, v0, 0, s10
	s_delay_alu instid0(VALU_DEP_1)
	v_or_b32_e32 v34, v0, v10
.LBB6_13300:                            ;   in Loop: Header=BB6_12942 Depth=2
	s_or_b32 exec_lo, exec_lo, s42
                                        ; implicit-def: $vgpr10
.LBB6_13301:                            ;   in Loop: Header=BB6_12942 Depth=2
	s_and_not1_saveexec_b32 s10, s41
; %bb.13302:                            ;   in Loop: Header=BB6_12942 Depth=2
	v_or_b32_e32 v34, 0x7b, v10
; %bb.13303:                            ;   in Loop: Header=BB6_12942 Depth=2
	s_or_b32 exec_lo, exec_lo, s10
                                        ; implicit-def: $vgpr2
                                        ; implicit-def: $vgpr3
.LBB6_13304:                            ;   in Loop: Header=BB6_12942 Depth=2
	s_and_not1_saveexec_b32 s10, s40
	s_cbranch_execz .LBB6_13310
; %bb.13305:                            ;   in Loop: Header=BB6_12942 Depth=2
	s_mov_b32 s40, exec_lo
                                        ; implicit-def: $vgpr34
	v_cmpx_ne_u64_e32 0, v[0:1]
	s_xor_b32 s40, exec_lo, s40
; %bb.13306:                            ;   in Loop: Header=BB6_12942 Depth=2
	v_or_b32_e32 v34, 0x7f, v3
                                        ; implicit-def: $vgpr2
; %bb.13307:                            ;   in Loop: Header=BB6_12942 Depth=2
	s_and_not1_saveexec_b32 s40, s40
; %bb.13308:                            ;   in Loop: Header=BB6_12942 Depth=2
	v_cmp_lt_i32_e32 vcc_lo, -1, v2
	v_mov_b32_e32 v0, 0x7c
	s_delay_alu instid0(VALU_DEP_1)
	v_cndmask_b32_e32 v34, 0xfc, v0, vcc_lo
; %bb.13309:                            ;   in Loop: Header=BB6_12942 Depth=2
	s_or_b32 exec_lo, exec_lo, s40
.LBB6_13310:                            ;   in Loop: Header=BB6_12942 Depth=2
	s_delay_alu instid0(SALU_CYCLE_1) | instskip(SKIP_3) | instid1(VALU_DEP_2)
	s_or_b32 exec_lo, exec_lo, s10
	v_and_b32_e32 v3, 0xff, v13
	v_dual_mov_b32 v0, v13 :: v_dual_mov_b32 v2, 0
	s_mov_b32 s10, exec_lo
	v_cmpx_ne_u16_e32 0, v3
	s_cbranch_execz .LBB6_13320
; %bb.13311:                            ;   in Loop: Header=BB6_12942 Depth=2
	v_bfrev_b32_e32 v2, 1
	s_mov_b32 s40, exec_lo
	v_cmpx_ne_u16_e32 0x80, v3
	s_cbranch_execz .LBB6_13319
; %bb.13312:                            ;   in Loop: Header=BB6_12942 Depth=2
	v_and_b32_e32 v2, 0x7c, v13
	v_and_b32_e32 v3, 3, v13
	s_delay_alu instid0(VALU_DEP_2) | instskip(SKIP_1) | instid1(SALU_CYCLE_1)
	v_cmp_ne_u32_e32 vcc_lo, 0x7c, v2
                                        ; implicit-def: $vgpr2
	s_and_saveexec_b32 s41, vcc_lo
	s_xor_b32 s41, exec_lo, s41
	s_cbranch_execz .LBB6_13316
; %bb.13313:                            ;   in Loop: Header=BB6_12942 Depth=2
	v_bfe_u32 v2, v13, 2, 5
	s_mov_b32 s42, exec_lo
	s_delay_alu instid0(VALU_DEP_1)
	v_cmpx_eq_u32_e32 0, v2
; %bb.13314:                            ;   in Loop: Header=BB6_12942 Depth=2
	v_clz_i32_u32_e32 v2, v3
	s_delay_alu instid0(VALU_DEP_1) | instskip(NEXT) | instid1(VALU_DEP_1)
	v_min_u32_e32 v2, 32, v2
	v_subrev_nc_u32_e32 v3, 29, v2
	s_delay_alu instid0(VALU_DEP_1) | instskip(NEXT) | instid1(VALU_DEP_1)
	v_lshlrev_b64_e32 v[4:5], v3, v[0:1]
	v_dual_sub_nc_u32 v2, 30, v2 :: v_dual_bitop2_b32 v3, 3, v4 bitop3:0x40
; %bb.13315:                            ;   in Loop: Header=BB6_12942 Depth=2
	s_or_b32 exec_lo, exec_lo, s42
	v_lshlrev_b32_e32 v4, 24, v13
	s_delay_alu instid0(VALU_DEP_1) | instskip(NEXT) | instid1(VALU_DEP_1)
	v_and_b32_e32 v4, 0x80000000, v4
	v_lshl_add_u32 v2, v2, 23, v4
	s_delay_alu instid0(VALU_DEP_1) | instskip(NEXT) | instid1(VALU_DEP_1)
	v_lshl_or_b32 v2, v3, 21, v2
                                        ; implicit-def: $vgpr3
	v_add_nc_u32_e32 v2, 0x38000000, v2
.LBB6_13316:                            ;   in Loop: Header=BB6_12942 Depth=2
	s_and_not1_saveexec_b32 s41, s41
; %bb.13317:                            ;   in Loop: Header=BB6_12942 Depth=2
	v_bfe_i32 v2, v13, 0, 8
	s_delay_alu instid0(VALU_DEP_1) | instskip(SKIP_1) | instid1(VALU_DEP_1)
	v_cmp_lt_i16_e32 vcc_lo, -1, v2
	v_mov_b32_e32 v2, 0x7f800000
	v_cndmask_b32_e32 v2, 0xff800000, v2, vcc_lo
	v_cmp_eq_u32_e32 vcc_lo, 0, v3
	s_delay_alu instid0(VALU_DEP_2)
	v_cndmask_b32_e32 v2, 0x7f800001, v2, vcc_lo
; %bb.13318:                            ;   in Loop: Header=BB6_12942 Depth=2
	s_or_b32 exec_lo, exec_lo, s41
.LBB6_13319:                            ;   in Loop: Header=BB6_12942 Depth=2
	s_delay_alu instid0(SALU_CYCLE_1)
	s_or_b32 exec_lo, exec_lo, s40
.LBB6_13320:                            ;   in Loop: Header=BB6_12942 Depth=2
	s_delay_alu instid0(SALU_CYCLE_1) | instskip(NEXT) | instid1(VALU_DEP_1)
	s_or_b32 exec_lo, exec_lo, s10
	v_dual_mul_f32 v4, s29, v2 :: v_dual_mov_b32 v11, v1
	v_mov_b32_e32 v3, v1
                                        ; implicit-def: $vgpr23
	s_mov_b32 s10, exec_lo
	s_delay_alu instid0(VALU_DEP_2) | instskip(SKIP_2) | instid1(VALU_DEP_3)
	v_and_b32_e32 v10, 0x7f800000, v4
	v_and_b32_e32 v2, 0x7fffff, v4
	v_lshrrev_b32_e32 v5, 24, v4
	v_cmpx_ne_u64_e32 0x7f800000, v[10:11]
	s_xor_b32 s40, exec_lo, s10
	s_cbranch_execz .LBB6_13334
; %bb.13321:                            ;   in Loop: Header=BB6_12942 Depth=2
	v_and_b32_e32 v10, 0x7fffffff, v4
	v_mov_b32_e32 v11, v1
                                        ; implicit-def: $vgpr23
	s_delay_alu instid0(VALU_DEP_1) | instskip(SKIP_2) | instid1(SALU_CYCLE_1)
	v_cmp_gt_u64_e32 vcc_lo, 0x47600001, v[10:11]
	v_and_b32_e32 v10, 0x80, v5
	s_and_saveexec_b32 s10, vcc_lo
	s_xor_b32 s41, exec_lo, s10
	s_cbranch_execz .LBB6_13331
; %bb.13322:                            ;   in Loop: Header=BB6_12942 Depth=2
	v_mov_b32_e32 v23, 0
	s_mov_b32 s42, exec_lo
	v_cmpx_ne_u32_e32 0, v4
	s_cbranch_execz .LBB6_13330
; %bb.13323:                            ;   in Loop: Header=BB6_12942 Depth=2
	v_bfe_u32 v11, v4, 23, 8
	v_or_b32_e32 v26, 0x800000, v2
	s_delay_alu instid0(VALU_DEP_2) | instskip(SKIP_1) | instid1(VALU_DEP_2)
	v_sub_nc_u32_e32 v4, 0x71, v11
	v_cmp_gt_u32_e32 vcc_lo, 0x72, v11
	v_cndmask_b32_e32 v4, 0, v4, vcc_lo
	v_cmp_eq_u32_e32 vcc_lo, 0, v11
	s_delay_alu instid0(VALU_DEP_2) | instskip(NEXT) | instid1(VALU_DEP_1)
	v_cndmask_b32_e64 v23, v4, 0x70, vcc_lo
	v_dual_cndmask_b32 v2, v26, v2, vcc_lo :: v_dual_add_nc_u32 v4, 21, v23
	v_add_nc_u32_e32 v28, 20, v23
	s_delay_alu instid0(VALU_DEP_2) | instskip(NEXT) | instid1(VALU_DEP_2)
	v_lshlrev_b64_e64 v[4:5], v4, -1
	v_lshlrev_b64_e64 v[30:31], v28, 1
	s_delay_alu instid0(VALU_DEP_2) | instskip(SKIP_1) | instid1(VALU_DEP_4)
	v_bfi_b32 v4, v4, 0, v2
	v_lshrrev_b64 v[2:3], v23, v[2:3]
	v_bfi_b32 v5, v5, 0, 0
	s_delay_alu instid0(VALU_DEP_1) | instskip(NEXT) | instid1(VALU_DEP_3)
	v_cmp_eq_u64_e64 s10, v[4:5], v[30:31]
	v_mov_b64_e32 v[4:5], v[2:3]
	s_and_saveexec_b32 s43, s10
; %bb.13324:                            ;   in Loop: Header=BB6_12942 Depth=2
	v_bfe_u32 v4, v2, 21, 1
	v_mov_b32_e32 v5, v1
	s_delay_alu instid0(VALU_DEP_1) | instskip(NEXT) | instid1(VALU_DEP_1)
	v_add_nc_u64_e32 v[4:5], v[2:3], v[4:5]
	v_add_nc_u64_e32 v[4:5], -1, v[4:5]
; %bb.13325:                            ;   in Loop: Header=BB6_12942 Depth=2
	s_or_b32 exec_lo, exec_lo, s43
	v_add_nc_u32_e32 v3, 0xffffff81, v11
	v_lshrrev_b32_e32 v5, 23, v2
	s_mov_b32 s10, exec_lo
	s_delay_alu instid0(VALU_DEP_2) | instskip(NEXT) | instid1(VALU_DEP_1)
	v_cndmask_b32_e64 v3, v3, 0xffffff82, vcc_lo
	v_add3_u32 v5, v23, v3, v5
	v_and_b32_e32 v3, 0x1fffff, v4
                                        ; implicit-def: $vgpr4
	s_delay_alu instid0(VALU_DEP_1) | instskip(SKIP_1) | instid1(VALU_DEP_2)
	v_dual_add_nc_u32 v11, 14, v5 :: v_dual_add_nc_u32 v2, v3, v2
	v_mov_b32_e32 v3, v1
	v_cmpx_ne_u32_e32 0, v11
	s_xor_b32 s10, exec_lo, s10
; %bb.13326:                            ;   in Loop: Header=BB6_12942 Depth=2
	s_delay_alu instid0(VALU_DEP_2) | instskip(SKIP_2) | instid1(VALU_DEP_2)
	v_cmp_lt_u64_e32 vcc_lo, 0xffffff, v[2:3]
	v_add_nc_u32_e32 v4, 15, v5
	v_cndmask_b32_e64 v5, 0, 1, vcc_lo
	v_cndmask_b32_e32 v4, v11, v4, vcc_lo
	s_delay_alu instid0(VALU_DEP_2)
	v_lshrrev_b64 v[2:3], v5, v[2:3]
; %bb.13327:                            ;   in Loop: Header=BB6_12942 Depth=2
	s_and_not1_saveexec_b32 s10, s10
; %bb.13328:                            ;   in Loop: Header=BB6_12942 Depth=2
	s_delay_alu instid0(VALU_DEP_1)
	v_bfe_u32 v4, v2, 23, 1
; %bb.13329:                            ;   in Loop: Header=BB6_12942 Depth=2
	s_or_b32 exec_lo, exec_lo, s10
	s_delay_alu instid0(VALU_DEP_2) | instskip(NEXT) | instid1(VALU_DEP_2)
	v_lshrrev_b64 v[2:3], 21, v[2:3]
	v_cmp_gt_i32_e32 vcc_lo, 32, v4
	v_min_i32_e32 v5, 31, v4
	v_cmp_eq_u32_e64 s10, 0, v4
	s_delay_alu instid0(VALU_DEP_2) | instskip(SKIP_1) | instid1(VALU_DEP_2)
	v_dual_cndmask_b32 v3, 0, v3, vcc_lo :: v_dual_lshlrev_b32 v5, 2, v5
	v_cndmask_b32_e32 v2, 3, v2, vcc_lo
	v_and_b32_e32 v5, 0xfc, v5
	s_delay_alu instid0(VALU_DEP_2) | instskip(NEXT) | instid1(VALU_DEP_2)
	v_cmp_eq_u64_e32 vcc_lo, 0, v[2:3]
	v_and_or_b32 v2, v2, 3, v5
	s_and_b32 s10, s10, vcc_lo
	s_delay_alu instid0(VALU_DEP_1) | instid1(SALU_CYCLE_1)
	v_cndmask_b32_e64 v2, v2, 0, s10
	s_delay_alu instid0(VALU_DEP_1)
	v_or_b32_e32 v23, v2, v10
.LBB6_13330:                            ;   in Loop: Header=BB6_12942 Depth=2
	s_or_b32 exec_lo, exec_lo, s42
                                        ; implicit-def: $vgpr10
.LBB6_13331:                            ;   in Loop: Header=BB6_12942 Depth=2
	s_and_not1_saveexec_b32 s10, s41
; %bb.13332:                            ;   in Loop: Header=BB6_12942 Depth=2
	v_or_b32_e32 v23, 0x7b, v10
; %bb.13333:                            ;   in Loop: Header=BB6_12942 Depth=2
	s_or_b32 exec_lo, exec_lo, s10
                                        ; implicit-def: $vgpr4
                                        ; implicit-def: $vgpr2_vgpr3
                                        ; implicit-def: $vgpr5
.LBB6_13334:                            ;   in Loop: Header=BB6_12942 Depth=2
	s_and_not1_saveexec_b32 s10, s40
	s_cbranch_execz .LBB6_13340
; %bb.13335:                            ;   in Loop: Header=BB6_12942 Depth=2
	s_mov_b32 s40, exec_lo
                                        ; implicit-def: $vgpr23
	v_cmpx_ne_u64_e32 0, v[2:3]
	s_xor_b32 s40, exec_lo, s40
; %bb.13336:                            ;   in Loop: Header=BB6_12942 Depth=2
	v_or_b32_e32 v23, 0x7f, v5
                                        ; implicit-def: $vgpr4
; %bb.13337:                            ;   in Loop: Header=BB6_12942 Depth=2
	s_and_not1_saveexec_b32 s40, s40
; %bb.13338:                            ;   in Loop: Header=BB6_12942 Depth=2
	v_cmp_lt_i32_e32 vcc_lo, -1, v4
	v_mov_b32_e32 v2, 0x7c
	s_delay_alu instid0(VALU_DEP_1)
	v_cndmask_b32_e32 v23, 0xfc, v2, vcc_lo
; %bb.13339:                            ;   in Loop: Header=BB6_12942 Depth=2
	s_or_b32 exec_lo, exec_lo, s40
.LBB6_13340:                            ;   in Loop: Header=BB6_12942 Depth=2
	s_delay_alu instid0(SALU_CYCLE_1) | instskip(SKIP_3) | instid1(VALU_DEP_2)
	s_or_b32 exec_lo, exec_lo, s10
	v_lshrrev_b16 v2, 8, v0
	v_mov_b32_e32 v4, 0
	s_mov_b32 s10, exec_lo
	v_cmpx_ne_u16_e32 0, v2
	s_cbranch_execz .LBB6_13350
; %bb.13341:                            ;   in Loop: Header=BB6_12942 Depth=2
	v_bfrev_b32_e32 v4, 1
	s_mov_b32 s40, exec_lo
	v_cmpx_ne_u16_e32 0x80, v2
	s_cbranch_execz .LBB6_13349
; %bb.13342:                            ;   in Loop: Header=BB6_12942 Depth=2
	v_and_b32_e32 v5, 0xffff, v2
	s_delay_alu instid0(VALU_DEP_1) | instskip(SKIP_1) | instid1(VALU_DEP_2)
	v_and_b32_e32 v4, 0x7c, v5
	v_and_b32_e32 v3, 3, v5
	v_cmp_ne_u32_e32 vcc_lo, 0x7c, v4
                                        ; implicit-def: $vgpr4
	s_and_saveexec_b32 s41, vcc_lo
	s_delay_alu instid0(SALU_CYCLE_1)
	s_xor_b32 s41, exec_lo, s41
	s_cbranch_execz .LBB6_13346
; %bb.13343:                            ;   in Loop: Header=BB6_12942 Depth=2
	v_bfe_u32 v4, v5, 2, 5
	s_mov_b32 s42, exec_lo
	s_delay_alu instid0(VALU_DEP_1)
	v_cmpx_eq_u32_e32 0, v4
	s_cbranch_execz .LBB6_13345
; %bb.13344:                            ;   in Loop: Header=BB6_12942 Depth=2
	v_clz_i32_u32_e32 v3, v3
	s_delay_alu instid0(VALU_DEP_1) | instskip(SKIP_1) | instid1(VALU_DEP_2)
	v_min_u32_e32 v4, 32, v3
	v_mov_b32_e32 v3, v1
	v_subrev_nc_u32_e32 v5, 29, v4
	v_sub_nc_u32_e32 v4, 30, v4
	s_delay_alu instid0(VALU_DEP_2) | instskip(NEXT) | instid1(VALU_DEP_1)
	v_lshlrev_b64_e32 v[2:3], v5, v[2:3]
	v_and_b32_e32 v3, 3, v2
.LBB6_13345:                            ;   in Loop: Header=BB6_12942 Depth=2
	s_or_b32 exec_lo, exec_lo, s42
	v_lshlrev_b32_e32 v0, 16, v0
	s_delay_alu instid0(VALU_DEP_1) | instskip(NEXT) | instid1(VALU_DEP_1)
	v_and_b32_e32 v0, 0x80000000, v0
	v_lshl_add_u32 v0, v4, 23, v0
	s_delay_alu instid0(VALU_DEP_1) | instskip(NEXT) | instid1(VALU_DEP_1)
	v_lshl_or_b32 v0, v3, 21, v0
                                        ; implicit-def: $vgpr3
	v_add_nc_u32_e32 v4, 0x38000000, v0
.LBB6_13346:                            ;   in Loop: Header=BB6_12942 Depth=2
	s_and_not1_saveexec_b32 s41, s41
; %bb.13347:                            ;   in Loop: Header=BB6_12942 Depth=2
	v_cmp_lt_i16_e32 vcc_lo, -1, v0
	v_mov_b32_e32 v0, 0x7f800000
	s_delay_alu instid0(VALU_DEP_1) | instskip(SKIP_1) | instid1(VALU_DEP_2)
	v_cndmask_b32_e32 v0, 0xff800000, v0, vcc_lo
	v_cmp_eq_u32_e32 vcc_lo, 0, v3
	v_cndmask_b32_e32 v4, 0x7f800001, v0, vcc_lo
; %bb.13348:                            ;   in Loop: Header=BB6_12942 Depth=2
	s_or_b32 exec_lo, exec_lo, s41
.LBB6_13349:                            ;   in Loop: Header=BB6_12942 Depth=2
	s_delay_alu instid0(SALU_CYCLE_1)
	s_or_b32 exec_lo, exec_lo, s40
.LBB6_13350:                            ;   in Loop: Header=BB6_12942 Depth=2
	s_delay_alu instid0(SALU_CYCLE_1) | instskip(NEXT) | instid1(VALU_DEP_1)
	s_or_b32 exec_lo, exec_lo, s10
	v_dual_mul_f32 v2, s29, v4 :: v_dual_mov_b32 v5, v1
                                        ; implicit-def: $vgpr26
	s_mov_b32 s10, exec_lo
	s_delay_alu instid0(VALU_DEP_1) | instskip(SKIP_2) | instid1(VALU_DEP_3)
	v_and_b32_e32 v4, 0x7f800000, v2
	v_and_b32_e32 v0, 0x7fffff, v2
	v_lshrrev_b32_e32 v3, 24, v2
	v_cmpx_ne_u64_e32 0x7f800000, v[4:5]
	s_xor_b32 s40, exec_lo, s10
	s_cbranch_execz .LBB6_13364
; %bb.13351:                            ;   in Loop: Header=BB6_12942 Depth=2
	v_and_b32_e32 v4, 0x7fffffff, v2
	v_mov_b32_e32 v5, v1
	v_and_b32_e32 v10, 0x80, v3
                                        ; implicit-def: $vgpr26
	s_mov_b32 s10, exec_lo
	s_delay_alu instid0(VALU_DEP_2)
	v_cmpx_gt_u64_e32 0x47600001, v[4:5]
	s_xor_b32 s41, exec_lo, s10
	s_cbranch_execz .LBB6_13361
; %bb.13352:                            ;   in Loop: Header=BB6_12942 Depth=2
	v_mov_b32_e32 v26, 0
	s_mov_b32 s42, exec_lo
	v_cmpx_ne_u32_e32 0, v2
	s_cbranch_execz .LBB6_13360
; %bb.13353:                            ;   in Loop: Header=BB6_12942 Depth=2
	v_bfe_u32 v11, v2, 23, 8
	v_or_b32_e32 v4, 0x800000, v0
	s_mov_b32 s43, exec_lo
	s_delay_alu instid0(VALU_DEP_2) | instskip(SKIP_1) | instid1(VALU_DEP_2)
	v_dual_mov_b32 v5, v1 :: v_dual_sub_nc_u32 v2, 0x71, v11
	v_cmp_gt_u32_e32 vcc_lo, 0x72, v11
	v_cndmask_b32_e32 v2, 0, v2, vcc_lo
	v_cmp_eq_u32_e32 vcc_lo, 0, v11
	v_cndmask_b32_e32 v4, v4, v0, vcc_lo
	s_delay_alu instid0(VALU_DEP_3) | instskip(NEXT) | instid1(VALU_DEP_1)
	v_cndmask_b32_e64 v26, v2, 0x70, vcc_lo
	v_dual_add_nc_u32 v2, 21, v26 :: v_dual_add_nc_u32 v28, 20, v26
	s_delay_alu instid0(VALU_DEP_1) | instskip(NEXT) | instid1(VALU_DEP_2)
	v_lshlrev_b64_e64 v[2:3], v2, -1
	v_lshlrev_b64_e64 v[30:31], v28, 1
	s_delay_alu instid0(VALU_DEP_2) | instskip(NEXT) | instid1(VALU_DEP_3)
	v_bfi_b32 v39, v3, 0, 0
	v_bfi_b32 v38, v2, 0, v4
	v_lshrrev_b64 v[2:3], v26, v[4:5]
	s_delay_alu instid0(VALU_DEP_1) | instskip(NEXT) | instid1(VALU_DEP_3)
	v_mov_b64_e32 v[4:5], v[2:3]
	v_cmpx_eq_u64_e64 v[38:39], v[30:31]
; %bb.13354:                            ;   in Loop: Header=BB6_12942 Depth=2
	v_bfe_u32 v4, v2, 21, 1
	v_mov_b32_e32 v5, v1
	s_delay_alu instid0(VALU_DEP_1) | instskip(NEXT) | instid1(VALU_DEP_1)
	v_add_nc_u64_e32 v[4:5], v[2:3], v[4:5]
	v_add_nc_u64_e32 v[4:5], -1, v[4:5]
; %bb.13355:                            ;   in Loop: Header=BB6_12942 Depth=2
	s_or_b32 exec_lo, exec_lo, s43
	v_add_nc_u32_e32 v0, 0xffffff81, v11
	s_delay_alu instid0(VALU_DEP_2) | instskip(SKIP_2) | instid1(VALU_DEP_3)
	v_and_b32_e32 v4, 0x1fffff, v4
	v_lshrrev_b32_e32 v3, 23, v2
	s_mov_b32 s10, exec_lo
	v_cndmask_b32_e64 v0, v0, 0xffffff82, vcc_lo
	s_delay_alu instid0(VALU_DEP_1) | instskip(SKIP_1) | instid1(VALU_DEP_2)
	v_add3_u32 v5, v26, v0, v3
	v_add_nc_u32_e32 v0, v4, v2
                                        ; implicit-def: $vgpr2_vgpr3
                                        ; implicit-def: $vgpr4
	v_add_nc_u32_e32 v11, 14, v5
	s_delay_alu instid0(VALU_DEP_1)
	v_cmpx_ne_u32_e32 0, v11
	s_xor_b32 s10, exec_lo, s10
; %bb.13356:                            ;   in Loop: Header=BB6_12942 Depth=2
	s_delay_alu instid0(VALU_DEP_3) | instskip(SKIP_1) | instid1(VALU_DEP_1)
	v_cmp_lt_u64_e32 vcc_lo, 0xffffff, v[0:1]
	v_add_nc_u32_e32 v2, 15, v5
	v_cndmask_b32_e32 v4, v11, v2, vcc_lo
	v_cndmask_b32_e64 v2, 0, 1, vcc_lo
	s_delay_alu instid0(VALU_DEP_1)
	v_lshrrev_b64 v[2:3], v2, v[0:1]
; %bb.13357:                            ;   in Loop: Header=BB6_12942 Depth=2
	s_and_not1_saveexec_b32 s10, s10
; %bb.13358:                            ;   in Loop: Header=BB6_12942 Depth=2
	v_mov_b64_e32 v[2:3], v[0:1]
	v_bfe_u32 v4, v0, 23, 1
; %bb.13359:                            ;   in Loop: Header=BB6_12942 Depth=2
	s_or_b32 exec_lo, exec_lo, s10
	s_delay_alu instid0(VALU_DEP_2) | instskip(NEXT) | instid1(VALU_DEP_2)
	v_lshrrev_b64 v[2:3], 21, v[2:3]
	v_cmp_gt_i32_e32 vcc_lo, 32, v4
	v_min_i32_e32 v0, 31, v4
	v_cmp_eq_u32_e64 s10, 0, v4
	s_delay_alu instid0(VALU_DEP_2) | instskip(SKIP_1) | instid1(VALU_DEP_2)
	v_dual_cndmask_b32 v3, 0, v3 :: v_dual_lshlrev_b32 v0, 2, v0
	v_cndmask_b32_e32 v2, 3, v2, vcc_lo
	v_and_b32_e32 v0, 0xfc, v0
	s_delay_alu instid0(VALU_DEP_2) | instskip(NEXT) | instid1(VALU_DEP_2)
	v_cmp_eq_u64_e32 vcc_lo, 0, v[2:3]
	v_and_or_b32 v0, v2, 3, v0
	s_and_b32 s10, s10, vcc_lo
	s_delay_alu instid0(VALU_DEP_1) | instid1(SALU_CYCLE_1)
	v_cndmask_b32_e64 v0, v0, 0, s10
	s_delay_alu instid0(VALU_DEP_1)
	v_or_b32_e32 v26, v0, v10
.LBB6_13360:                            ;   in Loop: Header=BB6_12942 Depth=2
	s_or_b32 exec_lo, exec_lo, s42
                                        ; implicit-def: $vgpr10
.LBB6_13361:                            ;   in Loop: Header=BB6_12942 Depth=2
	s_and_not1_saveexec_b32 s10, s41
; %bb.13362:                            ;   in Loop: Header=BB6_12942 Depth=2
	v_or_b32_e32 v26, 0x7b, v10
; %bb.13363:                            ;   in Loop: Header=BB6_12942 Depth=2
	s_or_b32 exec_lo, exec_lo, s10
                                        ; implicit-def: $vgpr2
                                        ; implicit-def: $vgpr3
.LBB6_13364:                            ;   in Loop: Header=BB6_12942 Depth=2
	s_and_not1_saveexec_b32 s10, s40
	s_cbranch_execz .LBB6_13370
; %bb.13365:                            ;   in Loop: Header=BB6_12942 Depth=2
	s_mov_b32 s40, exec_lo
                                        ; implicit-def: $vgpr26
	v_cmpx_ne_u64_e32 0, v[0:1]
	s_xor_b32 s40, exec_lo, s40
; %bb.13366:                            ;   in Loop: Header=BB6_12942 Depth=2
	v_or_b32_e32 v26, 0x7f, v3
                                        ; implicit-def: $vgpr2
; %bb.13367:                            ;   in Loop: Header=BB6_12942 Depth=2
	s_and_not1_saveexec_b32 s40, s40
; %bb.13368:                            ;   in Loop: Header=BB6_12942 Depth=2
	v_cmp_lt_i32_e32 vcc_lo, -1, v2
	v_mov_b32_e32 v0, 0x7c
	s_delay_alu instid0(VALU_DEP_1)
	v_cndmask_b32_e32 v26, 0xfc, v0, vcc_lo
; %bb.13369:                            ;   in Loop: Header=BB6_12942 Depth=2
	s_or_b32 exec_lo, exec_lo, s40
.LBB6_13370:                            ;   in Loop: Header=BB6_12942 Depth=2
	s_delay_alu instid0(SALU_CYCLE_1) | instskip(SKIP_2) | instid1(VALU_DEP_1)
	s_or_b32 exec_lo, exec_lo, s10
	v_dual_lshrrev_b32 v0, 16, v13 :: v_dual_mov_b32 v2, 0
	s_mov_b32 s10, exec_lo
	v_and_b32_e32 v3, 0xff, v0
	s_delay_alu instid0(VALU_DEP_1)
	v_cmpx_ne_u16_e32 0, v3
	s_cbranch_execz .LBB6_13380
; %bb.13371:                            ;   in Loop: Header=BB6_12942 Depth=2
	v_bfrev_b32_e32 v2, 1
	s_mov_b32 s40, exec_lo
	v_cmpx_ne_u16_e32 0x80, v3
	s_cbranch_execz .LBB6_13379
; %bb.13372:                            ;   in Loop: Header=BB6_12942 Depth=2
	v_and_b32_e32 v2, 0x7c0000, v13
	v_bfe_u32 v3, v13, 16, 2
	s_delay_alu instid0(VALU_DEP_2) | instskip(SKIP_1) | instid1(SALU_CYCLE_1)
	v_cmp_ne_u32_e32 vcc_lo, 0x7c0000, v2
                                        ; implicit-def: $vgpr2
	s_and_saveexec_b32 s41, vcc_lo
	s_xor_b32 s41, exec_lo, s41
	s_cbranch_execz .LBB6_13376
; %bb.13373:                            ;   in Loop: Header=BB6_12942 Depth=2
	v_bfe_u32 v2, v13, 18, 5
	s_mov_b32 s42, exec_lo
	s_delay_alu instid0(VALU_DEP_1)
	v_cmpx_eq_u32_e32 0, v2
; %bb.13374:                            ;   in Loop: Header=BB6_12942 Depth=2
	v_clz_i32_u32_e32 v2, v3
	s_delay_alu instid0(VALU_DEP_1) | instskip(NEXT) | instid1(VALU_DEP_1)
	v_min_u32_e32 v2, 32, v2
	v_subrev_nc_u32_e32 v3, 29, v2
	s_delay_alu instid0(VALU_DEP_1) | instskip(NEXT) | instid1(VALU_DEP_1)
	v_lshlrev_b64_e32 v[4:5], v3, v[0:1]
	v_dual_sub_nc_u32 v2, 30, v2 :: v_dual_bitop2_b32 v3, 3, v4 bitop3:0x40
; %bb.13375:                            ;   in Loop: Header=BB6_12942 Depth=2
	s_or_b32 exec_lo, exec_lo, s42
	v_lshlrev_b32_e32 v0, 24, v0
	s_delay_alu instid0(VALU_DEP_1) | instskip(NEXT) | instid1(VALU_DEP_1)
	v_and_b32_e32 v0, 0x80000000, v0
	v_lshl_add_u32 v0, v2, 23, v0
	s_delay_alu instid0(VALU_DEP_1) | instskip(NEXT) | instid1(VALU_DEP_1)
	v_lshl_or_b32 v0, v3, 21, v0
                                        ; implicit-def: $vgpr3
	v_add_nc_u32_e32 v2, 0x38000000, v0
                                        ; implicit-def: $vgpr0
.LBB6_13376:                            ;   in Loop: Header=BB6_12942 Depth=2
	s_and_not1_saveexec_b32 s41, s41
; %bb.13377:                            ;   in Loop: Header=BB6_12942 Depth=2
	v_bfe_i32 v0, v0, 0, 8
	s_delay_alu instid0(VALU_DEP_1) | instskip(SKIP_1) | instid1(VALU_DEP_1)
	v_cmp_lt_i16_e32 vcc_lo, -1, v0
	v_mov_b32_e32 v0, 0x7f800000
	v_cndmask_b32_e32 v0, 0xff800000, v0, vcc_lo
	v_cmp_eq_u32_e32 vcc_lo, 0, v3
	s_delay_alu instid0(VALU_DEP_2)
	v_cndmask_b32_e32 v2, 0x7f800001, v0, vcc_lo
; %bb.13378:                            ;   in Loop: Header=BB6_12942 Depth=2
	s_or_b32 exec_lo, exec_lo, s41
.LBB6_13379:                            ;   in Loop: Header=BB6_12942 Depth=2
	s_delay_alu instid0(SALU_CYCLE_1)
	s_or_b32 exec_lo, exec_lo, s40
.LBB6_13380:                            ;   in Loop: Header=BB6_12942 Depth=2
	s_delay_alu instid0(SALU_CYCLE_1) | instskip(NEXT) | instid1(VALU_DEP_1)
	s_or_b32 exec_lo, exec_lo, s10
	v_dual_mul_f32 v2, s29, v2 :: v_dual_mov_b32 v5, v1
                                        ; implicit-def: $vgpr28
	s_mov_b32 s10, exec_lo
	s_delay_alu instid0(VALU_DEP_1) | instskip(SKIP_2) | instid1(VALU_DEP_3)
	v_and_b32_e32 v4, 0x7f800000, v2
	v_and_b32_e32 v0, 0x7fffff, v2
	v_lshrrev_b32_e32 v3, 24, v2
	v_cmpx_ne_u64_e32 0x7f800000, v[4:5]
	s_xor_b32 s40, exec_lo, s10
	s_cbranch_execz .LBB6_13394
; %bb.13381:                            ;   in Loop: Header=BB6_12942 Depth=2
	v_and_b32_e32 v4, 0x7fffffff, v2
	v_mov_b32_e32 v5, v1
	v_and_b32_e32 v10, 0x80, v3
                                        ; implicit-def: $vgpr28
	s_mov_b32 s10, exec_lo
	s_delay_alu instid0(VALU_DEP_2)
	v_cmpx_gt_u64_e32 0x47600001, v[4:5]
	s_xor_b32 s41, exec_lo, s10
	s_cbranch_execz .LBB6_13391
; %bb.13382:                            ;   in Loop: Header=BB6_12942 Depth=2
	v_mov_b32_e32 v28, 0
	s_mov_b32 s42, exec_lo
	v_cmpx_ne_u32_e32 0, v2
	s_cbranch_execz .LBB6_13390
; %bb.13383:                            ;   in Loop: Header=BB6_12942 Depth=2
	v_bfe_u32 v11, v2, 23, 8
	v_or_b32_e32 v4, 0x800000, v0
	s_mov_b32 s43, exec_lo
	s_delay_alu instid0(VALU_DEP_2) | instskip(SKIP_1) | instid1(VALU_DEP_2)
	v_dual_mov_b32 v5, v1 :: v_dual_sub_nc_u32 v2, 0x71, v11
	v_cmp_gt_u32_e32 vcc_lo, 0x72, v11
	v_cndmask_b32_e32 v2, 0, v2, vcc_lo
	v_cmp_eq_u32_e32 vcc_lo, 0, v11
	s_delay_alu instid0(VALU_DEP_2) | instskip(SKIP_1) | instid1(VALU_DEP_2)
	v_cndmask_b32_e64 v28, v2, 0x70, vcc_lo
	v_cndmask_b32_e32 v4, v4, v0, vcc_lo
	v_dual_add_nc_u32 v2, 21, v28 :: v_dual_add_nc_u32 v30, 20, v28
	s_delay_alu instid0(VALU_DEP_1) | instskip(NEXT) | instid1(VALU_DEP_2)
	v_lshlrev_b64_e64 v[2:3], v2, -1
	v_lshlrev_b64_e64 v[30:31], v30, 1
	s_delay_alu instid0(VALU_DEP_2) | instskip(NEXT) | instid1(VALU_DEP_3)
	v_bfi_b32 v39, v3, 0, 0
	v_bfi_b32 v38, v2, 0, v4
	v_lshrrev_b64 v[2:3], v28, v[4:5]
	s_delay_alu instid0(VALU_DEP_1) | instskip(NEXT) | instid1(VALU_DEP_3)
	v_mov_b64_e32 v[4:5], v[2:3]
	v_cmpx_eq_u64_e64 v[38:39], v[30:31]
; %bb.13384:                            ;   in Loop: Header=BB6_12942 Depth=2
	v_bfe_u32 v4, v2, 21, 1
	v_mov_b32_e32 v5, v1
	s_delay_alu instid0(VALU_DEP_1) | instskip(NEXT) | instid1(VALU_DEP_1)
	v_add_nc_u64_e32 v[4:5], v[2:3], v[4:5]
	v_add_nc_u64_e32 v[4:5], -1, v[4:5]
; %bb.13385:                            ;   in Loop: Header=BB6_12942 Depth=2
	s_or_b32 exec_lo, exec_lo, s43
	v_add_nc_u32_e32 v0, 0xffffff81, v11
	s_delay_alu instid0(VALU_DEP_2) | instskip(SKIP_2) | instid1(VALU_DEP_3)
	v_and_b32_e32 v4, 0x1fffff, v4
	v_lshrrev_b32_e32 v3, 23, v2
	s_mov_b32 s10, exec_lo
	v_cndmask_b32_e64 v0, v0, 0xffffff82, vcc_lo
	s_delay_alu instid0(VALU_DEP_1) | instskip(SKIP_1) | instid1(VALU_DEP_2)
	v_add3_u32 v5, v28, v0, v3
	v_add_nc_u32_e32 v0, v4, v2
                                        ; implicit-def: $vgpr2_vgpr3
                                        ; implicit-def: $vgpr4
	v_add_nc_u32_e32 v11, 14, v5
	s_delay_alu instid0(VALU_DEP_1)
	v_cmpx_ne_u32_e32 0, v11
	s_xor_b32 s10, exec_lo, s10
; %bb.13386:                            ;   in Loop: Header=BB6_12942 Depth=2
	s_delay_alu instid0(VALU_DEP_3) | instskip(SKIP_1) | instid1(VALU_DEP_1)
	v_cmp_lt_u64_e32 vcc_lo, 0xffffff, v[0:1]
	v_add_nc_u32_e32 v2, 15, v5
	v_cndmask_b32_e32 v4, v11, v2, vcc_lo
	v_cndmask_b32_e64 v2, 0, 1, vcc_lo
	s_delay_alu instid0(VALU_DEP_1)
	v_lshrrev_b64 v[2:3], v2, v[0:1]
; %bb.13387:                            ;   in Loop: Header=BB6_12942 Depth=2
	s_and_not1_saveexec_b32 s10, s10
; %bb.13388:                            ;   in Loop: Header=BB6_12942 Depth=2
	v_mov_b64_e32 v[2:3], v[0:1]
	v_bfe_u32 v4, v0, 23, 1
; %bb.13389:                            ;   in Loop: Header=BB6_12942 Depth=2
	s_or_b32 exec_lo, exec_lo, s10
	s_delay_alu instid0(VALU_DEP_2) | instskip(NEXT) | instid1(VALU_DEP_2)
	v_lshrrev_b64 v[2:3], 21, v[2:3]
	v_cmp_gt_i32_e32 vcc_lo, 32, v4
	v_min_i32_e32 v0, 31, v4
	v_cmp_eq_u32_e64 s10, 0, v4
	s_delay_alu instid0(VALU_DEP_2) | instskip(SKIP_1) | instid1(VALU_DEP_2)
	v_dual_cndmask_b32 v3, 0, v3 :: v_dual_lshlrev_b32 v0, 2, v0
	v_cndmask_b32_e32 v2, 3, v2, vcc_lo
	v_and_b32_e32 v0, 0xfc, v0
	s_delay_alu instid0(VALU_DEP_2) | instskip(NEXT) | instid1(VALU_DEP_2)
	v_cmp_eq_u64_e32 vcc_lo, 0, v[2:3]
	v_and_or_b32 v0, v2, 3, v0
	s_and_b32 s10, s10, vcc_lo
	s_delay_alu instid0(VALU_DEP_1) | instid1(SALU_CYCLE_1)
	v_cndmask_b32_e64 v0, v0, 0, s10
	s_delay_alu instid0(VALU_DEP_1)
	v_or_b32_e32 v28, v0, v10
.LBB6_13390:                            ;   in Loop: Header=BB6_12942 Depth=2
	s_or_b32 exec_lo, exec_lo, s42
                                        ; implicit-def: $vgpr10
.LBB6_13391:                            ;   in Loop: Header=BB6_12942 Depth=2
	s_and_not1_saveexec_b32 s10, s41
; %bb.13392:                            ;   in Loop: Header=BB6_12942 Depth=2
	v_or_b32_e32 v28, 0x7b, v10
; %bb.13393:                            ;   in Loop: Header=BB6_12942 Depth=2
	s_or_b32 exec_lo, exec_lo, s10
                                        ; implicit-def: $vgpr2
                                        ; implicit-def: $vgpr3
.LBB6_13394:                            ;   in Loop: Header=BB6_12942 Depth=2
	s_and_not1_saveexec_b32 s10, s40
	s_cbranch_execz .LBB6_13400
; %bb.13395:                            ;   in Loop: Header=BB6_12942 Depth=2
	s_mov_b32 s40, exec_lo
                                        ; implicit-def: $vgpr28
	v_cmpx_ne_u64_e32 0, v[0:1]
	s_xor_b32 s40, exec_lo, s40
; %bb.13396:                            ;   in Loop: Header=BB6_12942 Depth=2
	v_or_b32_e32 v28, 0x7f, v3
                                        ; implicit-def: $vgpr2
; %bb.13397:                            ;   in Loop: Header=BB6_12942 Depth=2
	s_and_not1_saveexec_b32 s40, s40
; %bb.13398:                            ;   in Loop: Header=BB6_12942 Depth=2
	v_cmp_lt_i32_e32 vcc_lo, -1, v2
	v_mov_b32_e32 v0, 0x7c
	s_delay_alu instid0(VALU_DEP_1)
	v_cndmask_b32_e32 v28, 0xfc, v0, vcc_lo
; %bb.13399:                            ;   in Loop: Header=BB6_12942 Depth=2
	s_or_b32 exec_lo, exec_lo, s40
.LBB6_13400:                            ;   in Loop: Header=BB6_12942 Depth=2
	s_delay_alu instid0(SALU_CYCLE_1)
	s_or_b32 exec_lo, exec_lo, s10
	v_mov_b32_e32 v2, 0
	s_mov_b32 s10, exec_lo
	v_cmpx_lt_u64_e64 s[12:13], v[12:13]
	s_cbranch_execz .LBB6_13410
; %bb.13401:                            ;   in Loop: Header=BB6_12942 Depth=2
	v_lshrrev_b32_e32 v0, 24, v13
	v_bfrev_b32_e32 v2, 1
	s_mov_b32 s40, exec_lo
	s_delay_alu instid0(VALU_DEP_2)
	v_cmpx_ne_u32_e32 0x80, v0
	s_cbranch_execz .LBB6_13409
; %bb.13402:                            ;   in Loop: Header=BB6_12942 Depth=2
	v_and_b32_e32 v2, 0x7c000000, v13
	v_bfe_u32 v3, v13, 24, 2
	s_delay_alu instid0(VALU_DEP_2) | instskip(SKIP_1) | instid1(SALU_CYCLE_1)
	v_cmp_ne_u32_e32 vcc_lo, 0x7c000000, v2
                                        ; implicit-def: $vgpr2
	s_and_saveexec_b32 s41, vcc_lo
	s_xor_b32 s41, exec_lo, s41
	s_cbranch_execz .LBB6_13406
; %bb.13403:                            ;   in Loop: Header=BB6_12942 Depth=2
	v_bfe_u32 v2, v13, 26, 5
	s_mov_b32 s42, exec_lo
	s_delay_alu instid0(VALU_DEP_1)
	v_cmpx_eq_u32_e32 0, v2
; %bb.13404:                            ;   in Loop: Header=BB6_12942 Depth=2
	v_clz_i32_u32_e32 v2, v3
	s_delay_alu instid0(VALU_DEP_1) | instskip(NEXT) | instid1(VALU_DEP_1)
	v_min_u32_e32 v2, 32, v2
	v_subrev_nc_u32_e32 v3, 29, v2
	s_delay_alu instid0(VALU_DEP_1) | instskip(NEXT) | instid1(VALU_DEP_1)
	v_lshlrev_b64_e32 v[4:5], v3, v[0:1]
	v_dual_sub_nc_u32 v2, 30, v2 :: v_dual_bitop2_b32 v3, 3, v4 bitop3:0x40
; %bb.13405:                            ;   in Loop: Header=BB6_12942 Depth=2
	s_or_b32 exec_lo, exec_lo, s42
	v_and_b32_e32 v0, 0x80000000, v13
                                        ; implicit-def: $vgpr12_vgpr13
	s_delay_alu instid0(VALU_DEP_1) | instskip(NEXT) | instid1(VALU_DEP_1)
	v_lshl_add_u32 v0, v2, 23, v0
	v_lshl_or_b32 v0, v3, 21, v0
                                        ; implicit-def: $vgpr3
	s_delay_alu instid0(VALU_DEP_1)
	v_add_nc_u32_e32 v2, 0x38000000, v0
.LBB6_13406:                            ;   in Loop: Header=BB6_12942 Depth=2
	s_and_not1_saveexec_b32 s41, s41
; %bb.13407:                            ;   in Loop: Header=BB6_12942 Depth=2
	v_cmp_lt_i64_e32 vcc_lo, -1, v[12:13]
	v_mov_b32_e32 v0, 0x7f800000
	s_delay_alu instid0(VALU_DEP_1) | instskip(SKIP_1) | instid1(VALU_DEP_2)
	v_cndmask_b32_e32 v0, 0xff800000, v0, vcc_lo
	v_cmp_eq_u32_e32 vcc_lo, 0, v3
	v_cndmask_b32_e32 v2, 0x7f800001, v0, vcc_lo
; %bb.13408:                            ;   in Loop: Header=BB6_12942 Depth=2
	s_or_b32 exec_lo, exec_lo, s41
.LBB6_13409:                            ;   in Loop: Header=BB6_12942 Depth=2
	s_delay_alu instid0(SALU_CYCLE_1)
	s_or_b32 exec_lo, exec_lo, s40
.LBB6_13410:                            ;   in Loop: Header=BB6_12942 Depth=2
	s_delay_alu instid0(SALU_CYCLE_1) | instskip(NEXT) | instid1(VALU_DEP_1)
	s_or_b32 exec_lo, exec_lo, s10
	v_dual_mul_f32 v2, s29, v2 :: v_dual_mov_b32 v5, v1
                                        ; implicit-def: $vgpr31
	s_mov_b32 s10, exec_lo
	s_delay_alu instid0(VALU_DEP_1) | instskip(SKIP_2) | instid1(VALU_DEP_3)
	v_and_b32_e32 v4, 0x7f800000, v2
	v_and_b32_e32 v0, 0x7fffff, v2
	v_lshrrev_b32_e32 v3, 24, v2
	v_cmpx_ne_u64_e32 0x7f800000, v[4:5]
	s_xor_b32 s29, exec_lo, s10
	s_cbranch_execz .LBB6_13424
; %bb.13411:                            ;   in Loop: Header=BB6_12942 Depth=2
	v_and_b32_e32 v4, 0x7fffffff, v2
	v_mov_b32_e32 v5, v1
	v_and_b32_e32 v10, 0x80, v3
                                        ; implicit-def: $vgpr31
	s_mov_b32 s10, exec_lo
	s_delay_alu instid0(VALU_DEP_2)
	v_cmpx_gt_u64_e32 0x47600001, v[4:5]
	s_xor_b32 s40, exec_lo, s10
	s_cbranch_execz .LBB6_13421
; %bb.13412:                            ;   in Loop: Header=BB6_12942 Depth=2
	v_mov_b32_e32 v31, 0
	s_mov_b32 s41, exec_lo
	v_cmpx_ne_u32_e32 0, v2
	s_cbranch_execz .LBB6_13420
; %bb.13413:                            ;   in Loop: Header=BB6_12942 Depth=2
	v_bfe_u32 v11, v2, 23, 8
	v_or_b32_e32 v4, 0x800000, v0
	s_mov_b32 s42, exec_lo
	s_delay_alu instid0(VALU_DEP_2) | instskip(SKIP_1) | instid1(VALU_DEP_2)
	v_dual_mov_b32 v5, v1 :: v_dual_sub_nc_u32 v2, 0x71, v11
	v_cmp_gt_u32_e32 vcc_lo, 0x72, v11
	v_cndmask_b32_e32 v2, 0, v2, vcc_lo
	v_cmp_eq_u32_e32 vcc_lo, 0, v11
	s_delay_alu instid0(VALU_DEP_2) | instskip(SKIP_1) | instid1(VALU_DEP_2)
	v_cndmask_b32_e64 v12, v2, 0x70, vcc_lo
	v_cndmask_b32_e32 v4, v4, v0, vcc_lo
	v_dual_add_nc_u32 v2, 21, v12 :: v_dual_add_nc_u32 v13, 20, v12
	s_delay_alu instid0(VALU_DEP_1) | instskip(NEXT) | instid1(VALU_DEP_2)
	v_lshlrev_b64_e64 v[2:3], v2, -1
	v_lshlrev_b64_e64 v[30:31], v13, 1
	s_delay_alu instid0(VALU_DEP_2) | instskip(NEXT) | instid1(VALU_DEP_3)
	v_bfi_b32 v39, v3, 0, 0
	v_bfi_b32 v38, v2, 0, v4
	v_lshrrev_b64 v[2:3], v12, v[4:5]
	s_delay_alu instid0(VALU_DEP_1) | instskip(NEXT) | instid1(VALU_DEP_3)
	v_mov_b64_e32 v[4:5], v[2:3]
	v_cmpx_eq_u64_e64 v[38:39], v[30:31]
; %bb.13414:                            ;   in Loop: Header=BB6_12942 Depth=2
	v_bfe_u32 v4, v2, 21, 1
	v_mov_b32_e32 v5, v1
	s_delay_alu instid0(VALU_DEP_1) | instskip(NEXT) | instid1(VALU_DEP_1)
	v_add_nc_u64_e32 v[4:5], v[2:3], v[4:5]
	v_add_nc_u64_e32 v[4:5], -1, v[4:5]
; %bb.13415:                            ;   in Loop: Header=BB6_12942 Depth=2
	s_or_b32 exec_lo, exec_lo, s42
	v_add_nc_u32_e32 v0, 0xffffff81, v11
	s_delay_alu instid0(VALU_DEP_2) | instskip(SKIP_2) | instid1(VALU_DEP_3)
	v_and_b32_e32 v4, 0x1fffff, v4
	v_lshrrev_b32_e32 v3, 23, v2
	s_mov_b32 s10, exec_lo
	v_cndmask_b32_e64 v0, v0, 0xffffff82, vcc_lo
	s_delay_alu instid0(VALU_DEP_1) | instskip(SKIP_1) | instid1(VALU_DEP_2)
	v_add3_u32 v5, v12, v0, v3
	v_add_nc_u32_e32 v0, v4, v2
                                        ; implicit-def: $vgpr2_vgpr3
                                        ; implicit-def: $vgpr4
	v_add_nc_u32_e32 v11, 14, v5
	s_delay_alu instid0(VALU_DEP_1)
	v_cmpx_ne_u32_e32 0, v11
	s_xor_b32 s10, exec_lo, s10
; %bb.13416:                            ;   in Loop: Header=BB6_12942 Depth=2
	s_delay_alu instid0(VALU_DEP_3) | instskip(SKIP_1) | instid1(VALU_DEP_1)
	v_cmp_lt_u64_e32 vcc_lo, 0xffffff, v[0:1]
	v_add_nc_u32_e32 v2, 15, v5
	v_cndmask_b32_e32 v4, v11, v2, vcc_lo
	v_cndmask_b32_e64 v2, 0, 1, vcc_lo
	s_delay_alu instid0(VALU_DEP_1)
	v_lshrrev_b64 v[2:3], v2, v[0:1]
; %bb.13417:                            ;   in Loop: Header=BB6_12942 Depth=2
	s_and_not1_saveexec_b32 s10, s10
; %bb.13418:                            ;   in Loop: Header=BB6_12942 Depth=2
	v_mov_b64_e32 v[2:3], v[0:1]
	v_bfe_u32 v4, v0, 23, 1
; %bb.13419:                            ;   in Loop: Header=BB6_12942 Depth=2
	s_or_b32 exec_lo, exec_lo, s10
	s_delay_alu instid0(VALU_DEP_2) | instskip(NEXT) | instid1(VALU_DEP_2)
	v_lshrrev_b64 v[2:3], 21, v[2:3]
	v_cmp_gt_i32_e32 vcc_lo, 32, v4
	v_min_i32_e32 v0, 31, v4
	v_cmp_eq_u32_e64 s10, 0, v4
	s_delay_alu instid0(VALU_DEP_2) | instskip(SKIP_1) | instid1(VALU_DEP_2)
	v_dual_cndmask_b32 v3, 0, v3 :: v_dual_lshlrev_b32 v0, 2, v0
	v_cndmask_b32_e32 v2, 3, v2, vcc_lo
	v_and_b32_e32 v0, 0xfc, v0
	s_delay_alu instid0(VALU_DEP_2) | instskip(NEXT) | instid1(VALU_DEP_2)
	v_cmp_eq_u64_e32 vcc_lo, 0, v[2:3]
	v_and_or_b32 v0, v2, 3, v0
	s_and_b32 s10, s10, vcc_lo
	s_delay_alu instid0(VALU_DEP_1) | instid1(SALU_CYCLE_1)
	v_cndmask_b32_e64 v0, v0, 0, s10
	s_delay_alu instid0(VALU_DEP_1)
	v_or_b32_e32 v31, v0, v10
.LBB6_13420:                            ;   in Loop: Header=BB6_12942 Depth=2
	s_or_b32 exec_lo, exec_lo, s41
                                        ; implicit-def: $vgpr10
.LBB6_13421:                            ;   in Loop: Header=BB6_12942 Depth=2
	s_and_not1_saveexec_b32 s10, s40
; %bb.13422:                            ;   in Loop: Header=BB6_12942 Depth=2
	v_or_b32_e32 v31, 0x7b, v10
; %bb.13423:                            ;   in Loop: Header=BB6_12942 Depth=2
	s_or_b32 exec_lo, exec_lo, s10
                                        ; implicit-def: $vgpr2
                                        ; implicit-def: $vgpr3
.LBB6_13424:                            ;   in Loop: Header=BB6_12942 Depth=2
	s_and_not1_saveexec_b32 s10, s29
	s_cbranch_execz .LBB6_13430
; %bb.13425:                            ;   in Loop: Header=BB6_12942 Depth=2
	s_mov_b32 s29, exec_lo
                                        ; implicit-def: $vgpr31
	v_cmpx_ne_u64_e32 0, v[0:1]
	s_xor_b32 s29, exec_lo, s29
; %bb.13426:                            ;   in Loop: Header=BB6_12942 Depth=2
	v_or_b32_e32 v31, 0x7f, v3
                                        ; implicit-def: $vgpr2
; %bb.13427:                            ;   in Loop: Header=BB6_12942 Depth=2
	s_and_not1_saveexec_b32 s29, s29
; %bb.13428:                            ;   in Loop: Header=BB6_12942 Depth=2
	v_cmp_lt_i32_e32 vcc_lo, -1, v2
	v_mov_b32_e32 v0, 0x7c
	s_delay_alu instid0(VALU_DEP_1)
	v_cndmask_b32_e32 v31, 0xfc, v0, vcc_lo
; %bb.13429:                            ;   in Loop: Header=BB6_12942 Depth=2
	s_or_b32 exec_lo, exec_lo, s29
.LBB6_13430:                            ;   in Loop: Header=BB6_12942 Depth=2
	s_delay_alu instid0(SALU_CYCLE_1) | instskip(SKIP_4) | instid1(VALU_DEP_1)
	s_or_b32 exec_lo, exec_lo, s10
	global_load_b128 v[10:13], v[18:19], off th:TH_LOAD_NT
	v_lshl_or_b32 v30, v22, 8, v7
	v_dual_lshlrev_b32 v0, 16, v24 :: v_dual_lshlrev_b32 v2, 24, v27
	s_mov_b32 s10, exec_lo
	v_or3_b32 v0, v0, v2, v30
	v_mov_b32_e32 v2, 0
	s_wait_xcnt 0x0
	v_cmpx_ne_u32_e32 0, v7
	s_cbranch_execz .LBB6_13440
; %bb.13431:                            ;   in Loop: Header=BB6_12942 Depth=2
	v_bfrev_b32_e32 v2, 1
	s_mov_b32 s29, exec_lo
	v_cmpx_ne_u32_e32 0x80, v7
	s_cbranch_execz .LBB6_13439
; %bb.13432:                            ;   in Loop: Header=BB6_12942 Depth=2
	v_and_b32_e32 v2, 0x7c, v7
	v_and_b32_e32 v3, 3, v7
	s_delay_alu instid0(VALU_DEP_2) | instskip(SKIP_1) | instid1(SALU_CYCLE_1)
	v_cmp_ne_u32_e32 vcc_lo, 0x7c, v2
                                        ; implicit-def: $vgpr2
	s_and_saveexec_b32 s40, vcc_lo
	s_xor_b32 s40, exec_lo, s40
	s_cbranch_execz .LBB6_13436
; %bb.13433:                            ;   in Loop: Header=BB6_12942 Depth=2
	v_bfe_u32 v2, v7, 2, 5
	s_mov_b32 s41, exec_lo
	s_delay_alu instid0(VALU_DEP_1)
	v_cmpx_eq_u32_e32 0, v2
; %bb.13434:                            ;   in Loop: Header=BB6_12942 Depth=2
	v_clz_i32_u32_e32 v2, v3
	s_delay_alu instid0(VALU_DEP_1) | instskip(NEXT) | instid1(VALU_DEP_1)
	v_min_u32_e32 v2, 32, v2
	v_subrev_nc_u32_e32 v3, 29, v2
	s_delay_alu instid0(VALU_DEP_1) | instskip(NEXT) | instid1(VALU_DEP_1)
	v_lshlrev_b64_e32 v[4:5], v3, v[0:1]
	v_dual_sub_nc_u32 v2, 30, v2 :: v_dual_bitop2_b32 v3, 3, v4 bitop3:0x40
; %bb.13435:                            ;   in Loop: Header=BB6_12942 Depth=2
	s_or_b32 exec_lo, exec_lo, s41
	v_lshlrev_b32_e32 v4, 24, v7
                                        ; implicit-def: $vgpr7
	s_delay_alu instid0(VALU_DEP_1) | instskip(NEXT) | instid1(VALU_DEP_1)
	v_and_b32_e32 v4, 0x80000000, v4
	v_lshl_add_u32 v2, v2, 23, v4
	s_delay_alu instid0(VALU_DEP_1) | instskip(NEXT) | instid1(VALU_DEP_1)
	v_lshl_or_b32 v2, v3, 21, v2
                                        ; implicit-def: $vgpr3
	v_add_nc_u32_e32 v2, 0x38000000, v2
.LBB6_13436:                            ;   in Loop: Header=BB6_12942 Depth=2
	s_and_not1_saveexec_b32 s40, s40
; %bb.13437:                            ;   in Loop: Header=BB6_12942 Depth=2
	v_and_b32_e32 v2, 0x80, v7
	s_delay_alu instid0(VALU_DEP_1) | instskip(SKIP_1) | instid1(VALU_DEP_1)
	v_cmp_eq_u32_e32 vcc_lo, 0, v2
	v_mov_b32_e32 v2, 0x7f800000
	v_cndmask_b32_e32 v2, 0xff800000, v2, vcc_lo
	v_cmp_eq_u32_e32 vcc_lo, 0, v3
	s_delay_alu instid0(VALU_DEP_2)
	v_cndmask_b32_e32 v2, 0x7f800001, v2, vcc_lo
; %bb.13438:                            ;   in Loop: Header=BB6_12942 Depth=2
	s_or_b32 exec_lo, exec_lo, s40
.LBB6_13439:                            ;   in Loop: Header=BB6_12942 Depth=2
	s_delay_alu instid0(SALU_CYCLE_1)
	s_or_b32 exec_lo, exec_lo, s29
.LBB6_13440:                            ;   in Loop: Header=BB6_12942 Depth=2
	s_delay_alu instid0(SALU_CYCLE_1) | instskip(SKIP_4) | instid1(VALU_DEP_1)
	s_or_b32 exec_lo, exec_lo, s10
	s_wait_loadcnt 0x0
	v_and_b32_e32 v4, 0xff, v10
	s_mov_b32 s29, 0
	s_mov_b32 s10, exec_lo
	v_cmpx_lt_i16_e32 0x7f, v4
	s_xor_b32 s10, exec_lo, s10
	s_cbranch_execnz .LBB6_13957
; %bb.13441:                            ;   in Loop: Header=BB6_12942 Depth=2
	s_or_saveexec_b32 s10, s10
	v_bfrev_b32_e32 v3, 1
	s_xor_b32 exec_lo, exec_lo, s10
	s_cbranch_execnz .LBB6_13960
.LBB6_13442:                            ;   in Loop: Header=BB6_12942 Depth=2
	s_or_b32 exec_lo, exec_lo, s10
	s_and_saveexec_b32 s10, s29
	s_cbranch_execz .LBB6_13444
.LBB6_13443:                            ;   in Loop: Header=BB6_12942 Depth=2
	v_and_b32_e32 v3, 3, v10
	v_bfe_u32 v22, v10, 2, 5
	s_delay_alu instid0(VALU_DEP_2) | instskip(NEXT) | instid1(VALU_DEP_2)
	v_clz_i32_u32_e32 v4, v3
	v_cmp_eq_u32_e32 vcc_lo, 0, v22
	s_delay_alu instid0(VALU_DEP_2) | instskip(NEXT) | instid1(VALU_DEP_1)
	v_min_u32_e32 v7, 32, v4
	v_subrev_nc_u32_e32 v4, 29, v7
	s_delay_alu instid0(VALU_DEP_1) | instskip(SKIP_1) | instid1(VALU_DEP_1)
	v_lshlrev_b64_e32 v[4:5], v4, v[10:11]
	v_dual_lshlrev_b32 v5, 24, v10 :: v_dual_sub_nc_u32 v7, 30, v7
	v_and_b32_e32 v5, 0x80000000, v5
	s_delay_alu instid0(VALU_DEP_2) | instskip(SKIP_1) | instid1(VALU_DEP_2)
	v_dual_cndmask_b32 v7, v22, v7, vcc_lo :: v_dual_bitop2_b32 v4, 3, v4 bitop3:0x40
	v_bfe_i32 v22, v10, 0, 8
	v_cndmask_b32_e32 v4, v3, v4, vcc_lo
	s_delay_alu instid0(VALU_DEP_3) | instskip(NEXT) | instid1(VALU_DEP_3)
	v_lshl_add_u32 v5, v7, 23, v5
	v_cmp_lt_i16_e32 vcc_lo, -1, v22
	v_mov_b32_e32 v7, 0x7f800000
	s_delay_alu instid0(VALU_DEP_3) | instskip(SKIP_1) | instid1(VALU_DEP_3)
	v_lshl_or_b32 v4, v4, 21, v5
	v_and_b32_e32 v5, 0x7c, v10
	v_cndmask_b32_e32 v7, 0xff800000, v7, vcc_lo
	v_cmp_eq_u32_e32 vcc_lo, 0, v3
	s_delay_alu instid0(VALU_DEP_4) | instskip(NEXT) | instid1(VALU_DEP_3)
	v_add_nc_u32_e32 v4, 0x38000000, v4
	v_cndmask_b32_e32 v3, 0x7f800001, v7, vcc_lo
	v_cmp_eq_u32_e32 vcc_lo, 0x7c, v5
	s_delay_alu instid0(VALU_DEP_2)
	v_cndmask_b32_e32 v3, v4, v3, vcc_lo
.LBB6_13444:                            ;   in Loop: Header=BB6_12942 Depth=2
	s_or_b32 exec_lo, exec_lo, s10
	s_delay_alu instid0(VALU_DEP_1) | instskip(SKIP_2) | instid1(VALU_DEP_2)
	v_dual_add_f32 v4, v2, v3 :: v_dual_mov_b32 v39, v1
	v_mov_b32_e32 v3, v1
                                        ; implicit-def: $vgpr22
	s_mov_b32 s10, exec_lo
	v_and_b32_e32 v38, 0x7f800000, v4
	v_and_b32_e32 v2, 0x7fffff, v4
	v_lshrrev_b32_e32 v5, 24, v4
	s_delay_alu instid0(VALU_DEP_3)
	v_cmpx_ne_u64_e32 0x7f800000, v[38:39]
	s_xor_b32 s29, exec_lo, s10
	s_cbranch_execz .LBB6_13458
; %bb.13445:                            ;   in Loop: Header=BB6_12942 Depth=2
	v_and_b32_e32 v38, 0x7fffffff, v4
	v_mov_b32_e32 v39, v1
	v_and_b32_e32 v7, 0x80, v5
                                        ; implicit-def: $vgpr22
	s_mov_b32 s10, exec_lo
	s_delay_alu instid0(VALU_DEP_2)
	v_cmpx_gt_u64_e32 0x47600001, v[38:39]
	s_xor_b32 s40, exec_lo, s10
	s_cbranch_execz .LBB6_13455
; %bb.13446:                            ;   in Loop: Header=BB6_12942 Depth=2
	v_mov_b32_e32 v22, 0
	s_mov_b32 s41, exec_lo
	v_cmpx_ne_u32_e32 0, v4
	s_cbranch_execz .LBB6_13454
; %bb.13447:                            ;   in Loop: Header=BB6_12942 Depth=2
	v_bfe_u32 v22, v4, 23, 8
	v_or_b32_e32 v27, 0x800000, v2
	s_delay_alu instid0(VALU_DEP_2) | instskip(SKIP_1) | instid1(VALU_DEP_2)
	v_sub_nc_u32_e32 v4, 0x71, v22
	v_cmp_gt_u32_e32 vcc_lo, 0x72, v22
	v_cndmask_b32_e32 v4, 0, v4, vcc_lo
	v_cmp_eq_u32_e32 vcc_lo, 0, v22
	v_cndmask_b32_e32 v2, v27, v2, vcc_lo
	s_delay_alu instid0(VALU_DEP_3) | instskip(NEXT) | instid1(VALU_DEP_1)
	v_cndmask_b32_e64 v24, v4, 0x70, vcc_lo
	v_dual_add_nc_u32 v4, 21, v24 :: v_dual_add_nc_u32 v37, 20, v24
	s_delay_alu instid0(VALU_DEP_1) | instskip(NEXT) | instid1(VALU_DEP_2)
	v_lshlrev_b64_e64 v[4:5], v4, -1
	v_lshlrev_b64_e64 v[38:39], v37, 1
	s_delay_alu instid0(VALU_DEP_2) | instskip(SKIP_1) | instid1(VALU_DEP_4)
	v_bfi_b32 v4, v4, 0, v2
	v_lshrrev_b64 v[2:3], v24, v[2:3]
	v_bfi_b32 v5, v5, 0, 0
	s_delay_alu instid0(VALU_DEP_1) | instskip(NEXT) | instid1(VALU_DEP_3)
	v_cmp_eq_u64_e64 s10, v[4:5], v[38:39]
	v_mov_b64_e32 v[4:5], v[2:3]
	s_and_saveexec_b32 s42, s10
; %bb.13448:                            ;   in Loop: Header=BB6_12942 Depth=2
	v_bfe_u32 v4, v2, 21, 1
	v_mov_b32_e32 v5, v1
	s_delay_alu instid0(VALU_DEP_1) | instskip(NEXT) | instid1(VALU_DEP_1)
	v_add_nc_u64_e32 v[4:5], v[2:3], v[4:5]
	v_add_nc_u64_e32 v[4:5], -1, v[4:5]
; %bb.13449:                            ;   in Loop: Header=BB6_12942 Depth=2
	s_or_b32 exec_lo, exec_lo, s42
	v_add_nc_u32_e32 v3, 0xffffff81, v22
	v_lshrrev_b32_e32 v5, 23, v2
	s_mov_b32 s10, exec_lo
	s_delay_alu instid0(VALU_DEP_2) | instskip(NEXT) | instid1(VALU_DEP_1)
	v_cndmask_b32_e64 v3, v3, 0xffffff82, vcc_lo
	v_add3_u32 v5, v24, v3, v5
	v_and_b32_e32 v3, 0x1fffff, v4
                                        ; implicit-def: $vgpr4
	s_delay_alu instid0(VALU_DEP_1) | instskip(SKIP_1) | instid1(VALU_DEP_2)
	v_dual_add_nc_u32 v22, 14, v5 :: v_dual_add_nc_u32 v2, v3, v2
	v_mov_b32_e32 v3, v1
	v_cmpx_ne_u32_e32 0, v22
	s_xor_b32 s10, exec_lo, s10
; %bb.13450:                            ;   in Loop: Header=BB6_12942 Depth=2
	s_delay_alu instid0(VALU_DEP_2) | instskip(SKIP_2) | instid1(VALU_DEP_2)
	v_cmp_lt_u64_e32 vcc_lo, 0xffffff, v[2:3]
	v_add_nc_u32_e32 v4, 15, v5
	v_cndmask_b32_e64 v5, 0, 1, vcc_lo
	v_cndmask_b32_e32 v4, v22, v4, vcc_lo
	s_delay_alu instid0(VALU_DEP_2)
	v_lshrrev_b64 v[2:3], v5, v[2:3]
; %bb.13451:                            ;   in Loop: Header=BB6_12942 Depth=2
	s_and_not1_saveexec_b32 s10, s10
; %bb.13452:                            ;   in Loop: Header=BB6_12942 Depth=2
	s_delay_alu instid0(VALU_DEP_1)
	v_bfe_u32 v4, v2, 23, 1
; %bb.13453:                            ;   in Loop: Header=BB6_12942 Depth=2
	s_or_b32 exec_lo, exec_lo, s10
	s_delay_alu instid0(VALU_DEP_2) | instskip(NEXT) | instid1(VALU_DEP_2)
	v_lshrrev_b64 v[2:3], 21, v[2:3]
	v_cmp_gt_i32_e32 vcc_lo, 32, v4
	v_min_i32_e32 v5, 31, v4
	v_cmp_eq_u32_e64 s10, 0, v4
	s_delay_alu instid0(VALU_DEP_2) | instskip(SKIP_1) | instid1(VALU_DEP_2)
	v_dual_cndmask_b32 v3, 0, v3, vcc_lo :: v_dual_lshlrev_b32 v5, 2, v5
	v_cndmask_b32_e32 v2, 3, v2, vcc_lo
	v_and_b32_e32 v5, 0xfc, v5
	s_delay_alu instid0(VALU_DEP_2) | instskip(NEXT) | instid1(VALU_DEP_2)
	v_cmp_eq_u64_e32 vcc_lo, 0, v[2:3]
	v_and_or_b32 v2, v2, 3, v5
	s_and_b32 s10, s10, vcc_lo
	s_delay_alu instid0(VALU_DEP_1) | instid1(SALU_CYCLE_1)
	v_cndmask_b32_e64 v2, v2, 0, s10
	s_delay_alu instid0(VALU_DEP_1)
	v_or_b32_e32 v22, v2, v7
.LBB6_13454:                            ;   in Loop: Header=BB6_12942 Depth=2
	s_or_b32 exec_lo, exec_lo, s41
                                        ; implicit-def: $vgpr7
.LBB6_13455:                            ;   in Loop: Header=BB6_12942 Depth=2
	s_and_not1_saveexec_b32 s10, s40
; %bb.13456:                            ;   in Loop: Header=BB6_12942 Depth=2
	v_or_b32_e32 v22, 0x7b, v7
; %bb.13457:                            ;   in Loop: Header=BB6_12942 Depth=2
	s_or_b32 exec_lo, exec_lo, s10
                                        ; implicit-def: $vgpr4
                                        ; implicit-def: $vgpr2_vgpr3
                                        ; implicit-def: $vgpr5
.LBB6_13458:                            ;   in Loop: Header=BB6_12942 Depth=2
	s_and_not1_saveexec_b32 s10, s29
	s_cbranch_execz .LBB6_13464
; %bb.13459:                            ;   in Loop: Header=BB6_12942 Depth=2
	s_mov_b32 s29, exec_lo
                                        ; implicit-def: $vgpr22
	v_cmpx_ne_u64_e32 0, v[2:3]
	s_xor_b32 s29, exec_lo, s29
; %bb.13460:                            ;   in Loop: Header=BB6_12942 Depth=2
	v_or_b32_e32 v22, 0x7f, v5
                                        ; implicit-def: $vgpr4
; %bb.13461:                            ;   in Loop: Header=BB6_12942 Depth=2
	s_and_not1_saveexec_b32 s29, s29
; %bb.13462:                            ;   in Loop: Header=BB6_12942 Depth=2
	v_cmp_lt_i32_e32 vcc_lo, -1, v4
	v_mov_b32_e32 v2, 0x7c
	s_delay_alu instid0(VALU_DEP_1)
	v_cndmask_b32_e32 v22, 0xfc, v2, vcc_lo
; %bb.13463:                            ;   in Loop: Header=BB6_12942 Depth=2
	s_or_b32 exec_lo, exec_lo, s29
.LBB6_13464:                            ;   in Loop: Header=BB6_12942 Depth=2
	s_delay_alu instid0(SALU_CYCLE_1) | instskip(SKIP_3) | instid1(VALU_DEP_2)
	s_or_b32 exec_lo, exec_lo, s10
	v_lshrrev_b16 v2, 8, v30
	v_mov_b32_e32 v4, 0
	s_mov_b32 s10, exec_lo
	v_cmpx_ne_u16_e32 0, v2
	s_cbranch_execz .LBB6_13474
; %bb.13465:                            ;   in Loop: Header=BB6_12942 Depth=2
	v_bfrev_b32_e32 v4, 1
	s_mov_b32 s29, exec_lo
	v_cmpx_ne_u16_e32 0x80, v2
	s_cbranch_execz .LBB6_13473
; %bb.13466:                            ;   in Loop: Header=BB6_12942 Depth=2
	v_and_b32_e32 v5, 0xffff, v2
	s_delay_alu instid0(VALU_DEP_1) | instskip(SKIP_1) | instid1(VALU_DEP_2)
	v_and_b32_e32 v4, 0x7c, v5
	v_and_b32_e32 v3, 3, v5
	v_cmp_ne_u32_e32 vcc_lo, 0x7c, v4
                                        ; implicit-def: $vgpr4
	s_and_saveexec_b32 s40, vcc_lo
	s_delay_alu instid0(SALU_CYCLE_1)
	s_xor_b32 s40, exec_lo, s40
	s_cbranch_execz .LBB6_13470
; %bb.13467:                            ;   in Loop: Header=BB6_12942 Depth=2
	v_bfe_u32 v4, v5, 2, 5
	s_mov_b32 s41, exec_lo
	s_delay_alu instid0(VALU_DEP_1)
	v_cmpx_eq_u32_e32 0, v4
	s_cbranch_execz .LBB6_13469
; %bb.13468:                            ;   in Loop: Header=BB6_12942 Depth=2
	v_clz_i32_u32_e32 v3, v3
	s_delay_alu instid0(VALU_DEP_1) | instskip(SKIP_1) | instid1(VALU_DEP_2)
	v_min_u32_e32 v4, 32, v3
	v_mov_b32_e32 v3, v1
	v_subrev_nc_u32_e32 v5, 29, v4
	v_sub_nc_u32_e32 v4, 30, v4
	s_delay_alu instid0(VALU_DEP_2) | instskip(NEXT) | instid1(VALU_DEP_1)
	v_lshlrev_b64_e32 v[2:3], v5, v[2:3]
	v_and_b32_e32 v3, 3, v2
.LBB6_13469:                            ;   in Loop: Header=BB6_12942 Depth=2
	s_or_b32 exec_lo, exec_lo, s41
	v_lshlrev_b32_e32 v2, 16, v30
                                        ; implicit-def: $vgpr30
	s_delay_alu instid0(VALU_DEP_1) | instskip(NEXT) | instid1(VALU_DEP_1)
	v_and_b32_e32 v2, 0x80000000, v2
	v_lshl_add_u32 v2, v4, 23, v2
	s_delay_alu instid0(VALU_DEP_1) | instskip(NEXT) | instid1(VALU_DEP_1)
	v_lshl_or_b32 v2, v3, 21, v2
                                        ; implicit-def: $vgpr3
	v_add_nc_u32_e32 v4, 0x38000000, v2
.LBB6_13470:                            ;   in Loop: Header=BB6_12942 Depth=2
	s_and_not1_saveexec_b32 s40, s40
; %bb.13471:                            ;   in Loop: Header=BB6_12942 Depth=2
	v_cmp_lt_i16_e32 vcc_lo, -1, v30
	v_mov_b32_e32 v2, 0x7f800000
	s_delay_alu instid0(VALU_DEP_1) | instskip(SKIP_1) | instid1(VALU_DEP_2)
	v_cndmask_b32_e32 v2, 0xff800000, v2, vcc_lo
	v_cmp_eq_u32_e32 vcc_lo, 0, v3
	v_cndmask_b32_e32 v4, 0x7f800001, v2, vcc_lo
; %bb.13472:                            ;   in Loop: Header=BB6_12942 Depth=2
	s_or_b32 exec_lo, exec_lo, s40
.LBB6_13473:                            ;   in Loop: Header=BB6_12942 Depth=2
	s_delay_alu instid0(SALU_CYCLE_1)
	s_or_b32 exec_lo, exec_lo, s29
.LBB6_13474:                            ;   in Loop: Header=BB6_12942 Depth=2
	s_delay_alu instid0(SALU_CYCLE_1) | instskip(SKIP_3) | instid1(VALU_DEP_1)
	s_or_b32 exec_lo, exec_lo, s10
	v_lshrrev_b16 v2, 8, v10
	s_mov_b32 s29, 0
	s_mov_b32 s10, exec_lo
	v_cmpx_lt_i16_e32 0x7f, v2
	s_xor_b32 s10, exec_lo, s10
	s_cbranch_execnz .LBB6_13961
; %bb.13475:                            ;   in Loop: Header=BB6_12942 Depth=2
	s_or_saveexec_b32 s10, s10
	v_bfrev_b32_e32 v3, 1
	s_xor_b32 exec_lo, exec_lo, s10
	s_cbranch_execnz .LBB6_13964
.LBB6_13476:                            ;   in Loop: Header=BB6_12942 Depth=2
	s_or_b32 exec_lo, exec_lo, s10
	s_and_saveexec_b32 s10, s29
	s_cbranch_execz .LBB6_13478
.LBB6_13477:                            ;   in Loop: Header=BB6_12942 Depth=2
	v_and_b32_e32 v5, 0xffff, v2
	s_delay_alu instid0(VALU_DEP_1) | instskip(NEXT) | instid1(VALU_DEP_1)
	v_and_b32_e32 v7, 3, v5
	v_clz_i32_u32_e32 v3, v7
	s_delay_alu instid0(VALU_DEP_1) | instskip(SKIP_1) | instid1(VALU_DEP_2)
	v_min_u32_e32 v24, 32, v3
	v_mov_b32_e32 v3, v1
	v_subrev_nc_u32_e32 v27, 29, v24
	v_sub_nc_u32_e32 v24, 30, v24
	s_delay_alu instid0(VALU_DEP_2) | instskip(SKIP_3) | instid1(VALU_DEP_3)
	v_lshlrev_b64_e32 v[38:39], v27, v[2:3]
	v_bfe_u32 v3, v5, 2, 5
	v_lshlrev_b32_e32 v2, 24, v2
	v_and_b32_e32 v5, 0x7c, v5
	v_cmp_eq_u32_e32 vcc_lo, 0, v3
	s_delay_alu instid0(VALU_DEP_3) | instskip(SKIP_1) | instid1(VALU_DEP_1)
	v_and_b32_e32 v2, 0x80000000, v2
	v_dual_cndmask_b32 v3, v3, v24, vcc_lo :: v_dual_bitop2_b32 v27, 3, v38 bitop3:0x40
	v_cndmask_b32_e32 v24, v7, v27, vcc_lo
	v_cmp_lt_i16_e32 vcc_lo, -1, v10
	s_delay_alu instid0(VALU_DEP_3) | instskip(SKIP_1) | instid1(VALU_DEP_2)
	v_lshl_add_u32 v2, v3, 23, v2
	v_mov_b32_e32 v3, 0x7f800000
	v_lshl_or_b32 v2, v24, 21, v2
	s_delay_alu instid0(VALU_DEP_2) | instskip(SKIP_1) | instid1(VALU_DEP_3)
	v_cndmask_b32_e32 v3, 0xff800000, v3, vcc_lo
	v_cmp_eq_u32_e32 vcc_lo, 0, v7
	v_add_nc_u32_e32 v2, 0x38000000, v2
	s_delay_alu instid0(VALU_DEP_3) | instskip(SKIP_1) | instid1(VALU_DEP_2)
	v_cndmask_b32_e32 v3, 0x7f800001, v3, vcc_lo
	v_cmp_eq_u32_e32 vcc_lo, 0x7c, v5
	v_cndmask_b32_e32 v3, v2, v3, vcc_lo
.LBB6_13478:                            ;   in Loop: Header=BB6_12942 Depth=2
	s_or_b32 exec_lo, exec_lo, s10
	s_delay_alu instid0(VALU_DEP_1) | instskip(SKIP_2) | instid1(VALU_DEP_2)
	v_dual_add_f32 v4, v4, v3 :: v_dual_mov_b32 v39, v1
	v_mov_b32_e32 v3, v1
                                        ; implicit-def: $vgpr24
	s_mov_b32 s10, exec_lo
	v_and_b32_e32 v38, 0x7f800000, v4
	v_and_b32_e32 v2, 0x7fffff, v4
	v_lshrrev_b32_e32 v5, 24, v4
	s_delay_alu instid0(VALU_DEP_3)
	v_cmpx_ne_u64_e32 0x7f800000, v[38:39]
	s_xor_b32 s29, exec_lo, s10
	s_cbranch_execz .LBB6_13492
; %bb.13479:                            ;   in Loop: Header=BB6_12942 Depth=2
	v_and_b32_e32 v38, 0x7fffffff, v4
	v_mov_b32_e32 v39, v1
	v_and_b32_e32 v7, 0x80, v5
                                        ; implicit-def: $vgpr24
	s_mov_b32 s10, exec_lo
	s_delay_alu instid0(VALU_DEP_2)
	v_cmpx_gt_u64_e32 0x47600001, v[38:39]
	s_xor_b32 s40, exec_lo, s10
	s_cbranch_execz .LBB6_13489
; %bb.13480:                            ;   in Loop: Header=BB6_12942 Depth=2
	v_mov_b32_e32 v24, 0
	s_mov_b32 s41, exec_lo
	v_cmpx_ne_u32_e32 0, v4
	s_cbranch_execz .LBB6_13488
; %bb.13481:                            ;   in Loop: Header=BB6_12942 Depth=2
	v_bfe_u32 v24, v4, 23, 8
	v_or_b32_e32 v30, 0x800000, v2
	s_delay_alu instid0(VALU_DEP_2) | instskip(SKIP_1) | instid1(VALU_DEP_2)
	v_sub_nc_u32_e32 v4, 0x71, v24
	v_cmp_gt_u32_e32 vcc_lo, 0x72, v24
	v_cndmask_b32_e32 v4, 0, v4, vcc_lo
	v_cmp_eq_u32_e32 vcc_lo, 0, v24
	s_delay_alu instid0(VALU_DEP_2) | instskip(NEXT) | instid1(VALU_DEP_1)
	v_cndmask_b32_e64 v27, v4, 0x70, vcc_lo
	v_dual_cndmask_b32 v2, v30, v2, vcc_lo :: v_dual_add_nc_u32 v4, 21, v27
	v_add_nc_u32_e32 v37, 20, v27
	s_delay_alu instid0(VALU_DEP_2) | instskip(NEXT) | instid1(VALU_DEP_2)
	v_lshlrev_b64_e64 v[4:5], v4, -1
	v_lshlrev_b64_e64 v[38:39], v37, 1
	s_delay_alu instid0(VALU_DEP_2) | instskip(SKIP_1) | instid1(VALU_DEP_4)
	v_bfi_b32 v4, v4, 0, v2
	v_lshrrev_b64 v[2:3], v27, v[2:3]
	v_bfi_b32 v5, v5, 0, 0
	s_delay_alu instid0(VALU_DEP_1) | instskip(NEXT) | instid1(VALU_DEP_3)
	v_cmp_eq_u64_e64 s10, v[4:5], v[38:39]
	v_mov_b64_e32 v[4:5], v[2:3]
	s_and_saveexec_b32 s42, s10
; %bb.13482:                            ;   in Loop: Header=BB6_12942 Depth=2
	v_bfe_u32 v4, v2, 21, 1
	v_mov_b32_e32 v5, v1
	s_delay_alu instid0(VALU_DEP_1) | instskip(NEXT) | instid1(VALU_DEP_1)
	v_add_nc_u64_e32 v[4:5], v[2:3], v[4:5]
	v_add_nc_u64_e32 v[4:5], -1, v[4:5]
; %bb.13483:                            ;   in Loop: Header=BB6_12942 Depth=2
	s_or_b32 exec_lo, exec_lo, s42
	v_add_nc_u32_e32 v3, 0xffffff81, v24
	v_lshrrev_b32_e32 v5, 23, v2
	s_mov_b32 s10, exec_lo
	s_delay_alu instid0(VALU_DEP_2) | instskip(NEXT) | instid1(VALU_DEP_1)
	v_cndmask_b32_e64 v3, v3, 0xffffff82, vcc_lo
	v_add3_u32 v5, v27, v3, v5
	v_and_b32_e32 v3, 0x1fffff, v4
                                        ; implicit-def: $vgpr4
	s_delay_alu instid0(VALU_DEP_1) | instskip(SKIP_1) | instid1(VALU_DEP_2)
	v_dual_add_nc_u32 v24, 14, v5 :: v_dual_add_nc_u32 v2, v3, v2
	v_mov_b32_e32 v3, v1
	v_cmpx_ne_u32_e32 0, v24
	s_xor_b32 s10, exec_lo, s10
; %bb.13484:                            ;   in Loop: Header=BB6_12942 Depth=2
	s_delay_alu instid0(VALU_DEP_2) | instskip(SKIP_2) | instid1(VALU_DEP_2)
	v_cmp_lt_u64_e32 vcc_lo, 0xffffff, v[2:3]
	v_add_nc_u32_e32 v4, 15, v5
	v_cndmask_b32_e64 v5, 0, 1, vcc_lo
	v_cndmask_b32_e32 v4, v24, v4, vcc_lo
	s_delay_alu instid0(VALU_DEP_2)
	v_lshrrev_b64 v[2:3], v5, v[2:3]
; %bb.13485:                            ;   in Loop: Header=BB6_12942 Depth=2
	s_and_not1_saveexec_b32 s10, s10
; %bb.13486:                            ;   in Loop: Header=BB6_12942 Depth=2
	s_delay_alu instid0(VALU_DEP_1)
	v_bfe_u32 v4, v2, 23, 1
; %bb.13487:                            ;   in Loop: Header=BB6_12942 Depth=2
	s_or_b32 exec_lo, exec_lo, s10
	s_delay_alu instid0(VALU_DEP_2) | instskip(NEXT) | instid1(VALU_DEP_2)
	v_lshrrev_b64 v[2:3], 21, v[2:3]
	v_cmp_gt_i32_e32 vcc_lo, 32, v4
	v_min_i32_e32 v5, 31, v4
	v_cmp_eq_u32_e64 s10, 0, v4
	s_delay_alu instid0(VALU_DEP_2) | instskip(SKIP_1) | instid1(VALU_DEP_2)
	v_dual_cndmask_b32 v3, 0, v3, vcc_lo :: v_dual_lshlrev_b32 v5, 2, v5
	v_cndmask_b32_e32 v2, 3, v2, vcc_lo
	v_and_b32_e32 v5, 0xfc, v5
	s_delay_alu instid0(VALU_DEP_2) | instskip(NEXT) | instid1(VALU_DEP_2)
	v_cmp_eq_u64_e32 vcc_lo, 0, v[2:3]
	v_and_or_b32 v2, v2, 3, v5
	s_and_b32 s10, s10, vcc_lo
	s_delay_alu instid0(VALU_DEP_1) | instid1(SALU_CYCLE_1)
	v_cndmask_b32_e64 v2, v2, 0, s10
	s_delay_alu instid0(VALU_DEP_1)
	v_or_b32_e32 v24, v2, v7
.LBB6_13488:                            ;   in Loop: Header=BB6_12942 Depth=2
	s_or_b32 exec_lo, exec_lo, s41
                                        ; implicit-def: $vgpr7
.LBB6_13489:                            ;   in Loop: Header=BB6_12942 Depth=2
	s_and_not1_saveexec_b32 s10, s40
; %bb.13490:                            ;   in Loop: Header=BB6_12942 Depth=2
	v_or_b32_e32 v24, 0x7b, v7
; %bb.13491:                            ;   in Loop: Header=BB6_12942 Depth=2
	s_or_b32 exec_lo, exec_lo, s10
                                        ; implicit-def: $vgpr4
                                        ; implicit-def: $vgpr2_vgpr3
                                        ; implicit-def: $vgpr5
.LBB6_13492:                            ;   in Loop: Header=BB6_12942 Depth=2
	s_and_not1_saveexec_b32 s10, s29
	s_cbranch_execz .LBB6_13498
; %bb.13493:                            ;   in Loop: Header=BB6_12942 Depth=2
	s_mov_b32 s29, exec_lo
                                        ; implicit-def: $vgpr24
	v_cmpx_ne_u64_e32 0, v[2:3]
	s_xor_b32 s29, exec_lo, s29
; %bb.13494:                            ;   in Loop: Header=BB6_12942 Depth=2
	v_or_b32_e32 v24, 0x7f, v5
                                        ; implicit-def: $vgpr4
; %bb.13495:                            ;   in Loop: Header=BB6_12942 Depth=2
	s_and_not1_saveexec_b32 s29, s29
; %bb.13496:                            ;   in Loop: Header=BB6_12942 Depth=2
	v_cmp_lt_i32_e32 vcc_lo, -1, v4
	v_mov_b32_e32 v2, 0x7c
	s_delay_alu instid0(VALU_DEP_1)
	v_cndmask_b32_e32 v24, 0xfc, v2, vcc_lo
; %bb.13497:                            ;   in Loop: Header=BB6_12942 Depth=2
	s_or_b32 exec_lo, exec_lo, s29
.LBB6_13498:                            ;   in Loop: Header=BB6_12942 Depth=2
	s_delay_alu instid0(SALU_CYCLE_1) | instskip(SKIP_2) | instid1(VALU_DEP_1)
	s_or_b32 exec_lo, exec_lo, s10
	v_dual_mov_b32 v3, 0 :: v_dual_lshrrev_b32 v2, 16, v0
	s_mov_b32 s10, exec_lo
	v_and_b32_e32 v4, 0xff, v2
	s_delay_alu instid0(VALU_DEP_1)
	v_cmpx_ne_u16_e32 0, v4
	s_cbranch_execz .LBB6_13508
; %bb.13499:                            ;   in Loop: Header=BB6_12942 Depth=2
	v_bfrev_b32_e32 v3, 1
	s_mov_b32 s29, exec_lo
	v_cmpx_ne_u16_e32 0x80, v4
	s_cbranch_execz .LBB6_13507
; %bb.13500:                            ;   in Loop: Header=BB6_12942 Depth=2
	v_and_b32_e32 v3, 0x7c0000, v0
	v_bfe_u32 v4, v0, 16, 2
	s_delay_alu instid0(VALU_DEP_2) | instskip(SKIP_1) | instid1(SALU_CYCLE_1)
	v_cmp_ne_u32_e32 vcc_lo, 0x7c0000, v3
                                        ; implicit-def: $vgpr3
	s_and_saveexec_b32 s40, vcc_lo
	s_xor_b32 s40, exec_lo, s40
	s_cbranch_execz .LBB6_13504
; %bb.13501:                            ;   in Loop: Header=BB6_12942 Depth=2
	v_bfe_u32 v3, v0, 18, 5
	v_lshrrev_b32_e32 v2, 16, v0
	s_mov_b32 s41, exec_lo
	s_delay_alu instid0(VALU_DEP_2)
	v_cmpx_eq_u32_e32 0, v3
; %bb.13502:                            ;   in Loop: Header=BB6_12942 Depth=2
	v_clz_i32_u32_e32 v3, v4
	s_delay_alu instid0(VALU_DEP_1) | instskip(NEXT) | instid1(VALU_DEP_1)
	v_min_u32_e32 v3, 32, v3
	v_subrev_nc_u32_e32 v4, 29, v3
	s_delay_alu instid0(VALU_DEP_1) | instskip(NEXT) | instid1(VALU_DEP_1)
	v_lshlrev_b64_e32 v[4:5], v4, v[2:3]
	v_dual_sub_nc_u32 v3, 30, v3 :: v_dual_bitop2_b32 v4, 3, v4 bitop3:0x40
; %bb.13503:                            ;   in Loop: Header=BB6_12942 Depth=2
	s_or_b32 exec_lo, exec_lo, s41
	v_lshlrev_b32_e32 v2, 24, v2
	s_delay_alu instid0(VALU_DEP_1) | instskip(NEXT) | instid1(VALU_DEP_1)
	v_and_b32_e32 v2, 0x80000000, v2
	v_lshl_add_u32 v2, v3, 23, v2
	s_delay_alu instid0(VALU_DEP_1) | instskip(NEXT) | instid1(VALU_DEP_1)
	v_lshl_or_b32 v2, v4, 21, v2
                                        ; implicit-def: $vgpr4
	v_add_nc_u32_e32 v3, 0x38000000, v2
                                        ; implicit-def: $vgpr2
.LBB6_13504:                            ;   in Loop: Header=BB6_12942 Depth=2
	s_and_not1_saveexec_b32 s40, s40
; %bb.13505:                            ;   in Loop: Header=BB6_12942 Depth=2
	v_bfe_i32 v2, v2, 0, 8
	s_delay_alu instid0(VALU_DEP_1) | instskip(SKIP_1) | instid1(VALU_DEP_1)
	v_cmp_lt_i16_e32 vcc_lo, -1, v2
	v_mov_b32_e32 v2, 0x7f800000
	v_cndmask_b32_e32 v2, 0xff800000, v2, vcc_lo
	v_cmp_eq_u32_e32 vcc_lo, 0, v4
	s_delay_alu instid0(VALU_DEP_2)
	v_cndmask_b32_e32 v3, 0x7f800001, v2, vcc_lo
; %bb.13506:                            ;   in Loop: Header=BB6_12942 Depth=2
	s_or_b32 exec_lo, exec_lo, s40
.LBB6_13507:                            ;   in Loop: Header=BB6_12942 Depth=2
	s_delay_alu instid0(SALU_CYCLE_1)
	s_or_b32 exec_lo, exec_lo, s29
.LBB6_13508:                            ;   in Loop: Header=BB6_12942 Depth=2
	s_delay_alu instid0(SALU_CYCLE_1) | instskip(SKIP_3) | instid1(VALU_DEP_1)
	s_or_b32 exec_lo, exec_lo, s10
	v_lshrrev_b32_e32 v2, 16, v10
	s_mov_b32 s29, 0
	s_mov_b32 s10, exec_lo
	v_and_b32_e32 v5, 0xff, v2
	s_delay_alu instid0(VALU_DEP_1)
	v_cmpx_lt_i16_e32 0x7f, v5
	s_xor_b32 s10, exec_lo, s10
	s_cbranch_execnz .LBB6_13965
; %bb.13509:                            ;   in Loop: Header=BB6_12942 Depth=2
	s_or_saveexec_b32 s10, s10
	v_bfrev_b32_e32 v4, 1
	s_xor_b32 exec_lo, exec_lo, s10
	s_cbranch_execnz .LBB6_13968
.LBB6_13510:                            ;   in Loop: Header=BB6_12942 Depth=2
	s_or_b32 exec_lo, exec_lo, s10
	s_and_saveexec_b32 s10, s29
	s_cbranch_execz .LBB6_13512
.LBB6_13511:                            ;   in Loop: Header=BB6_12942 Depth=2
	v_and_b32_e32 v7, 3, v2
	v_bfe_u32 v30, v10, 18, 5
	s_delay_alu instid0(VALU_DEP_2) | instskip(NEXT) | instid1(VALU_DEP_2)
	v_clz_i32_u32_e32 v4, v7
	v_cmp_eq_u32_e32 vcc_lo, 0, v30
	s_delay_alu instid0(VALU_DEP_2) | instskip(NEXT) | instid1(VALU_DEP_1)
	v_min_u32_e32 v27, 32, v4
	v_subrev_nc_u32_e32 v4, 29, v27
	s_delay_alu instid0(VALU_DEP_1) | instskip(SKIP_2) | instid1(VALU_DEP_2)
	v_lshlrev_b64_e32 v[4:5], v4, v[2:3]
	v_dual_lshlrev_b32 v5, 24, v2 :: v_dual_sub_nc_u32 v27, 30, v27
	v_bfe_i32 v2, v2, 0, 8
	v_and_b32_e32 v5, 0x80000000, v5
	s_delay_alu instid0(VALU_DEP_3) | instskip(NEXT) | instid1(VALU_DEP_1)
	v_dual_cndmask_b32 v27, v30, v27, vcc_lo :: v_dual_bitop2_b32 v4, 3, v4 bitop3:0x40
	v_cndmask_b32_e32 v4, v7, v4, vcc_lo
	s_delay_alu instid0(VALU_DEP_2) | instskip(SKIP_2) | instid1(VALU_DEP_3)
	v_lshl_add_u32 v5, v27, 23, v5
	v_cmp_lt_i16_e32 vcc_lo, -1, v2
	v_mov_b32_e32 v2, 0x7f800000
	v_lshl_or_b32 v4, v4, 21, v5
	v_and_b32_e32 v5, 0x7c0000, v10
	s_delay_alu instid0(VALU_DEP_3) | instskip(SKIP_1) | instid1(VALU_DEP_4)
	v_cndmask_b32_e32 v2, 0xff800000, v2, vcc_lo
	v_cmp_eq_u32_e32 vcc_lo, 0, v7
	v_add_nc_u32_e32 v4, 0x38000000, v4
	s_delay_alu instid0(VALU_DEP_3) | instskip(SKIP_1) | instid1(VALU_DEP_2)
	v_cndmask_b32_e32 v2, 0x7f800001, v2, vcc_lo
	v_cmp_eq_u32_e32 vcc_lo, 0x7c0000, v5
	v_cndmask_b32_e32 v4, v4, v2, vcc_lo
.LBB6_13512:                            ;   in Loop: Header=BB6_12942 Depth=2
	s_or_b32 exec_lo, exec_lo, s10
	s_delay_alu instid0(VALU_DEP_1) | instskip(SKIP_2) | instid1(VALU_DEP_2)
	v_dual_add_f32 v4, v3, v4 :: v_dual_mov_b32 v39, v1
	v_mov_b32_e32 v3, v1
                                        ; implicit-def: $vgpr27
	s_mov_b32 s10, exec_lo
	v_and_b32_e32 v38, 0x7f800000, v4
	v_and_b32_e32 v2, 0x7fffff, v4
	v_lshrrev_b32_e32 v5, 24, v4
	s_delay_alu instid0(VALU_DEP_3)
	v_cmpx_ne_u64_e32 0x7f800000, v[38:39]
	s_xor_b32 s29, exec_lo, s10
	s_cbranch_execz .LBB6_13526
; %bb.13513:                            ;   in Loop: Header=BB6_12942 Depth=2
	v_and_b32_e32 v38, 0x7fffffff, v4
	v_mov_b32_e32 v39, v1
	v_and_b32_e32 v7, 0x80, v5
                                        ; implicit-def: $vgpr27
	s_mov_b32 s10, exec_lo
	s_delay_alu instid0(VALU_DEP_2)
	v_cmpx_gt_u64_e32 0x47600001, v[38:39]
	s_xor_b32 s40, exec_lo, s10
	s_cbranch_execz .LBB6_13523
; %bb.13514:                            ;   in Loop: Header=BB6_12942 Depth=2
	v_mov_b32_e32 v27, 0
	s_mov_b32 s41, exec_lo
	v_cmpx_ne_u32_e32 0, v4
	s_cbranch_execz .LBB6_13522
; %bb.13515:                            ;   in Loop: Header=BB6_12942 Depth=2
	v_bfe_u32 v27, v4, 23, 8
	v_or_b32_e32 v37, 0x800000, v2
	s_delay_alu instid0(VALU_DEP_2) | instskip(SKIP_1) | instid1(VALU_DEP_2)
	v_sub_nc_u32_e32 v4, 0x71, v27
	v_cmp_gt_u32_e32 vcc_lo, 0x72, v27
	v_cndmask_b32_e32 v4, 0, v4, vcc_lo
	v_cmp_eq_u32_e32 vcc_lo, 0, v27
	s_delay_alu instid0(VALU_DEP_2) | instskip(SKIP_1) | instid1(VALU_DEP_2)
	v_cndmask_b32_e64 v30, v4, 0x70, vcc_lo
	v_cndmask_b32_e32 v2, v37, v2, vcc_lo
	v_dual_add_nc_u32 v4, 21, v30 :: v_dual_add_nc_u32 v38, 20, v30
	s_delay_alu instid0(VALU_DEP_1) | instskip(NEXT) | instid1(VALU_DEP_2)
	v_lshlrev_b64_e64 v[4:5], v4, -1
	v_lshlrev_b64_e64 v[38:39], v38, 1
	s_delay_alu instid0(VALU_DEP_2) | instskip(SKIP_1) | instid1(VALU_DEP_4)
	v_bfi_b32 v4, v4, 0, v2
	v_lshrrev_b64 v[2:3], v30, v[2:3]
	v_bfi_b32 v5, v5, 0, 0
	s_delay_alu instid0(VALU_DEP_1) | instskip(NEXT) | instid1(VALU_DEP_3)
	v_cmp_eq_u64_e64 s10, v[4:5], v[38:39]
	v_mov_b64_e32 v[4:5], v[2:3]
	s_and_saveexec_b32 s42, s10
; %bb.13516:                            ;   in Loop: Header=BB6_12942 Depth=2
	v_bfe_u32 v4, v2, 21, 1
	v_mov_b32_e32 v5, v1
	s_delay_alu instid0(VALU_DEP_1) | instskip(NEXT) | instid1(VALU_DEP_1)
	v_add_nc_u64_e32 v[4:5], v[2:3], v[4:5]
	v_add_nc_u64_e32 v[4:5], -1, v[4:5]
; %bb.13517:                            ;   in Loop: Header=BB6_12942 Depth=2
	s_or_b32 exec_lo, exec_lo, s42
	v_add_nc_u32_e32 v3, 0xffffff81, v27
	v_lshrrev_b32_e32 v5, 23, v2
	s_mov_b32 s10, exec_lo
	s_delay_alu instid0(VALU_DEP_2) | instskip(NEXT) | instid1(VALU_DEP_1)
	v_cndmask_b32_e64 v3, v3, 0xffffff82, vcc_lo
	v_add3_u32 v5, v30, v3, v5
	v_and_b32_e32 v3, 0x1fffff, v4
                                        ; implicit-def: $vgpr4
	s_delay_alu instid0(VALU_DEP_1) | instskip(SKIP_1) | instid1(VALU_DEP_2)
	v_dual_add_nc_u32 v27, 14, v5 :: v_dual_add_nc_u32 v2, v3, v2
	v_mov_b32_e32 v3, v1
	v_cmpx_ne_u32_e32 0, v27
	s_xor_b32 s10, exec_lo, s10
; %bb.13518:                            ;   in Loop: Header=BB6_12942 Depth=2
	s_delay_alu instid0(VALU_DEP_2) | instskip(SKIP_2) | instid1(VALU_DEP_2)
	v_cmp_lt_u64_e32 vcc_lo, 0xffffff, v[2:3]
	v_add_nc_u32_e32 v4, 15, v5
	v_cndmask_b32_e64 v5, 0, 1, vcc_lo
	v_cndmask_b32_e32 v4, v27, v4, vcc_lo
	s_delay_alu instid0(VALU_DEP_2)
	v_lshrrev_b64 v[2:3], v5, v[2:3]
; %bb.13519:                            ;   in Loop: Header=BB6_12942 Depth=2
	s_and_not1_saveexec_b32 s10, s10
; %bb.13520:                            ;   in Loop: Header=BB6_12942 Depth=2
	s_delay_alu instid0(VALU_DEP_1)
	v_bfe_u32 v4, v2, 23, 1
; %bb.13521:                            ;   in Loop: Header=BB6_12942 Depth=2
	s_or_b32 exec_lo, exec_lo, s10
	s_delay_alu instid0(VALU_DEP_2) | instskip(NEXT) | instid1(VALU_DEP_2)
	v_lshrrev_b64 v[2:3], 21, v[2:3]
	v_cmp_gt_i32_e32 vcc_lo, 32, v4
	v_min_i32_e32 v5, 31, v4
	v_cmp_eq_u32_e64 s10, 0, v4
	s_delay_alu instid0(VALU_DEP_2) | instskip(SKIP_1) | instid1(VALU_DEP_2)
	v_dual_cndmask_b32 v3, 0, v3, vcc_lo :: v_dual_lshlrev_b32 v5, 2, v5
	v_cndmask_b32_e32 v2, 3, v2, vcc_lo
	v_and_b32_e32 v5, 0xfc, v5
	s_delay_alu instid0(VALU_DEP_2) | instskip(NEXT) | instid1(VALU_DEP_2)
	v_cmp_eq_u64_e32 vcc_lo, 0, v[2:3]
	v_and_or_b32 v2, v2, 3, v5
	s_and_b32 s10, s10, vcc_lo
	s_delay_alu instid0(VALU_DEP_1) | instid1(SALU_CYCLE_1)
	v_cndmask_b32_e64 v2, v2, 0, s10
	s_delay_alu instid0(VALU_DEP_1)
	v_or_b32_e32 v27, v2, v7
.LBB6_13522:                            ;   in Loop: Header=BB6_12942 Depth=2
	s_or_b32 exec_lo, exec_lo, s41
                                        ; implicit-def: $vgpr7
.LBB6_13523:                            ;   in Loop: Header=BB6_12942 Depth=2
	s_and_not1_saveexec_b32 s10, s40
; %bb.13524:                            ;   in Loop: Header=BB6_12942 Depth=2
	v_or_b32_e32 v27, 0x7b, v7
; %bb.13525:                            ;   in Loop: Header=BB6_12942 Depth=2
	s_or_b32 exec_lo, exec_lo, s10
                                        ; implicit-def: $vgpr4
                                        ; implicit-def: $vgpr2_vgpr3
                                        ; implicit-def: $vgpr5
.LBB6_13526:                            ;   in Loop: Header=BB6_12942 Depth=2
	s_and_not1_saveexec_b32 s10, s29
	s_cbranch_execz .LBB6_13532
; %bb.13527:                            ;   in Loop: Header=BB6_12942 Depth=2
	s_mov_b32 s29, exec_lo
                                        ; implicit-def: $vgpr27
	v_cmpx_ne_u64_e32 0, v[2:3]
	s_xor_b32 s29, exec_lo, s29
; %bb.13528:                            ;   in Loop: Header=BB6_12942 Depth=2
	v_or_b32_e32 v27, 0x7f, v5
                                        ; implicit-def: $vgpr4
; %bb.13529:                            ;   in Loop: Header=BB6_12942 Depth=2
	s_and_not1_saveexec_b32 s29, s29
; %bb.13530:                            ;   in Loop: Header=BB6_12942 Depth=2
	v_cmp_lt_i32_e32 vcc_lo, -1, v4
	v_mov_b32_e32 v2, 0x7c
	s_delay_alu instid0(VALU_DEP_1)
	v_cndmask_b32_e32 v27, 0xfc, v2, vcc_lo
; %bb.13531:                            ;   in Loop: Header=BB6_12942 Depth=2
	s_or_b32 exec_lo, exec_lo, s29
.LBB6_13532:                            ;   in Loop: Header=BB6_12942 Depth=2
	s_delay_alu instid0(SALU_CYCLE_1)
	s_or_b32 exec_lo, exec_lo, s10
	v_mov_b32_e32 v3, 0
	s_mov_b32 s10, exec_lo
	v_cmpx_lt_u32_e32 0xffffff, v0
	s_cbranch_execz .LBB6_13542
; %bb.13533:                            ;   in Loop: Header=BB6_12942 Depth=2
	v_lshrrev_b32_e32 v2, 24, v0
	v_bfrev_b32_e32 v3, 1
	s_mov_b32 s29, exec_lo
	s_delay_alu instid0(VALU_DEP_2)
	v_cmpx_ne_u32_e32 0x80, v2
	s_cbranch_execz .LBB6_13541
; %bb.13534:                            ;   in Loop: Header=BB6_12942 Depth=2
	v_and_b32_e32 v3, 0x7c000000, v0
	v_bfe_u32 v4, v0, 24, 2
	s_delay_alu instid0(VALU_DEP_2) | instskip(SKIP_1) | instid1(SALU_CYCLE_1)
	v_cmp_ne_u32_e32 vcc_lo, 0x7c000000, v3
                                        ; implicit-def: $vgpr3
	s_and_saveexec_b32 s40, vcc_lo
	s_xor_b32 s40, exec_lo, s40
	s_cbranch_execz .LBB6_13538
; %bb.13535:                            ;   in Loop: Header=BB6_12942 Depth=2
	v_bfe_u32 v3, v0, 26, 5
	s_mov_b32 s41, exec_lo
	s_delay_alu instid0(VALU_DEP_1)
	v_cmpx_eq_u32_e32 0, v3
; %bb.13536:                            ;   in Loop: Header=BB6_12942 Depth=2
	v_clz_i32_u32_e32 v3, v4
	s_delay_alu instid0(VALU_DEP_1) | instskip(NEXT) | instid1(VALU_DEP_1)
	v_min_u32_e32 v4, 32, v3
	v_subrev_nc_u32_e32 v3, 29, v4
	s_delay_alu instid0(VALU_DEP_1) | instskip(NEXT) | instid1(VALU_DEP_1)
	v_lshlrev_b64_e32 v[2:3], v3, v[2:3]
	v_dual_sub_nc_u32 v3, 30, v4 :: v_dual_bitop2_b32 v4, 3, v2 bitop3:0x40
; %bb.13537:                            ;   in Loop: Header=BB6_12942 Depth=2
	s_or_b32 exec_lo, exec_lo, s41
	v_and_b32_e32 v0, 0x80000000, v0
	s_delay_alu instid0(VALU_DEP_1) | instskip(NEXT) | instid1(VALU_DEP_1)
	v_lshl_add_u32 v0, v3, 23, v0
	v_lshl_or_b32 v0, v4, 21, v0
                                        ; implicit-def: $vgpr4
	s_delay_alu instid0(VALU_DEP_1)
	v_add_nc_u32_e32 v3, 0x38000000, v0
.LBB6_13538:                            ;   in Loop: Header=BB6_12942 Depth=2
	s_and_not1_saveexec_b32 s40, s40
; %bb.13539:                            ;   in Loop: Header=BB6_12942 Depth=2
	v_cmp_lt_i32_e32 vcc_lo, -1, v0
	v_mov_b32_e32 v0, 0x7f800000
	s_delay_alu instid0(VALU_DEP_1) | instskip(SKIP_1) | instid1(VALU_DEP_2)
	v_cndmask_b32_e32 v0, 0xff800000, v0, vcc_lo
	v_cmp_eq_u32_e32 vcc_lo, 0, v4
	v_cndmask_b32_e32 v3, 0x7f800001, v0, vcc_lo
; %bb.13540:                            ;   in Loop: Header=BB6_12942 Depth=2
	s_or_b32 exec_lo, exec_lo, s40
.LBB6_13541:                            ;   in Loop: Header=BB6_12942 Depth=2
	s_delay_alu instid0(SALU_CYCLE_1)
	s_or_b32 exec_lo, exec_lo, s29
.LBB6_13542:                            ;   in Loop: Header=BB6_12942 Depth=2
	s_delay_alu instid0(SALU_CYCLE_1) | instskip(SKIP_3) | instid1(VALU_DEP_2)
	s_or_b32 exec_lo, exec_lo, s10
	v_bfe_u32 v2, v10, 24, 2
	v_bfe_u32 v30, v10, 26, 5
	s_mov_b32 s10, exec_lo
	v_clz_i32_u32_e32 v0, v2
	s_delay_alu instid0(VALU_DEP_2) | instskip(NEXT) | instid1(VALU_DEP_2)
	v_cmp_eq_u32_e32 vcc_lo, 0, v30
	v_min_u32_e32 v7, 32, v0
	v_lshrrev_b32_e32 v0, 24, v10
	s_delay_alu instid0(VALU_DEP_2) | instskip(NEXT) | instid1(VALU_DEP_1)
	v_subrev_nc_u32_e32 v4, 29, v7
	v_lshlrev_b64_e32 v[4:5], v4, v[0:1]
	v_sub_nc_u32_e32 v5, 30, v7
	v_and_b32_e32 v7, 0x80000000, v10
	s_delay_alu instid0(VALU_DEP_2) | instskip(NEXT) | instid1(VALU_DEP_1)
	v_dual_cndmask_b32 v5, v30, v5, vcc_lo :: v_dual_bitop2_b32 v4, 3, v4 bitop3:0x40
                                        ; implicit-def: $vgpr30
	v_lshl_add_u32 v5, v5, 23, v7
	s_delay_alu instid0(VALU_DEP_2) | instskip(SKIP_1) | instid1(VALU_DEP_2)
	v_dual_cndmask_b32 v4, v2, v4 :: v_dual_mov_b32 v7, 0x7f800000
	v_cmp_lt_i32_e32 vcc_lo, -1, v10
	v_lshl_or_b32 v4, v4, 21, v5
	v_and_b32_e32 v5, 0x7c000000, v10
	s_delay_alu instid0(VALU_DEP_4) | instskip(SKIP_1) | instid1(VALU_DEP_4)
	v_cndmask_b32_e32 v7, 0xff800000, v7, vcc_lo
	v_cmp_eq_u32_e32 vcc_lo, 0, v2
	v_add_nc_u32_e32 v4, 0x38000000, v4
	s_delay_alu instid0(VALU_DEP_3) | instskip(SKIP_1) | instid1(VALU_DEP_2)
	v_cndmask_b32_e32 v2, 0x7f800001, v7, vcc_lo
	v_cmp_eq_u32_e32 vcc_lo, 0x7c000000, v5
	v_dual_mov_b32 v5, v1 :: v_dual_cndmask_b32 v2, v4, v2
	v_cmp_ne_u32_e32 vcc_lo, 0x80, v0
	s_delay_alu instid0(VALU_DEP_2) | instskip(SKIP_1) | instid1(VALU_DEP_2)
	v_cndmask_b32_e32 v0, 0x80000000, v2, vcc_lo
	v_cmp_lt_u32_e32 vcc_lo, 0xffffff, v10
	v_cndmask_b32_e32 v0, 0, v0, vcc_lo
	s_delay_alu instid0(VALU_DEP_1) | instskip(NEXT) | instid1(VALU_DEP_1)
	v_add_f32_e32 v2, v0, v3
	v_and_b32_e32 v4, 0x7f800000, v2
	v_and_b32_e32 v0, 0x7fffff, v2
	v_lshrrev_b32_e32 v3, 24, v2
	s_delay_alu instid0(VALU_DEP_3)
	v_cmpx_ne_u64_e32 0x7f800000, v[4:5]
	s_xor_b32 s29, exec_lo, s10
	s_cbranch_execz .LBB6_13556
; %bb.13543:                            ;   in Loop: Header=BB6_12942 Depth=2
	v_and_b32_e32 v4, 0x7fffffff, v2
	v_mov_b32_e32 v5, v1
	v_and_b32_e32 v7, 0x80, v3
                                        ; implicit-def: $vgpr30
	s_mov_b32 s10, exec_lo
	s_delay_alu instid0(VALU_DEP_2)
	v_cmpx_gt_u64_e32 0x47600001, v[4:5]
	s_xor_b32 s40, exec_lo, s10
	s_cbranch_execz .LBB6_13553
; %bb.13544:                            ;   in Loop: Header=BB6_12942 Depth=2
	v_mov_b32_e32 v30, 0
	s_mov_b32 s41, exec_lo
	v_cmpx_ne_u32_e32 0, v2
	s_cbranch_execz .LBB6_13552
; %bb.13545:                            ;   in Loop: Header=BB6_12942 Depth=2
	v_bfe_u32 v30, v2, 23, 8
	v_or_b32_e32 v4, 0x800000, v0
	s_mov_b32 s42, exec_lo
	s_delay_alu instid0(VALU_DEP_2) | instskip(SKIP_1) | instid1(VALU_DEP_2)
	v_dual_mov_b32 v5, v1 :: v_dual_sub_nc_u32 v2, 0x71, v30
	v_cmp_gt_u32_e32 vcc_lo, 0x72, v30
	v_cndmask_b32_e32 v2, 0, v2, vcc_lo
	v_cmp_eq_u32_e32 vcc_lo, 0, v30
	s_delay_alu instid0(VALU_DEP_2) | instskip(NEXT) | instid1(VALU_DEP_1)
	v_cndmask_b32_e64 v37, v2, 0x70, vcc_lo
	v_dual_cndmask_b32 v4, v4, v0, vcc_lo :: v_dual_add_nc_u32 v2, 21, v37
	v_add_nc_u32_e32 v38, 20, v37
	s_delay_alu instid0(VALU_DEP_2) | instskip(NEXT) | instid1(VALU_DEP_2)
	v_lshlrev_b64_e64 v[2:3], v2, -1
	v_lshlrev_b64_e64 v[38:39], v38, 1
	s_delay_alu instid0(VALU_DEP_2) | instskip(NEXT) | instid1(VALU_DEP_3)
	v_bfi_b32 v49, v3, 0, 0
	v_bfi_b32 v48, v2, 0, v4
	v_lshrrev_b64 v[2:3], v37, v[4:5]
	s_delay_alu instid0(VALU_DEP_1) | instskip(NEXT) | instid1(VALU_DEP_3)
	v_mov_b64_e32 v[4:5], v[2:3]
	v_cmpx_eq_u64_e64 v[48:49], v[38:39]
; %bb.13546:                            ;   in Loop: Header=BB6_12942 Depth=2
	v_bfe_u32 v4, v2, 21, 1
	v_mov_b32_e32 v5, v1
	s_delay_alu instid0(VALU_DEP_1) | instskip(NEXT) | instid1(VALU_DEP_1)
	v_add_nc_u64_e32 v[4:5], v[2:3], v[4:5]
	v_add_nc_u64_e32 v[4:5], -1, v[4:5]
; %bb.13547:                            ;   in Loop: Header=BB6_12942 Depth=2
	s_or_b32 exec_lo, exec_lo, s42
	v_add_nc_u32_e32 v0, 0xffffff81, v30
	s_delay_alu instid0(VALU_DEP_2) | instskip(SKIP_2) | instid1(VALU_DEP_3)
	v_and_b32_e32 v4, 0x1fffff, v4
	v_lshrrev_b32_e32 v3, 23, v2
	s_mov_b32 s10, exec_lo
	v_cndmask_b32_e64 v0, v0, 0xffffff82, vcc_lo
	s_delay_alu instid0(VALU_DEP_1) | instskip(SKIP_1) | instid1(VALU_DEP_2)
	v_add3_u32 v5, v37, v0, v3
	v_add_nc_u32_e32 v0, v4, v2
                                        ; implicit-def: $vgpr2_vgpr3
                                        ; implicit-def: $vgpr4
	v_add_nc_u32_e32 v30, 14, v5
	s_delay_alu instid0(VALU_DEP_1)
	v_cmpx_ne_u32_e32 0, v30
	s_xor_b32 s10, exec_lo, s10
; %bb.13548:                            ;   in Loop: Header=BB6_12942 Depth=2
	s_delay_alu instid0(VALU_DEP_3) | instskip(SKIP_1) | instid1(VALU_DEP_1)
	v_cmp_lt_u64_e32 vcc_lo, 0xffffff, v[0:1]
	v_add_nc_u32_e32 v2, 15, v5
	v_cndmask_b32_e32 v4, v30, v2, vcc_lo
	v_cndmask_b32_e64 v2, 0, 1, vcc_lo
	s_delay_alu instid0(VALU_DEP_1)
	v_lshrrev_b64 v[2:3], v2, v[0:1]
; %bb.13549:                            ;   in Loop: Header=BB6_12942 Depth=2
	s_and_not1_saveexec_b32 s10, s10
; %bb.13550:                            ;   in Loop: Header=BB6_12942 Depth=2
	v_mov_b64_e32 v[2:3], v[0:1]
	v_bfe_u32 v4, v0, 23, 1
; %bb.13551:                            ;   in Loop: Header=BB6_12942 Depth=2
	s_or_b32 exec_lo, exec_lo, s10
	s_delay_alu instid0(VALU_DEP_2) | instskip(NEXT) | instid1(VALU_DEP_2)
	v_lshrrev_b64 v[2:3], 21, v[2:3]
	v_cmp_gt_i32_e32 vcc_lo, 32, v4
	v_min_i32_e32 v0, 31, v4
	v_cmp_eq_u32_e64 s10, 0, v4
	s_delay_alu instid0(VALU_DEP_2) | instskip(SKIP_1) | instid1(VALU_DEP_2)
	v_dual_cndmask_b32 v3, 0, v3 :: v_dual_lshlrev_b32 v0, 2, v0
	v_cndmask_b32_e32 v2, 3, v2, vcc_lo
	v_and_b32_e32 v0, 0xfc, v0
	s_delay_alu instid0(VALU_DEP_2) | instskip(NEXT) | instid1(VALU_DEP_2)
	v_cmp_eq_u64_e32 vcc_lo, 0, v[2:3]
	v_and_or_b32 v0, v2, 3, v0
	s_and_b32 s10, s10, vcc_lo
	s_delay_alu instid0(VALU_DEP_1) | instid1(SALU_CYCLE_1)
	v_cndmask_b32_e64 v0, v0, 0, s10
	s_delay_alu instid0(VALU_DEP_1)
	v_or_b32_e32 v30, v0, v7
.LBB6_13552:                            ;   in Loop: Header=BB6_12942 Depth=2
	s_or_b32 exec_lo, exec_lo, s41
                                        ; implicit-def: $vgpr7
.LBB6_13553:                            ;   in Loop: Header=BB6_12942 Depth=2
	s_and_not1_saveexec_b32 s10, s40
; %bb.13554:                            ;   in Loop: Header=BB6_12942 Depth=2
	v_or_b32_e32 v30, 0x7b, v7
; %bb.13555:                            ;   in Loop: Header=BB6_12942 Depth=2
	s_or_b32 exec_lo, exec_lo, s10
                                        ; implicit-def: $vgpr2
                                        ; implicit-def: $vgpr3
.LBB6_13556:                            ;   in Loop: Header=BB6_12942 Depth=2
	s_and_not1_saveexec_b32 s10, s29
	s_cbranch_execz .LBB6_13562
; %bb.13557:                            ;   in Loop: Header=BB6_12942 Depth=2
	s_mov_b32 s29, exec_lo
                                        ; implicit-def: $vgpr30
	v_cmpx_ne_u64_e32 0, v[0:1]
	s_xor_b32 s29, exec_lo, s29
; %bb.13558:                            ;   in Loop: Header=BB6_12942 Depth=2
	v_or_b32_e32 v30, 0x7f, v3
                                        ; implicit-def: $vgpr2
; %bb.13559:                            ;   in Loop: Header=BB6_12942 Depth=2
	s_and_not1_saveexec_b32 s29, s29
; %bb.13560:                            ;   in Loop: Header=BB6_12942 Depth=2
	v_cmp_lt_i32_e32 vcc_lo, -1, v2
	v_mov_b32_e32 v0, 0x7c
	s_delay_alu instid0(VALU_DEP_1)
	v_cndmask_b32_e32 v30, 0xfc, v0, vcc_lo
; %bb.13561:                            ;   in Loop: Header=BB6_12942 Depth=2
	s_or_b32 exec_lo, exec_lo, s29
.LBB6_13562:                            ;   in Loop: Header=BB6_12942 Depth=2
	s_delay_alu instid0(SALU_CYCLE_1) | instskip(SKIP_4) | instid1(VALU_DEP_2)
	s_or_b32 exec_lo, exec_lo, s10
	v_lshl_or_b32 v37, v33, 8, v6
	v_dual_lshlrev_b32 v0, 16, v35 :: v_dual_lshlrev_b32 v2, 24, v36
	v_mov_b32_e32 v4, 0
	s_mov_b32 s10, exec_lo
	v_or3_b32 v0, v0, v2, v37
	v_cmpx_ne_u32_e32 0, v6
	s_cbranch_execz .LBB6_13572
; %bb.13563:                            ;   in Loop: Header=BB6_12942 Depth=2
	v_bfrev_b32_e32 v4, 1
	s_mov_b32 s29, exec_lo
	v_cmpx_ne_u32_e32 0x80, v6
	s_cbranch_execz .LBB6_13571
; %bb.13564:                            ;   in Loop: Header=BB6_12942 Depth=2
	v_and_b32_e32 v3, 0x7c, v6
	v_and_b32_e32 v2, 3, v6
	s_mov_b32 s40, exec_lo
                                        ; implicit-def: $vgpr4
	s_delay_alu instid0(VALU_DEP_2)
	v_cmpx_ne_u32_e32 0x7c, v3
	s_xor_b32 s40, exec_lo, s40
	s_cbranch_execz .LBB6_13568
; %bb.13565:                            ;   in Loop: Header=BB6_12942 Depth=2
	v_bfe_u32 v3, v6, 2, 5
	s_mov_b32 s41, exec_lo
	s_delay_alu instid0(VALU_DEP_1)
	v_cmpx_eq_u32_e32 0, v3
; %bb.13566:                            ;   in Loop: Header=BB6_12942 Depth=2
	v_clz_i32_u32_e32 v2, v2
	s_delay_alu instid0(VALU_DEP_1) | instskip(NEXT) | instid1(VALU_DEP_1)
	v_min_u32_e32 v4, 32, v2
	v_subrev_nc_u32_e32 v2, 29, v4
	s_delay_alu instid0(VALU_DEP_1) | instskip(NEXT) | instid1(VALU_DEP_1)
	v_lshlrev_b64_e32 v[2:3], v2, v[0:1]
	v_dual_sub_nc_u32 v3, 30, v4 :: v_dual_bitop2_b32 v2, 3, v2 bitop3:0x40
; %bb.13567:                            ;   in Loop: Header=BB6_12942 Depth=2
	s_or_b32 exec_lo, exec_lo, s41
	v_lshlrev_b32_e32 v4, 24, v6
                                        ; implicit-def: $vgpr6
	s_delay_alu instid0(VALU_DEP_1) | instskip(NEXT) | instid1(VALU_DEP_1)
	v_and_b32_e32 v4, 0x80000000, v4
	v_lshl_add_u32 v3, v3, 23, v4
	s_delay_alu instid0(VALU_DEP_1) | instskip(NEXT) | instid1(VALU_DEP_1)
	v_lshl_or_b32 v2, v2, 21, v3
	v_add_nc_u32_e32 v4, 0x38000000, v2
                                        ; implicit-def: $vgpr2
.LBB6_13568:                            ;   in Loop: Header=BB6_12942 Depth=2
	s_and_not1_saveexec_b32 s40, s40
; %bb.13569:                            ;   in Loop: Header=BB6_12942 Depth=2
	v_and_b32_e32 v3, 0x80, v6
	s_delay_alu instid0(VALU_DEP_1) | instskip(SKIP_1) | instid1(VALU_DEP_1)
	v_cmp_eq_u32_e32 vcc_lo, 0, v3
	v_mov_b32_e32 v3, 0x7f800000
	v_cndmask_b32_e32 v3, 0xff800000, v3, vcc_lo
	v_cmp_eq_u32_e32 vcc_lo, 0, v2
	s_delay_alu instid0(VALU_DEP_2)
	v_cndmask_b32_e32 v4, 0x7f800001, v3, vcc_lo
; %bb.13570:                            ;   in Loop: Header=BB6_12942 Depth=2
	s_or_b32 exec_lo, exec_lo, s40
.LBB6_13571:                            ;   in Loop: Header=BB6_12942 Depth=2
	s_delay_alu instid0(SALU_CYCLE_1)
	s_or_b32 exec_lo, exec_lo, s29
.LBB6_13572:                            ;   in Loop: Header=BB6_12942 Depth=2
	s_delay_alu instid0(SALU_CYCLE_1) | instskip(SKIP_4) | instid1(VALU_DEP_2)
	s_or_b32 exec_lo, exec_lo, s10
	v_and_b32_e32 v3, 0xff, v11
	v_mov_b32_e32 v2, v11
	s_mov_b32 s29, 0
	s_mov_b32 s10, exec_lo
	v_cmpx_lt_i16_e32 0x7f, v3
	s_xor_b32 s10, exec_lo, s10
	s_cbranch_execnz .LBB6_13969
; %bb.13573:                            ;   in Loop: Header=BB6_12942 Depth=2
	s_or_saveexec_b32 s10, s10
	v_bfrev_b32_e32 v5, 1
	s_xor_b32 exec_lo, exec_lo, s10
	s_cbranch_execnz .LBB6_13972
.LBB6_13574:                            ;   in Loop: Header=BB6_12942 Depth=2
	s_or_b32 exec_lo, exec_lo, s10
	v_mov_b32_e32 v3, v1
	s_and_saveexec_b32 s10, s29
	s_cbranch_execz .LBB6_13576
.LBB6_13575:                            ;   in Loop: Header=BB6_12942 Depth=2
	v_and_b32_e32 v5, 3, v11
	s_delay_alu instid0(VALU_DEP_1) | instskip(NEXT) | instid1(VALU_DEP_1)
	v_clz_i32_u32_e32 v6, v5
	v_min_u32_e32 v33, 32, v6
	s_delay_alu instid0(VALU_DEP_1) | instskip(NEXT) | instid1(VALU_DEP_1)
	v_subrev_nc_u32_e32 v6, 29, v33
	v_lshlrev_b64_e32 v[6:7], v6, v[2:3]
	v_bfe_u32 v7, v11, 2, 5
	v_dual_lshlrev_b32 v3, 24, v11 :: v_dual_sub_nc_u32 v33, 30, v33
	s_delay_alu instid0(VALU_DEP_2) | instskip(NEXT) | instid1(VALU_DEP_2)
	v_cmp_eq_u32_e32 vcc_lo, 0, v7
	v_and_b32_e32 v3, 0x80000000, v3
	s_delay_alu instid0(VALU_DEP_3) | instskip(SKIP_1) | instid1(VALU_DEP_2)
	v_dual_cndmask_b32 v7, v7, v33, vcc_lo :: v_dual_bitop2_b32 v6, 3, v6 bitop3:0x40
	v_bfe_i32 v33, v11, 0, 8
	v_cndmask_b32_e32 v6, v5, v6, vcc_lo
	s_delay_alu instid0(VALU_DEP_3) | instskip(NEXT) | instid1(VALU_DEP_3)
	v_lshl_add_u32 v3, v7, 23, v3
	v_cmp_lt_i16_e32 vcc_lo, -1, v33
	v_mov_b32_e32 v7, 0x7f800000
	s_delay_alu instid0(VALU_DEP_3) | instskip(SKIP_1) | instid1(VALU_DEP_3)
	v_lshl_or_b32 v3, v6, 21, v3
	v_and_b32_e32 v6, 0x7c, v11
	v_cndmask_b32_e32 v7, 0xff800000, v7, vcc_lo
	v_cmp_eq_u32_e32 vcc_lo, 0, v5
	s_delay_alu instid0(VALU_DEP_4) | instskip(NEXT) | instid1(VALU_DEP_3)
	v_add_nc_u32_e32 v3, 0x38000000, v3
	v_cndmask_b32_e32 v5, 0x7f800001, v7, vcc_lo
	v_cmp_eq_u32_e32 vcc_lo, 0x7c, v6
	s_delay_alu instid0(VALU_DEP_2)
	v_cndmask_b32_e32 v5, v3, v5, vcc_lo
.LBB6_13576:                            ;   in Loop: Header=BB6_12942 Depth=2
	s_or_b32 exec_lo, exec_lo, s10
	s_delay_alu instid0(VALU_DEP_1) | instskip(SKIP_2) | instid1(VALU_DEP_2)
	v_dual_add_f32 v6, v4, v5 :: v_dual_mov_b32 v39, v1
	v_mov_b32_e32 v5, v1
                                        ; implicit-def: $vgpr33
	s_mov_b32 s10, exec_lo
	v_and_b32_e32 v38, 0x7f800000, v6
	v_and_b32_e32 v4, 0x7fffff, v6
	v_lshrrev_b32_e32 v3, 24, v6
	s_delay_alu instid0(VALU_DEP_3)
	v_cmpx_ne_u64_e32 0x7f800000, v[38:39]
	s_xor_b32 s29, exec_lo, s10
	s_cbranch_execz .LBB6_13590
; %bb.13577:                            ;   in Loop: Header=BB6_12942 Depth=2
	v_and_b32_e32 v38, 0x7fffffff, v6
	v_mov_b32_e32 v39, v1
	v_and_b32_e32 v3, 0x80, v3
                                        ; implicit-def: $vgpr33
	s_mov_b32 s10, exec_lo
	s_delay_alu instid0(VALU_DEP_2)
	v_cmpx_gt_u64_e32 0x47600001, v[38:39]
	s_xor_b32 s40, exec_lo, s10
	s_cbranch_execz .LBB6_13587
; %bb.13578:                            ;   in Loop: Header=BB6_12942 Depth=2
	v_mov_b32_e32 v33, 0
	s_mov_b32 s41, exec_lo
	v_cmpx_ne_u32_e32 0, v6
	s_cbranch_execz .LBB6_13586
; %bb.13579:                            ;   in Loop: Header=BB6_12942 Depth=2
	v_bfe_u32 v33, v6, 23, 8
	v_or_b32_e32 v36, 0x800000, v4
	s_delay_alu instid0(VALU_DEP_2) | instskip(SKIP_1) | instid1(VALU_DEP_2)
	v_sub_nc_u32_e32 v6, 0x71, v33
	v_cmp_gt_u32_e32 vcc_lo, 0x72, v33
	v_cndmask_b32_e32 v6, 0, v6, vcc_lo
	v_cmp_eq_u32_e32 vcc_lo, 0, v33
	s_delay_alu instid0(VALU_DEP_2) | instskip(NEXT) | instid1(VALU_DEP_1)
	v_cndmask_b32_e64 v35, v6, 0x70, vcc_lo
	v_dual_cndmask_b32 v4, v36, v4, vcc_lo :: v_dual_add_nc_u32 v6, 21, v35
	v_add_nc_u32_e32 v38, 20, v35
	s_delay_alu instid0(VALU_DEP_2) | instskip(NEXT) | instid1(VALU_DEP_2)
	v_lshlrev_b64_e64 v[6:7], v6, -1
	v_lshlrev_b64_e64 v[38:39], v38, 1
	s_delay_alu instid0(VALU_DEP_2) | instskip(SKIP_1) | instid1(VALU_DEP_4)
	v_bfi_b32 v6, v6, 0, v4
	v_lshrrev_b64 v[4:5], v35, v[4:5]
	v_bfi_b32 v7, v7, 0, 0
	s_delay_alu instid0(VALU_DEP_1) | instskip(NEXT) | instid1(VALU_DEP_3)
	v_cmp_eq_u64_e64 s10, v[6:7], v[38:39]
	v_mov_b64_e32 v[6:7], v[4:5]
	s_and_saveexec_b32 s42, s10
; %bb.13580:                            ;   in Loop: Header=BB6_12942 Depth=2
	v_bfe_u32 v6, v4, 21, 1
	v_mov_b32_e32 v7, v1
	s_delay_alu instid0(VALU_DEP_1) | instskip(NEXT) | instid1(VALU_DEP_1)
	v_add_nc_u64_e32 v[6:7], v[4:5], v[6:7]
	v_add_nc_u64_e32 v[6:7], -1, v[6:7]
; %bb.13581:                            ;   in Loop: Header=BB6_12942 Depth=2
	s_or_b32 exec_lo, exec_lo, s42
	v_add_nc_u32_e32 v5, 0xffffff81, v33
	v_lshrrev_b32_e32 v7, 23, v4
	s_mov_b32 s10, exec_lo
	s_delay_alu instid0(VALU_DEP_2) | instskip(NEXT) | instid1(VALU_DEP_1)
	v_cndmask_b32_e64 v5, v5, 0xffffff82, vcc_lo
	v_add3_u32 v7, v35, v5, v7
	v_and_b32_e32 v5, 0x1fffff, v6
                                        ; implicit-def: $vgpr6
	s_delay_alu instid0(VALU_DEP_1) | instskip(SKIP_1) | instid1(VALU_DEP_2)
	v_dual_add_nc_u32 v33, 14, v7 :: v_dual_add_nc_u32 v4, v5, v4
	v_mov_b32_e32 v5, v1
	v_cmpx_ne_u32_e32 0, v33
	s_xor_b32 s10, exec_lo, s10
; %bb.13582:                            ;   in Loop: Header=BB6_12942 Depth=2
	s_delay_alu instid0(VALU_DEP_2) | instskip(SKIP_2) | instid1(VALU_DEP_2)
	v_cmp_lt_u64_e32 vcc_lo, 0xffffff, v[4:5]
	v_add_nc_u32_e32 v6, 15, v7
	v_cndmask_b32_e64 v7, 0, 1, vcc_lo
	v_cndmask_b32_e32 v6, v33, v6, vcc_lo
	s_delay_alu instid0(VALU_DEP_2)
	v_lshrrev_b64 v[4:5], v7, v[4:5]
; %bb.13583:                            ;   in Loop: Header=BB6_12942 Depth=2
	s_and_not1_saveexec_b32 s10, s10
; %bb.13584:                            ;   in Loop: Header=BB6_12942 Depth=2
	s_delay_alu instid0(VALU_DEP_1)
	v_bfe_u32 v6, v4, 23, 1
; %bb.13585:                            ;   in Loop: Header=BB6_12942 Depth=2
	s_or_b32 exec_lo, exec_lo, s10
	s_delay_alu instid0(VALU_DEP_2) | instskip(NEXT) | instid1(VALU_DEP_2)
	v_lshrrev_b64 v[4:5], 21, v[4:5]
	v_cmp_gt_i32_e32 vcc_lo, 32, v6
	v_min_i32_e32 v7, 31, v6
	v_cmp_eq_u32_e64 s10, 0, v6
	s_delay_alu instid0(VALU_DEP_2) | instskip(SKIP_1) | instid1(VALU_DEP_2)
	v_dual_cndmask_b32 v5, 0, v5, vcc_lo :: v_dual_lshlrev_b32 v7, 2, v7
	v_cndmask_b32_e32 v4, 3, v4, vcc_lo
	v_and_b32_e32 v7, 0xfc, v7
	s_delay_alu instid0(VALU_DEP_2) | instskip(NEXT) | instid1(VALU_DEP_2)
	v_cmp_eq_u64_e32 vcc_lo, 0, v[4:5]
	v_and_or_b32 v4, v4, 3, v7
	s_and_b32 s10, s10, vcc_lo
	s_delay_alu instid0(VALU_DEP_1) | instid1(SALU_CYCLE_1)
	v_cndmask_b32_e64 v4, v4, 0, s10
	s_delay_alu instid0(VALU_DEP_1)
	v_or_b32_e32 v33, v4, v3
.LBB6_13586:                            ;   in Loop: Header=BB6_12942 Depth=2
	s_or_b32 exec_lo, exec_lo, s41
                                        ; implicit-def: $vgpr3
.LBB6_13587:                            ;   in Loop: Header=BB6_12942 Depth=2
	s_and_not1_saveexec_b32 s10, s40
; %bb.13588:                            ;   in Loop: Header=BB6_12942 Depth=2
	v_or_b32_e32 v33, 0x7b, v3
; %bb.13589:                            ;   in Loop: Header=BB6_12942 Depth=2
	s_or_b32 exec_lo, exec_lo, s10
                                        ; implicit-def: $vgpr6
                                        ; implicit-def: $vgpr4_vgpr5
                                        ; implicit-def: $vgpr3
.LBB6_13590:                            ;   in Loop: Header=BB6_12942 Depth=2
	s_and_not1_saveexec_b32 s10, s29
	s_cbranch_execz .LBB6_13596
; %bb.13591:                            ;   in Loop: Header=BB6_12942 Depth=2
	s_mov_b32 s29, exec_lo
                                        ; implicit-def: $vgpr33
	v_cmpx_ne_u64_e32 0, v[4:5]
	s_xor_b32 s29, exec_lo, s29
; %bb.13592:                            ;   in Loop: Header=BB6_12942 Depth=2
	v_or_b32_e32 v33, 0x7f, v3
                                        ; implicit-def: $vgpr6
; %bb.13593:                            ;   in Loop: Header=BB6_12942 Depth=2
	s_and_not1_saveexec_b32 s29, s29
; %bb.13594:                            ;   in Loop: Header=BB6_12942 Depth=2
	v_cmp_lt_i32_e32 vcc_lo, -1, v6
	v_mov_b32_e32 v3, 0x7c
	s_delay_alu instid0(VALU_DEP_1)
	v_cndmask_b32_e32 v33, 0xfc, v3, vcc_lo
; %bb.13595:                            ;   in Loop: Header=BB6_12942 Depth=2
	s_or_b32 exec_lo, exec_lo, s29
.LBB6_13596:                            ;   in Loop: Header=BB6_12942 Depth=2
	s_delay_alu instid0(SALU_CYCLE_1) | instskip(SKIP_3) | instid1(VALU_DEP_2)
	s_or_b32 exec_lo, exec_lo, s10
	v_lshrrev_b16 v4, 8, v37
	v_mov_b32_e32 v3, 0
	s_mov_b32 s10, exec_lo
	v_cmpx_ne_u16_e32 0, v4
	s_cbranch_execz .LBB6_13606
; %bb.13597:                            ;   in Loop: Header=BB6_12942 Depth=2
	v_bfrev_b32_e32 v3, 1
	s_mov_b32 s29, exec_lo
	v_cmpx_ne_u16_e32 0x80, v4
	s_cbranch_execz .LBB6_13605
; %bb.13598:                            ;   in Loop: Header=BB6_12942 Depth=2
	v_and_b32_e32 v6, 0xffff, v4
	s_delay_alu instid0(VALU_DEP_1) | instskip(SKIP_1) | instid1(VALU_DEP_2)
	v_and_b32_e32 v3, 0x7c, v6
	v_and_b32_e32 v5, 3, v6
	v_cmp_ne_u32_e32 vcc_lo, 0x7c, v3
                                        ; implicit-def: $vgpr3
	s_and_saveexec_b32 s40, vcc_lo
	s_delay_alu instid0(SALU_CYCLE_1)
	s_xor_b32 s40, exec_lo, s40
	s_cbranch_execz .LBB6_13602
; %bb.13599:                            ;   in Loop: Header=BB6_12942 Depth=2
	v_bfe_u32 v3, v6, 2, 5
	s_mov_b32 s41, exec_lo
	s_delay_alu instid0(VALU_DEP_1)
	v_cmpx_eq_u32_e32 0, v3
	s_cbranch_execz .LBB6_13601
; %bb.13600:                            ;   in Loop: Header=BB6_12942 Depth=2
	v_clz_i32_u32_e32 v3, v5
	s_delay_alu instid0(VALU_DEP_1) | instskip(SKIP_1) | instid1(VALU_DEP_2)
	v_min_u32_e32 v3, 32, v3
	v_mov_b32_e32 v5, v1
	v_subrev_nc_u32_e32 v6, 29, v3
	v_sub_nc_u32_e32 v3, 30, v3
	s_delay_alu instid0(VALU_DEP_2) | instskip(NEXT) | instid1(VALU_DEP_1)
	v_lshlrev_b64_e32 v[4:5], v6, v[4:5]
	v_and_b32_e32 v5, 3, v4
.LBB6_13601:                            ;   in Loop: Header=BB6_12942 Depth=2
	s_or_b32 exec_lo, exec_lo, s41
	v_lshlrev_b32_e32 v4, 16, v37
                                        ; implicit-def: $vgpr37
	s_delay_alu instid0(VALU_DEP_1) | instskip(NEXT) | instid1(VALU_DEP_1)
	v_and_b32_e32 v4, 0x80000000, v4
	v_lshl_add_u32 v3, v3, 23, v4
	s_delay_alu instid0(VALU_DEP_1) | instskip(NEXT) | instid1(VALU_DEP_1)
	v_lshl_or_b32 v3, v5, 21, v3
                                        ; implicit-def: $vgpr5
	v_add_nc_u32_e32 v3, 0x38000000, v3
.LBB6_13602:                            ;   in Loop: Header=BB6_12942 Depth=2
	s_and_not1_saveexec_b32 s40, s40
; %bb.13603:                            ;   in Loop: Header=BB6_12942 Depth=2
	v_cmp_lt_i16_e32 vcc_lo, -1, v37
	v_mov_b32_e32 v3, 0x7f800000
	s_delay_alu instid0(VALU_DEP_1) | instskip(SKIP_1) | instid1(VALU_DEP_2)
	v_cndmask_b32_e32 v3, 0xff800000, v3, vcc_lo
	v_cmp_eq_u32_e32 vcc_lo, 0, v5
	v_cndmask_b32_e32 v3, 0x7f800001, v3, vcc_lo
; %bb.13604:                            ;   in Loop: Header=BB6_12942 Depth=2
	s_or_b32 exec_lo, exec_lo, s40
.LBB6_13605:                            ;   in Loop: Header=BB6_12942 Depth=2
	s_delay_alu instid0(SALU_CYCLE_1)
	s_or_b32 exec_lo, exec_lo, s29
.LBB6_13606:                            ;   in Loop: Header=BB6_12942 Depth=2
	s_delay_alu instid0(SALU_CYCLE_1) | instskip(SKIP_3) | instid1(VALU_DEP_1)
	s_or_b32 exec_lo, exec_lo, s10
	v_lshrrev_b16 v4, 8, v2
	s_mov_b32 s29, 0
	s_mov_b32 s10, exec_lo
	v_cmpx_lt_i16_e32 0x7f, v4
	s_xor_b32 s10, exec_lo, s10
	s_cbranch_execnz .LBB6_13973
; %bb.13607:                            ;   in Loop: Header=BB6_12942 Depth=2
	s_or_saveexec_b32 s10, s10
	v_bfrev_b32_e32 v5, 1
	s_xor_b32 exec_lo, exec_lo, s10
	s_cbranch_execnz .LBB6_13976
.LBB6_13608:                            ;   in Loop: Header=BB6_12942 Depth=2
	s_or_b32 exec_lo, exec_lo, s10
	s_and_saveexec_b32 s10, s29
	s_cbranch_execz .LBB6_13610
.LBB6_13609:                            ;   in Loop: Header=BB6_12942 Depth=2
	v_and_b32_e32 v35, 0xffff, v4
	s_delay_alu instid0(VALU_DEP_1) | instskip(NEXT) | instid1(VALU_DEP_1)
	v_and_b32_e32 v36, 3, v35
	v_clz_i32_u32_e32 v5, v36
	s_delay_alu instid0(VALU_DEP_1) | instskip(SKIP_1) | instid1(VALU_DEP_2)
	v_min_u32_e32 v37, 32, v5
	v_mov_b32_e32 v5, v1
	v_subrev_nc_u32_e32 v6, 29, v37
	s_delay_alu instid0(VALU_DEP_1) | instskip(SKIP_2) | instid1(VALU_DEP_2)
	v_lshlrev_b64_e32 v[6:7], v6, v[4:5]
	v_bfe_u32 v5, v35, 2, 5
	v_dual_lshlrev_b32 v4, 24, v4 :: v_dual_sub_nc_u32 v7, 30, v37
	v_cmp_eq_u32_e32 vcc_lo, 0, v5
	s_delay_alu instid0(VALU_DEP_2) | instskip(NEXT) | instid1(VALU_DEP_3)
	v_and_b32_e32 v4, 0x80000000, v4
	v_dual_cndmask_b32 v5, v5, v7, vcc_lo :: v_dual_bitop2_b32 v6, 3, v6 bitop3:0x40
	s_delay_alu instid0(VALU_DEP_1) | instskip(SKIP_2) | instid1(VALU_DEP_4)
	v_cndmask_b32_e32 v6, v36, v6, vcc_lo
	v_cmp_lt_i16_e32 vcc_lo, -1, v2
	v_mov_b32_e32 v2, 0x7f800000
	v_lshl_add_u32 v4, v5, 23, v4
	v_and_b32_e32 v5, 0x7c, v35
	s_delay_alu instid0(VALU_DEP_3) | instskip(NEXT) | instid1(VALU_DEP_3)
	v_cndmask_b32_e32 v2, 0xff800000, v2, vcc_lo
	v_lshl_or_b32 v4, v6, 21, v4
	v_cmp_eq_u32_e32 vcc_lo, 0, v36
	s_delay_alu instid0(VALU_DEP_2) | instskip(NEXT) | instid1(VALU_DEP_4)
	v_add_nc_u32_e32 v4, 0x38000000, v4
	v_cndmask_b32_e32 v2, 0x7f800001, v2, vcc_lo
	v_cmp_eq_u32_e32 vcc_lo, 0x7c, v5
	s_delay_alu instid0(VALU_DEP_2)
	v_cndmask_b32_e32 v5, v4, v2, vcc_lo
.LBB6_13610:                            ;   in Loop: Header=BB6_12942 Depth=2
	s_or_b32 exec_lo, exec_lo, s10
	s_delay_alu instid0(VALU_DEP_1) | instskip(SKIP_2) | instid1(VALU_DEP_2)
	v_dual_add_f32 v4, v3, v5 :: v_dual_mov_b32 v7, v1
	v_mov_b32_e32 v3, v1
                                        ; implicit-def: $vgpr35
	s_mov_b32 s10, exec_lo
	v_and_b32_e32 v6, 0x7f800000, v4
	v_and_b32_e32 v2, 0x7fffff, v4
	v_lshrrev_b32_e32 v5, 24, v4
	s_delay_alu instid0(VALU_DEP_3)
	v_cmpx_ne_u64_e32 0x7f800000, v[6:7]
	s_xor_b32 s29, exec_lo, s10
	s_cbranch_execz .LBB6_13624
; %bb.13611:                            ;   in Loop: Header=BB6_12942 Depth=2
	v_and_b32_e32 v6, 0x7fffffff, v4
	v_mov_b32_e32 v7, v1
                                        ; implicit-def: $vgpr35
	s_delay_alu instid0(VALU_DEP_1) | instskip(SKIP_2) | instid1(SALU_CYCLE_1)
	v_cmp_gt_u64_e32 vcc_lo, 0x47600001, v[6:7]
	v_and_b32_e32 v6, 0x80, v5
	s_and_saveexec_b32 s10, vcc_lo
	s_xor_b32 s40, exec_lo, s10
	s_cbranch_execz .LBB6_13621
; %bb.13612:                            ;   in Loop: Header=BB6_12942 Depth=2
	v_mov_b32_e32 v35, 0
	s_mov_b32 s41, exec_lo
	v_cmpx_ne_u32_e32 0, v4
	s_cbranch_execz .LBB6_13620
; %bb.13613:                            ;   in Loop: Header=BB6_12942 Depth=2
	v_bfe_u32 v7, v4, 23, 8
	v_or_b32_e32 v36, 0x800000, v2
	s_delay_alu instid0(VALU_DEP_2) | instskip(SKIP_1) | instid1(VALU_DEP_2)
	v_sub_nc_u32_e32 v4, 0x71, v7
	v_cmp_gt_u32_e32 vcc_lo, 0x72, v7
	v_cndmask_b32_e32 v4, 0, v4, vcc_lo
	v_cmp_eq_u32_e32 vcc_lo, 0, v7
	s_delay_alu instid0(VALU_DEP_2) | instskip(NEXT) | instid1(VALU_DEP_1)
	v_cndmask_b32_e64 v35, v4, 0x70, vcc_lo
	v_dual_cndmask_b32 v2, v36, v2, vcc_lo :: v_dual_add_nc_u32 v4, 21, v35
	v_add_nc_u32_e32 v37, 20, v35
	s_delay_alu instid0(VALU_DEP_2) | instskip(NEXT) | instid1(VALU_DEP_2)
	v_lshlrev_b64_e64 v[4:5], v4, -1
	v_lshlrev_b64_e64 v[36:37], v37, 1
	s_delay_alu instid0(VALU_DEP_2) | instskip(SKIP_1) | instid1(VALU_DEP_4)
	v_bfi_b32 v4, v4, 0, v2
	v_lshrrev_b64 v[2:3], v35, v[2:3]
	v_bfi_b32 v5, v5, 0, 0
	s_delay_alu instid0(VALU_DEP_1) | instskip(NEXT) | instid1(VALU_DEP_3)
	v_cmp_eq_u64_e64 s10, v[4:5], v[36:37]
	v_mov_b64_e32 v[4:5], v[2:3]
	s_and_saveexec_b32 s42, s10
; %bb.13614:                            ;   in Loop: Header=BB6_12942 Depth=2
	v_bfe_u32 v4, v2, 21, 1
	v_mov_b32_e32 v5, v1
	s_delay_alu instid0(VALU_DEP_1) | instskip(NEXT) | instid1(VALU_DEP_1)
	v_add_nc_u64_e32 v[4:5], v[2:3], v[4:5]
	v_add_nc_u64_e32 v[4:5], -1, v[4:5]
; %bb.13615:                            ;   in Loop: Header=BB6_12942 Depth=2
	s_or_b32 exec_lo, exec_lo, s42
	v_add_nc_u32_e32 v3, 0xffffff81, v7
	v_lshrrev_b32_e32 v5, 23, v2
	s_mov_b32 s10, exec_lo
	s_delay_alu instid0(VALU_DEP_2) | instskip(NEXT) | instid1(VALU_DEP_1)
	v_cndmask_b32_e64 v3, v3, 0xffffff82, vcc_lo
	v_add3_u32 v5, v35, v3, v5
	v_and_b32_e32 v3, 0x1fffff, v4
                                        ; implicit-def: $vgpr4
	s_delay_alu instid0(VALU_DEP_1) | instskip(SKIP_1) | instid1(VALU_DEP_2)
	v_dual_add_nc_u32 v7, 14, v5 :: v_dual_add_nc_u32 v2, v3, v2
	v_mov_b32_e32 v3, v1
	v_cmpx_ne_u32_e32 0, v7
	s_xor_b32 s10, exec_lo, s10
; %bb.13616:                            ;   in Loop: Header=BB6_12942 Depth=2
	s_delay_alu instid0(VALU_DEP_2) | instskip(SKIP_2) | instid1(VALU_DEP_2)
	v_cmp_lt_u64_e32 vcc_lo, 0xffffff, v[2:3]
	v_add_nc_u32_e32 v4, 15, v5
	v_cndmask_b32_e64 v5, 0, 1, vcc_lo
	v_cndmask_b32_e32 v4, v7, v4, vcc_lo
	s_delay_alu instid0(VALU_DEP_2)
	v_lshrrev_b64 v[2:3], v5, v[2:3]
; %bb.13617:                            ;   in Loop: Header=BB6_12942 Depth=2
	s_and_not1_saveexec_b32 s10, s10
; %bb.13618:                            ;   in Loop: Header=BB6_12942 Depth=2
	s_delay_alu instid0(VALU_DEP_1)
	v_bfe_u32 v4, v2, 23, 1
; %bb.13619:                            ;   in Loop: Header=BB6_12942 Depth=2
	s_or_b32 exec_lo, exec_lo, s10
	s_delay_alu instid0(VALU_DEP_2) | instskip(NEXT) | instid1(VALU_DEP_2)
	v_lshrrev_b64 v[2:3], 21, v[2:3]
	v_cmp_gt_i32_e32 vcc_lo, 32, v4
	v_min_i32_e32 v5, 31, v4
	v_cmp_eq_u32_e64 s10, 0, v4
	s_delay_alu instid0(VALU_DEP_2) | instskip(SKIP_1) | instid1(VALU_DEP_2)
	v_dual_cndmask_b32 v3, 0, v3, vcc_lo :: v_dual_lshlrev_b32 v5, 2, v5
	v_cndmask_b32_e32 v2, 3, v2, vcc_lo
	v_and_b32_e32 v5, 0xfc, v5
	s_delay_alu instid0(VALU_DEP_2) | instskip(NEXT) | instid1(VALU_DEP_2)
	v_cmp_eq_u64_e32 vcc_lo, 0, v[2:3]
	v_and_or_b32 v2, v2, 3, v5
	s_and_b32 s10, s10, vcc_lo
	s_delay_alu instid0(VALU_DEP_1) | instid1(SALU_CYCLE_1)
	v_cndmask_b32_e64 v2, v2, 0, s10
	s_delay_alu instid0(VALU_DEP_1)
	v_or_b32_e32 v35, v2, v6
.LBB6_13620:                            ;   in Loop: Header=BB6_12942 Depth=2
	s_or_b32 exec_lo, exec_lo, s41
                                        ; implicit-def: $vgpr6
.LBB6_13621:                            ;   in Loop: Header=BB6_12942 Depth=2
	s_and_not1_saveexec_b32 s10, s40
; %bb.13622:                            ;   in Loop: Header=BB6_12942 Depth=2
	v_or_b32_e32 v35, 0x7b, v6
; %bb.13623:                            ;   in Loop: Header=BB6_12942 Depth=2
	s_or_b32 exec_lo, exec_lo, s10
                                        ; implicit-def: $vgpr4
                                        ; implicit-def: $vgpr2_vgpr3
                                        ; implicit-def: $vgpr5
.LBB6_13624:                            ;   in Loop: Header=BB6_12942 Depth=2
	s_and_not1_saveexec_b32 s10, s29
	s_cbranch_execz .LBB6_13630
; %bb.13625:                            ;   in Loop: Header=BB6_12942 Depth=2
	s_mov_b32 s29, exec_lo
                                        ; implicit-def: $vgpr35
	v_cmpx_ne_u64_e32 0, v[2:3]
	s_xor_b32 s29, exec_lo, s29
; %bb.13626:                            ;   in Loop: Header=BB6_12942 Depth=2
	v_or_b32_e32 v35, 0x7f, v5
                                        ; implicit-def: $vgpr4
; %bb.13627:                            ;   in Loop: Header=BB6_12942 Depth=2
	s_and_not1_saveexec_b32 s29, s29
; %bb.13628:                            ;   in Loop: Header=BB6_12942 Depth=2
	v_cmp_lt_i32_e32 vcc_lo, -1, v4
	v_mov_b32_e32 v2, 0x7c
	s_delay_alu instid0(VALU_DEP_1)
	v_cndmask_b32_e32 v35, 0xfc, v2, vcc_lo
; %bb.13629:                            ;   in Loop: Header=BB6_12942 Depth=2
	s_or_b32 exec_lo, exec_lo, s29
.LBB6_13630:                            ;   in Loop: Header=BB6_12942 Depth=2
	s_delay_alu instid0(SALU_CYCLE_1) | instskip(SKIP_2) | instid1(VALU_DEP_1)
	s_or_b32 exec_lo, exec_lo, s10
	v_dual_mov_b32 v3, 0 :: v_dual_lshrrev_b32 v2, 16, v0
	s_mov_b32 s10, exec_lo
	v_and_b32_e32 v4, 0xff, v2
	s_delay_alu instid0(VALU_DEP_1)
	v_cmpx_ne_u16_e32 0, v4
	s_cbranch_execz .LBB6_13640
; %bb.13631:                            ;   in Loop: Header=BB6_12942 Depth=2
	v_bfrev_b32_e32 v3, 1
	s_mov_b32 s29, exec_lo
	v_cmpx_ne_u16_e32 0x80, v4
	s_cbranch_execz .LBB6_13639
; %bb.13632:                            ;   in Loop: Header=BB6_12942 Depth=2
	v_and_b32_e32 v3, 0x7c0000, v0
	v_bfe_u32 v4, v0, 16, 2
	s_delay_alu instid0(VALU_DEP_2) | instskip(SKIP_1) | instid1(SALU_CYCLE_1)
	v_cmp_ne_u32_e32 vcc_lo, 0x7c0000, v3
                                        ; implicit-def: $vgpr3
	s_and_saveexec_b32 s40, vcc_lo
	s_xor_b32 s40, exec_lo, s40
	s_cbranch_execz .LBB6_13636
; %bb.13633:                            ;   in Loop: Header=BB6_12942 Depth=2
	v_bfe_u32 v3, v0, 18, 5
	s_mov_b32 s41, exec_lo
	s_delay_alu instid0(VALU_DEP_1)
	v_cmpx_eq_u32_e32 0, v3
; %bb.13634:                            ;   in Loop: Header=BB6_12942 Depth=2
	v_clz_i32_u32_e32 v3, v4
	s_delay_alu instid0(VALU_DEP_1) | instskip(NEXT) | instid1(VALU_DEP_1)
	v_min_u32_e32 v3, 32, v3
	v_subrev_nc_u32_e32 v4, 29, v3
	s_delay_alu instid0(VALU_DEP_1) | instskip(NEXT) | instid1(VALU_DEP_1)
	v_lshlrev_b64_e32 v[4:5], v4, v[2:3]
	v_dual_sub_nc_u32 v3, 30, v3 :: v_dual_bitop2_b32 v4, 3, v4 bitop3:0x40
; %bb.13635:                            ;   in Loop: Header=BB6_12942 Depth=2
	s_or_b32 exec_lo, exec_lo, s41
	v_lshlrev_b32_e32 v2, 24, v2
	s_delay_alu instid0(VALU_DEP_1) | instskip(NEXT) | instid1(VALU_DEP_1)
	v_and_b32_e32 v2, 0x80000000, v2
	v_lshl_add_u32 v2, v3, 23, v2
	s_delay_alu instid0(VALU_DEP_1) | instskip(NEXT) | instid1(VALU_DEP_1)
	v_lshl_or_b32 v2, v4, 21, v2
                                        ; implicit-def: $vgpr4
	v_add_nc_u32_e32 v3, 0x38000000, v2
                                        ; implicit-def: $vgpr2
.LBB6_13636:                            ;   in Loop: Header=BB6_12942 Depth=2
	s_and_not1_saveexec_b32 s40, s40
; %bb.13637:                            ;   in Loop: Header=BB6_12942 Depth=2
	v_bfe_i32 v2, v2, 0, 8
	s_delay_alu instid0(VALU_DEP_1) | instskip(SKIP_1) | instid1(VALU_DEP_1)
	v_cmp_lt_i16_e32 vcc_lo, -1, v2
	v_mov_b32_e32 v2, 0x7f800000
	v_cndmask_b32_e32 v2, 0xff800000, v2, vcc_lo
	v_cmp_eq_u32_e32 vcc_lo, 0, v4
	s_delay_alu instid0(VALU_DEP_2)
	v_cndmask_b32_e32 v3, 0x7f800001, v2, vcc_lo
; %bb.13638:                            ;   in Loop: Header=BB6_12942 Depth=2
	s_or_b32 exec_lo, exec_lo, s40
.LBB6_13639:                            ;   in Loop: Header=BB6_12942 Depth=2
	s_delay_alu instid0(SALU_CYCLE_1)
	s_or_b32 exec_lo, exec_lo, s29
.LBB6_13640:                            ;   in Loop: Header=BB6_12942 Depth=2
	s_delay_alu instid0(SALU_CYCLE_1) | instskip(SKIP_3) | instid1(VALU_DEP_1)
	s_or_b32 exec_lo, exec_lo, s10
	v_lshrrev_b32_e32 v2, 16, v11
	s_mov_b32 s29, 0
	s_mov_b32 s10, exec_lo
	v_and_b32_e32 v5, 0xff, v2
	s_delay_alu instid0(VALU_DEP_1)
	v_cmpx_lt_i16_e32 0x7f, v5
	s_xor_b32 s10, exec_lo, s10
	s_cbranch_execnz .LBB6_13977
; %bb.13641:                            ;   in Loop: Header=BB6_12942 Depth=2
	s_or_saveexec_b32 s10, s10
	v_bfrev_b32_e32 v4, 1
	s_xor_b32 exec_lo, exec_lo, s10
	s_cbranch_execnz .LBB6_13980
.LBB6_13642:                            ;   in Loop: Header=BB6_12942 Depth=2
	s_or_b32 exec_lo, exec_lo, s10
	s_and_saveexec_b32 s10, s29
	s_cbranch_execz .LBB6_13644
.LBB6_13643:                            ;   in Loop: Header=BB6_12942 Depth=2
	v_and_b32_e32 v6, 3, v2
	v_bfe_u32 v36, v11, 18, 5
	s_delay_alu instid0(VALU_DEP_2) | instskip(NEXT) | instid1(VALU_DEP_2)
	v_clz_i32_u32_e32 v4, v6
	v_cmp_eq_u32_e32 vcc_lo, 0, v36
	s_delay_alu instid0(VALU_DEP_2) | instskip(NEXT) | instid1(VALU_DEP_1)
	v_min_u32_e32 v7, 32, v4
	v_subrev_nc_u32_e32 v4, 29, v7
	s_delay_alu instid0(VALU_DEP_1) | instskip(SKIP_2) | instid1(VALU_DEP_2)
	v_lshlrev_b64_e32 v[4:5], v4, v[2:3]
	v_dual_lshlrev_b32 v5, 24, v2 :: v_dual_sub_nc_u32 v7, 30, v7
	v_bfe_i32 v2, v2, 0, 8
	v_and_b32_e32 v5, 0x80000000, v5
	s_delay_alu instid0(VALU_DEP_3) | instskip(NEXT) | instid1(VALU_DEP_1)
	v_dual_cndmask_b32 v7, v36, v7, vcc_lo :: v_dual_bitop2_b32 v4, 3, v4 bitop3:0x40
	v_cndmask_b32_e32 v4, v6, v4, vcc_lo
	s_delay_alu instid0(VALU_DEP_2) | instskip(SKIP_2) | instid1(VALU_DEP_3)
	v_lshl_add_u32 v5, v7, 23, v5
	v_cmp_lt_i16_e32 vcc_lo, -1, v2
	v_mov_b32_e32 v2, 0x7f800000
	v_lshl_or_b32 v4, v4, 21, v5
	v_and_b32_e32 v5, 0x7c0000, v11
	s_delay_alu instid0(VALU_DEP_3) | instskip(SKIP_1) | instid1(VALU_DEP_4)
	v_cndmask_b32_e32 v2, 0xff800000, v2, vcc_lo
	v_cmp_eq_u32_e32 vcc_lo, 0, v6
	v_add_nc_u32_e32 v4, 0x38000000, v4
	s_delay_alu instid0(VALU_DEP_3) | instskip(SKIP_1) | instid1(VALU_DEP_2)
	v_cndmask_b32_e32 v2, 0x7f800001, v2, vcc_lo
	v_cmp_eq_u32_e32 vcc_lo, 0x7c0000, v5
	v_cndmask_b32_e32 v4, v4, v2, vcc_lo
.LBB6_13644:                            ;   in Loop: Header=BB6_12942 Depth=2
	s_or_b32 exec_lo, exec_lo, s10
	s_delay_alu instid0(VALU_DEP_1) | instskip(SKIP_2) | instid1(VALU_DEP_2)
	v_dual_add_f32 v4, v3, v4 :: v_dual_mov_b32 v7, v1
	v_mov_b32_e32 v3, v1
                                        ; implicit-def: $vgpr36
	s_mov_b32 s10, exec_lo
	v_and_b32_e32 v6, 0x7f800000, v4
	v_and_b32_e32 v2, 0x7fffff, v4
	v_lshrrev_b32_e32 v5, 24, v4
	s_delay_alu instid0(VALU_DEP_3)
	v_cmpx_ne_u64_e32 0x7f800000, v[6:7]
	s_xor_b32 s29, exec_lo, s10
	s_cbranch_execz .LBB6_13658
; %bb.13645:                            ;   in Loop: Header=BB6_12942 Depth=2
	v_and_b32_e32 v6, 0x7fffffff, v4
	v_mov_b32_e32 v7, v1
                                        ; implicit-def: $vgpr36
	s_delay_alu instid0(VALU_DEP_1) | instskip(SKIP_2) | instid1(SALU_CYCLE_1)
	v_cmp_gt_u64_e32 vcc_lo, 0x47600001, v[6:7]
	v_and_b32_e32 v6, 0x80, v5
	s_and_saveexec_b32 s10, vcc_lo
	s_xor_b32 s40, exec_lo, s10
	s_cbranch_execz .LBB6_13655
; %bb.13646:                            ;   in Loop: Header=BB6_12942 Depth=2
	v_mov_b32_e32 v36, 0
	s_mov_b32 s41, exec_lo
	v_cmpx_ne_u32_e32 0, v4
	s_cbranch_execz .LBB6_13654
; %bb.13647:                            ;   in Loop: Header=BB6_12942 Depth=2
	v_bfe_u32 v7, v4, 23, 8
	v_or_b32_e32 v37, 0x800000, v2
	s_delay_alu instid0(VALU_DEP_2) | instskip(SKIP_1) | instid1(VALU_DEP_2)
	v_sub_nc_u32_e32 v4, 0x71, v7
	v_cmp_gt_u32_e32 vcc_lo, 0x72, v7
	v_cndmask_b32_e32 v4, 0, v4, vcc_lo
	v_cmp_eq_u32_e32 vcc_lo, 0, v7
	v_cndmask_b32_e32 v2, v37, v2, vcc_lo
	s_delay_alu instid0(VALU_DEP_3) | instskip(NEXT) | instid1(VALU_DEP_1)
	v_cndmask_b32_e64 v36, v4, 0x70, vcc_lo
	v_dual_add_nc_u32 v4, 21, v36 :: v_dual_add_nc_u32 v38, 20, v36
	s_delay_alu instid0(VALU_DEP_1) | instskip(NEXT) | instid1(VALU_DEP_2)
	v_lshlrev_b64_e64 v[4:5], v4, -1
	v_lshlrev_b64_e64 v[38:39], v38, 1
	s_delay_alu instid0(VALU_DEP_2) | instskip(SKIP_1) | instid1(VALU_DEP_4)
	v_bfi_b32 v4, v4, 0, v2
	v_lshrrev_b64 v[2:3], v36, v[2:3]
	v_bfi_b32 v5, v5, 0, 0
	s_delay_alu instid0(VALU_DEP_1) | instskip(NEXT) | instid1(VALU_DEP_3)
	v_cmp_eq_u64_e64 s10, v[4:5], v[38:39]
	v_mov_b64_e32 v[4:5], v[2:3]
	s_and_saveexec_b32 s42, s10
; %bb.13648:                            ;   in Loop: Header=BB6_12942 Depth=2
	v_bfe_u32 v4, v2, 21, 1
	v_mov_b32_e32 v5, v1
	s_delay_alu instid0(VALU_DEP_1) | instskip(NEXT) | instid1(VALU_DEP_1)
	v_add_nc_u64_e32 v[4:5], v[2:3], v[4:5]
	v_add_nc_u64_e32 v[4:5], -1, v[4:5]
; %bb.13649:                            ;   in Loop: Header=BB6_12942 Depth=2
	s_or_b32 exec_lo, exec_lo, s42
	v_add_nc_u32_e32 v3, 0xffffff81, v7
	v_lshrrev_b32_e32 v5, 23, v2
	s_mov_b32 s10, exec_lo
	s_delay_alu instid0(VALU_DEP_2) | instskip(NEXT) | instid1(VALU_DEP_1)
	v_cndmask_b32_e64 v3, v3, 0xffffff82, vcc_lo
	v_add3_u32 v5, v36, v3, v5
	v_and_b32_e32 v3, 0x1fffff, v4
                                        ; implicit-def: $vgpr4
	s_delay_alu instid0(VALU_DEP_1) | instskip(SKIP_1) | instid1(VALU_DEP_2)
	v_dual_add_nc_u32 v7, 14, v5 :: v_dual_add_nc_u32 v2, v3, v2
	v_mov_b32_e32 v3, v1
	v_cmpx_ne_u32_e32 0, v7
	s_xor_b32 s10, exec_lo, s10
; %bb.13650:                            ;   in Loop: Header=BB6_12942 Depth=2
	s_delay_alu instid0(VALU_DEP_2) | instskip(SKIP_2) | instid1(VALU_DEP_2)
	v_cmp_lt_u64_e32 vcc_lo, 0xffffff, v[2:3]
	v_add_nc_u32_e32 v4, 15, v5
	v_cndmask_b32_e64 v5, 0, 1, vcc_lo
	v_cndmask_b32_e32 v4, v7, v4, vcc_lo
	s_delay_alu instid0(VALU_DEP_2)
	v_lshrrev_b64 v[2:3], v5, v[2:3]
; %bb.13651:                            ;   in Loop: Header=BB6_12942 Depth=2
	s_and_not1_saveexec_b32 s10, s10
; %bb.13652:                            ;   in Loop: Header=BB6_12942 Depth=2
	s_delay_alu instid0(VALU_DEP_1)
	v_bfe_u32 v4, v2, 23, 1
; %bb.13653:                            ;   in Loop: Header=BB6_12942 Depth=2
	s_or_b32 exec_lo, exec_lo, s10
	s_delay_alu instid0(VALU_DEP_2) | instskip(NEXT) | instid1(VALU_DEP_2)
	v_lshrrev_b64 v[2:3], 21, v[2:3]
	v_cmp_gt_i32_e32 vcc_lo, 32, v4
	v_min_i32_e32 v5, 31, v4
	v_cmp_eq_u32_e64 s10, 0, v4
	s_delay_alu instid0(VALU_DEP_2) | instskip(SKIP_1) | instid1(VALU_DEP_2)
	v_dual_cndmask_b32 v3, 0, v3, vcc_lo :: v_dual_lshlrev_b32 v5, 2, v5
	v_cndmask_b32_e32 v2, 3, v2, vcc_lo
	v_and_b32_e32 v5, 0xfc, v5
	s_delay_alu instid0(VALU_DEP_2) | instskip(NEXT) | instid1(VALU_DEP_2)
	v_cmp_eq_u64_e32 vcc_lo, 0, v[2:3]
	v_and_or_b32 v2, v2, 3, v5
	s_and_b32 s10, s10, vcc_lo
	s_delay_alu instid0(VALU_DEP_1) | instid1(SALU_CYCLE_1)
	v_cndmask_b32_e64 v2, v2, 0, s10
	s_delay_alu instid0(VALU_DEP_1)
	v_or_b32_e32 v36, v2, v6
.LBB6_13654:                            ;   in Loop: Header=BB6_12942 Depth=2
	s_or_b32 exec_lo, exec_lo, s41
                                        ; implicit-def: $vgpr6
.LBB6_13655:                            ;   in Loop: Header=BB6_12942 Depth=2
	s_and_not1_saveexec_b32 s10, s40
; %bb.13656:                            ;   in Loop: Header=BB6_12942 Depth=2
	v_or_b32_e32 v36, 0x7b, v6
; %bb.13657:                            ;   in Loop: Header=BB6_12942 Depth=2
	s_or_b32 exec_lo, exec_lo, s10
                                        ; implicit-def: $vgpr4
                                        ; implicit-def: $vgpr2_vgpr3
                                        ; implicit-def: $vgpr5
.LBB6_13658:                            ;   in Loop: Header=BB6_12942 Depth=2
	s_and_not1_saveexec_b32 s10, s29
	s_cbranch_execz .LBB6_13664
; %bb.13659:                            ;   in Loop: Header=BB6_12942 Depth=2
	s_mov_b32 s29, exec_lo
                                        ; implicit-def: $vgpr36
	v_cmpx_ne_u64_e32 0, v[2:3]
	s_xor_b32 s29, exec_lo, s29
; %bb.13660:                            ;   in Loop: Header=BB6_12942 Depth=2
	v_or_b32_e32 v36, 0x7f, v5
                                        ; implicit-def: $vgpr4
; %bb.13661:                            ;   in Loop: Header=BB6_12942 Depth=2
	s_and_not1_saveexec_b32 s29, s29
; %bb.13662:                            ;   in Loop: Header=BB6_12942 Depth=2
	v_cmp_lt_i32_e32 vcc_lo, -1, v4
	v_mov_b32_e32 v2, 0x7c
	s_delay_alu instid0(VALU_DEP_1)
	v_cndmask_b32_e32 v36, 0xfc, v2, vcc_lo
; %bb.13663:                            ;   in Loop: Header=BB6_12942 Depth=2
	s_or_b32 exec_lo, exec_lo, s29
.LBB6_13664:                            ;   in Loop: Header=BB6_12942 Depth=2
	s_delay_alu instid0(SALU_CYCLE_1)
	s_or_b32 exec_lo, exec_lo, s10
	v_mov_b32_e32 v3, 0
	s_mov_b32 s10, exec_lo
	v_cmpx_lt_u32_e32 0xffffff, v0
	s_cbranch_execz .LBB6_13674
; %bb.13665:                            ;   in Loop: Header=BB6_12942 Depth=2
	v_lshrrev_b32_e32 v2, 24, v0
	v_bfrev_b32_e32 v3, 1
	s_mov_b32 s29, exec_lo
	s_delay_alu instid0(VALU_DEP_2)
	v_cmpx_ne_u32_e32 0x80, v2
	s_cbranch_execz .LBB6_13673
; %bb.13666:                            ;   in Loop: Header=BB6_12942 Depth=2
	v_and_b32_e32 v3, 0x7c000000, v0
	v_bfe_u32 v4, v0, 24, 2
	s_delay_alu instid0(VALU_DEP_2) | instskip(SKIP_1) | instid1(SALU_CYCLE_1)
	v_cmp_ne_u32_e32 vcc_lo, 0x7c000000, v3
                                        ; implicit-def: $vgpr3
	s_and_saveexec_b32 s40, vcc_lo
	s_xor_b32 s40, exec_lo, s40
	s_cbranch_execz .LBB6_13670
; %bb.13667:                            ;   in Loop: Header=BB6_12942 Depth=2
	v_bfe_u32 v3, v0, 26, 5
	s_mov_b32 s41, exec_lo
	s_delay_alu instid0(VALU_DEP_1)
	v_cmpx_eq_u32_e32 0, v3
; %bb.13668:                            ;   in Loop: Header=BB6_12942 Depth=2
	v_clz_i32_u32_e32 v3, v4
	s_delay_alu instid0(VALU_DEP_1) | instskip(NEXT) | instid1(VALU_DEP_1)
	v_min_u32_e32 v4, 32, v3
	v_subrev_nc_u32_e32 v3, 29, v4
	s_delay_alu instid0(VALU_DEP_1) | instskip(NEXT) | instid1(VALU_DEP_1)
	v_lshlrev_b64_e32 v[2:3], v3, v[2:3]
	v_dual_sub_nc_u32 v3, 30, v4 :: v_dual_bitop2_b32 v4, 3, v2 bitop3:0x40
; %bb.13669:                            ;   in Loop: Header=BB6_12942 Depth=2
	s_or_b32 exec_lo, exec_lo, s41
	v_and_b32_e32 v0, 0x80000000, v0
	s_delay_alu instid0(VALU_DEP_1) | instskip(NEXT) | instid1(VALU_DEP_1)
	v_lshl_add_u32 v0, v3, 23, v0
	v_lshl_or_b32 v0, v4, 21, v0
                                        ; implicit-def: $vgpr4
	s_delay_alu instid0(VALU_DEP_1)
	v_add_nc_u32_e32 v3, 0x38000000, v0
.LBB6_13670:                            ;   in Loop: Header=BB6_12942 Depth=2
	s_and_not1_saveexec_b32 s40, s40
; %bb.13671:                            ;   in Loop: Header=BB6_12942 Depth=2
	v_cmp_lt_i32_e32 vcc_lo, -1, v0
	v_mov_b32_e32 v0, 0x7f800000
	s_delay_alu instid0(VALU_DEP_1) | instskip(SKIP_1) | instid1(VALU_DEP_2)
	v_cndmask_b32_e32 v0, 0xff800000, v0, vcc_lo
	v_cmp_eq_u32_e32 vcc_lo, 0, v4
	v_cndmask_b32_e32 v3, 0x7f800001, v0, vcc_lo
; %bb.13672:                            ;   in Loop: Header=BB6_12942 Depth=2
	s_or_b32 exec_lo, exec_lo, s40
.LBB6_13673:                            ;   in Loop: Header=BB6_12942 Depth=2
	s_delay_alu instid0(SALU_CYCLE_1)
	s_or_b32 exec_lo, exec_lo, s29
.LBB6_13674:                            ;   in Loop: Header=BB6_12942 Depth=2
	s_delay_alu instid0(SALU_CYCLE_1) | instskip(SKIP_3) | instid1(VALU_DEP_2)
	s_or_b32 exec_lo, exec_lo, s10
	v_bfe_u32 v2, v11, 24, 2
	v_bfe_u32 v7, v11, 26, 5
	s_mov_b32 s10, exec_lo
	v_clz_i32_u32_e32 v0, v2
	s_delay_alu instid0(VALU_DEP_2) | instskip(NEXT) | instid1(VALU_DEP_2)
	v_cmp_eq_u32_e32 vcc_lo, 0, v7
	v_min_u32_e32 v6, 32, v0
	v_lshrrev_b32_e32 v0, 24, v11
	s_delay_alu instid0(VALU_DEP_2) | instskip(NEXT) | instid1(VALU_DEP_1)
	v_subrev_nc_u32_e32 v4, 29, v6
	v_lshlrev_b64_e32 v[4:5], v4, v[0:1]
	v_sub_nc_u32_e32 v5, 30, v6
	v_and_b32_e32 v6, 0x80000000, v11
	s_delay_alu instid0(VALU_DEP_2) | instskip(NEXT) | instid1(VALU_DEP_1)
	v_dual_cndmask_b32 v5, v7, v5, vcc_lo :: v_dual_bitop2_b32 v4, 3, v4 bitop3:0x40
	v_lshl_add_u32 v5, v5, 23, v6
	s_delay_alu instid0(VALU_DEP_2) | instskip(SKIP_2) | instid1(VALU_DEP_3)
	v_cndmask_b32_e32 v4, v2, v4, vcc_lo
	v_cmp_lt_i64_e32 vcc_lo, -1, v[10:11]
	v_mov_b32_e32 v6, 0x7f800000
	v_lshl_or_b32 v4, v4, 21, v5
	v_and_b32_e32 v5, 0x7c000000, v11
	s_delay_alu instid0(VALU_DEP_3) | instskip(SKIP_1) | instid1(VALU_DEP_4)
	v_cndmask_b32_e32 v6, 0xff800000, v6, vcc_lo
	v_cmp_eq_u32_e32 vcc_lo, 0, v2
	v_add_nc_u32_e32 v4, 0x38000000, v4
	s_delay_alu instid0(VALU_DEP_3) | instskip(SKIP_1) | instid1(VALU_DEP_2)
	v_cndmask_b32_e32 v2, 0x7f800001, v6, vcc_lo
	v_cmp_eq_u32_e32 vcc_lo, 0x7c000000, v5
	v_dual_mov_b32 v5, v1 :: v_dual_cndmask_b32 v2, v4, v2
	v_cmp_ne_u32_e32 vcc_lo, 0x80, v0
	s_delay_alu instid0(VALU_DEP_2) | instskip(SKIP_1) | instid1(VALU_DEP_2)
	v_cndmask_b32_e32 v0, 0x80000000, v2, vcc_lo
	v_cmp_lt_u64_e32 vcc_lo, s[12:13], v[10:11]
                                        ; implicit-def: $vgpr10
	v_cndmask_b32_e32 v0, 0, v0, vcc_lo
	s_delay_alu instid0(VALU_DEP_1) | instskip(NEXT) | instid1(VALU_DEP_1)
	v_add_f32_e32 v2, v0, v3
	v_and_b32_e32 v4, 0x7f800000, v2
	v_and_b32_e32 v0, 0x7fffff, v2
	v_lshrrev_b32_e32 v3, 24, v2
	s_delay_alu instid0(VALU_DEP_3)
	v_cmpx_ne_u64_e32 0x7f800000, v[4:5]
	s_xor_b32 s29, exec_lo, s10
	s_cbranch_execz .LBB6_13688
; %bb.13675:                            ;   in Loop: Header=BB6_12942 Depth=2
	v_and_b32_e32 v4, 0x7fffffff, v2
	v_mov_b32_e32 v5, v1
	v_and_b32_e32 v6, 0x80, v3
                                        ; implicit-def: $vgpr10
	s_mov_b32 s10, exec_lo
	s_delay_alu instid0(VALU_DEP_2)
	v_cmpx_gt_u64_e32 0x47600001, v[4:5]
	s_xor_b32 s40, exec_lo, s10
	s_cbranch_execz .LBB6_13685
; %bb.13676:                            ;   in Loop: Header=BB6_12942 Depth=2
	v_mov_b32_e32 v10, 0
	s_mov_b32 s41, exec_lo
	v_cmpx_ne_u32_e32 0, v2
	s_cbranch_execz .LBB6_13684
; %bb.13677:                            ;   in Loop: Header=BB6_12942 Depth=2
	v_bfe_u32 v7, v2, 23, 8
	v_or_b32_e32 v4, 0x800000, v0
	s_mov_b32 s42, exec_lo
	s_delay_alu instid0(VALU_DEP_2) | instskip(SKIP_1) | instid1(VALU_DEP_2)
	v_dual_mov_b32 v5, v1 :: v_dual_sub_nc_u32 v2, 0x71, v7
	v_cmp_gt_u32_e32 vcc_lo, 0x72, v7
	v_cndmask_b32_e32 v2, 0, v2, vcc_lo
	v_cmp_eq_u32_e32 vcc_lo, 0, v7
	v_cndmask_b32_e32 v4, v4, v0, vcc_lo
	s_delay_alu instid0(VALU_DEP_3) | instskip(NEXT) | instid1(VALU_DEP_1)
	v_cndmask_b32_e64 v10, v2, 0x70, vcc_lo
	v_dual_add_nc_u32 v2, 21, v10 :: v_dual_add_nc_u32 v11, 20, v10
	s_delay_alu instid0(VALU_DEP_1) | instskip(NEXT) | instid1(VALU_DEP_2)
	v_lshlrev_b64_e64 v[2:3], v2, -1
	v_lshlrev_b64_e64 v[38:39], v11, 1
	s_delay_alu instid0(VALU_DEP_2) | instskip(NEXT) | instid1(VALU_DEP_3)
	v_bfi_b32 v49, v3, 0, 0
	v_bfi_b32 v48, v2, 0, v4
	v_lshrrev_b64 v[2:3], v10, v[4:5]
	s_delay_alu instid0(VALU_DEP_1) | instskip(NEXT) | instid1(VALU_DEP_3)
	v_mov_b64_e32 v[4:5], v[2:3]
	v_cmpx_eq_u64_e64 v[48:49], v[38:39]
; %bb.13678:                            ;   in Loop: Header=BB6_12942 Depth=2
	v_bfe_u32 v4, v2, 21, 1
	v_mov_b32_e32 v5, v1
	s_delay_alu instid0(VALU_DEP_1) | instskip(NEXT) | instid1(VALU_DEP_1)
	v_add_nc_u64_e32 v[4:5], v[2:3], v[4:5]
	v_add_nc_u64_e32 v[4:5], -1, v[4:5]
; %bb.13679:                            ;   in Loop: Header=BB6_12942 Depth=2
	s_or_b32 exec_lo, exec_lo, s42
	v_add_nc_u32_e32 v0, 0xffffff81, v7
	s_delay_alu instid0(VALU_DEP_2) | instskip(SKIP_2) | instid1(VALU_DEP_3)
	v_and_b32_e32 v4, 0x1fffff, v4
	v_lshrrev_b32_e32 v3, 23, v2
	s_mov_b32 s10, exec_lo
	v_cndmask_b32_e64 v0, v0, 0xffffff82, vcc_lo
	s_delay_alu instid0(VALU_DEP_1) | instskip(SKIP_1) | instid1(VALU_DEP_2)
	v_add3_u32 v5, v10, v0, v3
	v_add_nc_u32_e32 v0, v4, v2
                                        ; implicit-def: $vgpr2_vgpr3
                                        ; implicit-def: $vgpr4
	v_add_nc_u32_e32 v7, 14, v5
	s_delay_alu instid0(VALU_DEP_1)
	v_cmpx_ne_u32_e32 0, v7
	s_xor_b32 s10, exec_lo, s10
; %bb.13680:                            ;   in Loop: Header=BB6_12942 Depth=2
	s_delay_alu instid0(VALU_DEP_3) | instskip(SKIP_1) | instid1(VALU_DEP_1)
	v_cmp_lt_u64_e32 vcc_lo, 0xffffff, v[0:1]
	v_add_nc_u32_e32 v2, 15, v5
	v_cndmask_b32_e32 v4, v7, v2, vcc_lo
	v_cndmask_b32_e64 v2, 0, 1, vcc_lo
	s_delay_alu instid0(VALU_DEP_1)
	v_lshrrev_b64 v[2:3], v2, v[0:1]
; %bb.13681:                            ;   in Loop: Header=BB6_12942 Depth=2
	s_and_not1_saveexec_b32 s10, s10
; %bb.13682:                            ;   in Loop: Header=BB6_12942 Depth=2
	v_mov_b64_e32 v[2:3], v[0:1]
	v_bfe_u32 v4, v0, 23, 1
; %bb.13683:                            ;   in Loop: Header=BB6_12942 Depth=2
	s_or_b32 exec_lo, exec_lo, s10
	s_delay_alu instid0(VALU_DEP_2) | instskip(NEXT) | instid1(VALU_DEP_2)
	v_lshrrev_b64 v[2:3], 21, v[2:3]
	v_cmp_gt_i32_e32 vcc_lo, 32, v4
	v_min_i32_e32 v0, 31, v4
	v_cmp_eq_u32_e64 s10, 0, v4
	s_delay_alu instid0(VALU_DEP_2) | instskip(SKIP_1) | instid1(VALU_DEP_2)
	v_dual_cndmask_b32 v3, 0, v3 :: v_dual_lshlrev_b32 v0, 2, v0
	v_cndmask_b32_e32 v2, 3, v2, vcc_lo
	v_and_b32_e32 v0, 0xfc, v0
	s_delay_alu instid0(VALU_DEP_2) | instskip(NEXT) | instid1(VALU_DEP_2)
	v_cmp_eq_u64_e32 vcc_lo, 0, v[2:3]
	v_and_or_b32 v0, v2, 3, v0
	s_and_b32 s10, s10, vcc_lo
	s_delay_alu instid0(VALU_DEP_1) | instid1(SALU_CYCLE_1)
	v_cndmask_b32_e64 v0, v0, 0, s10
	s_delay_alu instid0(VALU_DEP_1)
	v_or_b32_e32 v10, v0, v6
.LBB6_13684:                            ;   in Loop: Header=BB6_12942 Depth=2
	s_or_b32 exec_lo, exec_lo, s41
                                        ; implicit-def: $vgpr6
.LBB6_13685:                            ;   in Loop: Header=BB6_12942 Depth=2
	s_and_not1_saveexec_b32 s10, s40
; %bb.13686:                            ;   in Loop: Header=BB6_12942 Depth=2
	v_or_b32_e32 v10, 0x7b, v6
; %bb.13687:                            ;   in Loop: Header=BB6_12942 Depth=2
	s_or_b32 exec_lo, exec_lo, s10
                                        ; implicit-def: $vgpr2
                                        ; implicit-def: $vgpr3
.LBB6_13688:                            ;   in Loop: Header=BB6_12942 Depth=2
	s_and_not1_saveexec_b32 s10, s29
	s_cbranch_execz .LBB6_13694
; %bb.13689:                            ;   in Loop: Header=BB6_12942 Depth=2
	s_mov_b32 s29, exec_lo
                                        ; implicit-def: $vgpr10
	v_cmpx_ne_u64_e32 0, v[0:1]
	s_xor_b32 s29, exec_lo, s29
; %bb.13690:                            ;   in Loop: Header=BB6_12942 Depth=2
	v_or_b32_e32 v10, 0x7f, v3
                                        ; implicit-def: $vgpr2
; %bb.13691:                            ;   in Loop: Header=BB6_12942 Depth=2
	s_and_not1_saveexec_b32 s29, s29
; %bb.13692:                            ;   in Loop: Header=BB6_12942 Depth=2
	v_cmp_lt_i32_e32 vcc_lo, -1, v2
	v_mov_b32_e32 v0, 0x7c
	s_delay_alu instid0(VALU_DEP_1)
	v_cndmask_b32_e32 v10, 0xfc, v0, vcc_lo
; %bb.13693:                            ;   in Loop: Header=BB6_12942 Depth=2
	s_or_b32 exec_lo, exec_lo, s29
.LBB6_13694:                            ;   in Loop: Header=BB6_12942 Depth=2
	s_delay_alu instid0(SALU_CYCLE_1) | instskip(SKIP_3) | instid1(VALU_DEP_1)
	s_or_b32 exec_lo, exec_lo, s10
	v_lshl_or_b32 v6, v29, 8, v25
	v_dual_lshlrev_b32 v0, 16, v32 :: v_dual_lshlrev_b32 v2, 24, v34
	s_mov_b32 s10, exec_lo
	v_or3_b32 v0, v0, v2, v6
	v_mov_b32_e32 v2, 0
	v_cmpx_ne_u32_e32 0, v25
	s_cbranch_execz .LBB6_13704
; %bb.13695:                            ;   in Loop: Header=BB6_12942 Depth=2
	v_bfrev_b32_e32 v2, 1
	s_mov_b32 s29, exec_lo
	v_cmpx_ne_u32_e32 0x80, v25
	s_cbranch_execz .LBB6_13703
; %bb.13696:                            ;   in Loop: Header=BB6_12942 Depth=2
	v_and_b32_e32 v2, 0x7c, v25
	v_and_b32_e32 v3, 3, v25
	s_delay_alu instid0(VALU_DEP_2) | instskip(SKIP_1) | instid1(SALU_CYCLE_1)
	v_cmp_ne_u32_e32 vcc_lo, 0x7c, v2
                                        ; implicit-def: $vgpr2
	s_and_saveexec_b32 s40, vcc_lo
	s_xor_b32 s40, exec_lo, s40
	s_cbranch_execz .LBB6_13700
; %bb.13697:                            ;   in Loop: Header=BB6_12942 Depth=2
	v_bfe_u32 v2, v25, 2, 5
	s_mov_b32 s41, exec_lo
	s_delay_alu instid0(VALU_DEP_1)
	v_cmpx_eq_u32_e32 0, v2
; %bb.13698:                            ;   in Loop: Header=BB6_12942 Depth=2
	v_clz_i32_u32_e32 v2, v3
	s_delay_alu instid0(VALU_DEP_1) | instskip(NEXT) | instid1(VALU_DEP_1)
	v_min_u32_e32 v2, 32, v2
	v_subrev_nc_u32_e32 v3, 29, v2
	s_delay_alu instid0(VALU_DEP_1) | instskip(NEXT) | instid1(VALU_DEP_1)
	v_lshlrev_b64_e32 v[4:5], v3, v[0:1]
	v_dual_sub_nc_u32 v2, 30, v2 :: v_dual_bitop2_b32 v3, 3, v4 bitop3:0x40
; %bb.13699:                            ;   in Loop: Header=BB6_12942 Depth=2
	s_or_b32 exec_lo, exec_lo, s41
	v_lshlrev_b32_e32 v4, 24, v25
                                        ; implicit-def: $vgpr25
	s_delay_alu instid0(VALU_DEP_1) | instskip(NEXT) | instid1(VALU_DEP_1)
	v_and_b32_e32 v4, 0x80000000, v4
	v_lshl_add_u32 v2, v2, 23, v4
	s_delay_alu instid0(VALU_DEP_1) | instskip(NEXT) | instid1(VALU_DEP_1)
	v_lshl_or_b32 v2, v3, 21, v2
                                        ; implicit-def: $vgpr3
	v_add_nc_u32_e32 v2, 0x38000000, v2
.LBB6_13700:                            ;   in Loop: Header=BB6_12942 Depth=2
	s_and_not1_saveexec_b32 s40, s40
; %bb.13701:                            ;   in Loop: Header=BB6_12942 Depth=2
	v_and_b32_e32 v2, 0x80, v25
	s_delay_alu instid0(VALU_DEP_1) | instskip(SKIP_1) | instid1(VALU_DEP_1)
	v_cmp_eq_u32_e32 vcc_lo, 0, v2
	v_mov_b32_e32 v2, 0x7f800000
	v_cndmask_b32_e32 v2, 0xff800000, v2, vcc_lo
	v_cmp_eq_u32_e32 vcc_lo, 0, v3
	s_delay_alu instid0(VALU_DEP_2)
	v_cndmask_b32_e32 v2, 0x7f800001, v2, vcc_lo
; %bb.13702:                            ;   in Loop: Header=BB6_12942 Depth=2
	s_or_b32 exec_lo, exec_lo, s40
.LBB6_13703:                            ;   in Loop: Header=BB6_12942 Depth=2
	s_delay_alu instid0(SALU_CYCLE_1)
	s_or_b32 exec_lo, exec_lo, s29
.LBB6_13704:                            ;   in Loop: Header=BB6_12942 Depth=2
	s_delay_alu instid0(SALU_CYCLE_1) | instskip(SKIP_3) | instid1(VALU_DEP_1)
	s_or_b32 exec_lo, exec_lo, s10
	v_and_b32_e32 v4, 0xff, v12
	s_mov_b32 s29, 0
	s_mov_b32 s10, exec_lo
	v_cmpx_lt_i16_e32 0x7f, v4
	s_xor_b32 s10, exec_lo, s10
	s_cbranch_execnz .LBB6_13981
; %bb.13705:                            ;   in Loop: Header=BB6_12942 Depth=2
	s_or_saveexec_b32 s10, s10
	v_bfrev_b32_e32 v3, 1
	s_xor_b32 exec_lo, exec_lo, s10
	s_cbranch_execnz .LBB6_13984
.LBB6_13706:                            ;   in Loop: Header=BB6_12942 Depth=2
	s_or_b32 exec_lo, exec_lo, s10
	s_and_saveexec_b32 s10, s29
	s_cbranch_execz .LBB6_13708
.LBB6_13707:                            ;   in Loop: Header=BB6_12942 Depth=2
	v_and_b32_e32 v3, 3, v12
	v_bfe_u32 v11, v12, 2, 5
	s_delay_alu instid0(VALU_DEP_2) | instskip(NEXT) | instid1(VALU_DEP_2)
	v_clz_i32_u32_e32 v4, v3
	v_cmp_eq_u32_e32 vcc_lo, 0, v11
	s_delay_alu instid0(VALU_DEP_2) | instskip(NEXT) | instid1(VALU_DEP_1)
	v_min_u32_e32 v7, 32, v4
	v_subrev_nc_u32_e32 v4, 29, v7
	s_delay_alu instid0(VALU_DEP_1) | instskip(SKIP_1) | instid1(VALU_DEP_1)
	v_lshlrev_b64_e32 v[4:5], v4, v[12:13]
	v_dual_lshlrev_b32 v5, 24, v12 :: v_dual_sub_nc_u32 v7, 30, v7
	v_and_b32_e32 v5, 0x80000000, v5
	s_delay_alu instid0(VALU_DEP_2) | instskip(SKIP_1) | instid1(VALU_DEP_2)
	v_dual_cndmask_b32 v7, v11, v7, vcc_lo :: v_dual_bitop2_b32 v4, 3, v4 bitop3:0x40
	v_bfe_i32 v11, v12, 0, 8
	v_cndmask_b32_e32 v4, v3, v4, vcc_lo
	s_delay_alu instid0(VALU_DEP_3) | instskip(NEXT) | instid1(VALU_DEP_3)
	v_lshl_add_u32 v5, v7, 23, v5
	v_cmp_lt_i16_e32 vcc_lo, -1, v11
	v_mov_b32_e32 v7, 0x7f800000
	s_delay_alu instid0(VALU_DEP_3) | instskip(SKIP_1) | instid1(VALU_DEP_3)
	v_lshl_or_b32 v4, v4, 21, v5
	v_and_b32_e32 v5, 0x7c, v12
	v_cndmask_b32_e32 v7, 0xff800000, v7, vcc_lo
	v_cmp_eq_u32_e32 vcc_lo, 0, v3
	s_delay_alu instid0(VALU_DEP_4) | instskip(NEXT) | instid1(VALU_DEP_3)
	v_add_nc_u32_e32 v4, 0x38000000, v4
	v_cndmask_b32_e32 v3, 0x7f800001, v7, vcc_lo
	v_cmp_eq_u32_e32 vcc_lo, 0x7c, v5
	s_delay_alu instid0(VALU_DEP_2)
	v_cndmask_b32_e32 v3, v4, v3, vcc_lo
.LBB6_13708:                            ;   in Loop: Header=BB6_12942 Depth=2
	s_or_b32 exec_lo, exec_lo, s10
	s_delay_alu instid0(VALU_DEP_1) | instskip(SKIP_2) | instid1(VALU_DEP_2)
	v_dual_add_f32 v4, v2, v3 :: v_dual_mov_b32 v39, v1
	v_mov_b32_e32 v3, v1
                                        ; implicit-def: $vgpr11
	s_mov_b32 s10, exec_lo
	v_and_b32_e32 v38, 0x7f800000, v4
	v_and_b32_e32 v2, 0x7fffff, v4
	v_lshrrev_b32_e32 v5, 24, v4
	s_delay_alu instid0(VALU_DEP_3)
	v_cmpx_ne_u64_e32 0x7f800000, v[38:39]
	s_xor_b32 s29, exec_lo, s10
	s_cbranch_execz .LBB6_13722
; %bb.13709:                            ;   in Loop: Header=BB6_12942 Depth=2
	v_and_b32_e32 v38, 0x7fffffff, v4
	v_mov_b32_e32 v39, v1
	v_and_b32_e32 v7, 0x80, v5
                                        ; implicit-def: $vgpr11
	s_mov_b32 s10, exec_lo
	s_delay_alu instid0(VALU_DEP_2)
	v_cmpx_gt_u64_e32 0x47600001, v[38:39]
	s_xor_b32 s40, exec_lo, s10
	s_cbranch_execz .LBB6_13719
; %bb.13710:                            ;   in Loop: Header=BB6_12942 Depth=2
	v_mov_b32_e32 v11, 0
	s_mov_b32 s41, exec_lo
	v_cmpx_ne_u32_e32 0, v4
	s_cbranch_execz .LBB6_13718
; %bb.13711:                            ;   in Loop: Header=BB6_12942 Depth=2
	v_bfe_u32 v11, v4, 23, 8
	v_or_b32_e32 v29, 0x800000, v2
	s_delay_alu instid0(VALU_DEP_2) | instskip(SKIP_1) | instid1(VALU_DEP_2)
	v_sub_nc_u32_e32 v4, 0x71, v11
	v_cmp_gt_u32_e32 vcc_lo, 0x72, v11
	v_cndmask_b32_e32 v4, 0, v4, vcc_lo
	v_cmp_eq_u32_e32 vcc_lo, 0, v11
	s_delay_alu instid0(VALU_DEP_2) | instskip(NEXT) | instid1(VALU_DEP_1)
	v_cndmask_b32_e64 v25, v4, 0x70, vcc_lo
	v_dual_cndmask_b32 v2, v29, v2, vcc_lo :: v_dual_add_nc_u32 v4, 21, v25
	v_add_nc_u32_e32 v32, 20, v25
	s_delay_alu instid0(VALU_DEP_2) | instskip(NEXT) | instid1(VALU_DEP_2)
	v_lshlrev_b64_e64 v[4:5], v4, -1
	v_lshlrev_b64_e64 v[38:39], v32, 1
	s_delay_alu instid0(VALU_DEP_2) | instskip(SKIP_1) | instid1(VALU_DEP_4)
	v_bfi_b32 v4, v4, 0, v2
	v_lshrrev_b64 v[2:3], v25, v[2:3]
	v_bfi_b32 v5, v5, 0, 0
	s_delay_alu instid0(VALU_DEP_1) | instskip(NEXT) | instid1(VALU_DEP_3)
	v_cmp_eq_u64_e64 s10, v[4:5], v[38:39]
	v_mov_b64_e32 v[4:5], v[2:3]
	s_and_saveexec_b32 s42, s10
; %bb.13712:                            ;   in Loop: Header=BB6_12942 Depth=2
	v_bfe_u32 v4, v2, 21, 1
	v_mov_b32_e32 v5, v1
	s_delay_alu instid0(VALU_DEP_1) | instskip(NEXT) | instid1(VALU_DEP_1)
	v_add_nc_u64_e32 v[4:5], v[2:3], v[4:5]
	v_add_nc_u64_e32 v[4:5], -1, v[4:5]
; %bb.13713:                            ;   in Loop: Header=BB6_12942 Depth=2
	s_or_b32 exec_lo, exec_lo, s42
	v_add_nc_u32_e32 v3, 0xffffff81, v11
	v_lshrrev_b32_e32 v5, 23, v2
	s_mov_b32 s10, exec_lo
	s_delay_alu instid0(VALU_DEP_2) | instskip(NEXT) | instid1(VALU_DEP_1)
	v_cndmask_b32_e64 v3, v3, 0xffffff82, vcc_lo
	v_add3_u32 v5, v25, v3, v5
	v_and_b32_e32 v3, 0x1fffff, v4
                                        ; implicit-def: $vgpr4
	s_delay_alu instid0(VALU_DEP_1) | instskip(SKIP_1) | instid1(VALU_DEP_2)
	v_dual_add_nc_u32 v11, 14, v5 :: v_dual_add_nc_u32 v2, v3, v2
	v_mov_b32_e32 v3, v1
	v_cmpx_ne_u32_e32 0, v11
	s_xor_b32 s10, exec_lo, s10
; %bb.13714:                            ;   in Loop: Header=BB6_12942 Depth=2
	s_delay_alu instid0(VALU_DEP_2) | instskip(SKIP_2) | instid1(VALU_DEP_2)
	v_cmp_lt_u64_e32 vcc_lo, 0xffffff, v[2:3]
	v_add_nc_u32_e32 v4, 15, v5
	v_cndmask_b32_e64 v5, 0, 1, vcc_lo
	v_cndmask_b32_e32 v4, v11, v4, vcc_lo
	s_delay_alu instid0(VALU_DEP_2)
	v_lshrrev_b64 v[2:3], v5, v[2:3]
; %bb.13715:                            ;   in Loop: Header=BB6_12942 Depth=2
	s_and_not1_saveexec_b32 s10, s10
; %bb.13716:                            ;   in Loop: Header=BB6_12942 Depth=2
	s_delay_alu instid0(VALU_DEP_1)
	v_bfe_u32 v4, v2, 23, 1
; %bb.13717:                            ;   in Loop: Header=BB6_12942 Depth=2
	s_or_b32 exec_lo, exec_lo, s10
	s_delay_alu instid0(VALU_DEP_2) | instskip(NEXT) | instid1(VALU_DEP_2)
	v_lshrrev_b64 v[2:3], 21, v[2:3]
	v_cmp_gt_i32_e32 vcc_lo, 32, v4
	v_min_i32_e32 v5, 31, v4
	v_cmp_eq_u32_e64 s10, 0, v4
	s_delay_alu instid0(VALU_DEP_2) | instskip(SKIP_1) | instid1(VALU_DEP_2)
	v_dual_cndmask_b32 v3, 0, v3, vcc_lo :: v_dual_lshlrev_b32 v5, 2, v5
	v_cndmask_b32_e32 v2, 3, v2, vcc_lo
	v_and_b32_e32 v5, 0xfc, v5
	s_delay_alu instid0(VALU_DEP_2) | instskip(NEXT) | instid1(VALU_DEP_2)
	v_cmp_eq_u64_e32 vcc_lo, 0, v[2:3]
	v_and_or_b32 v2, v2, 3, v5
	s_and_b32 s10, s10, vcc_lo
	s_delay_alu instid0(VALU_DEP_1) | instid1(SALU_CYCLE_1)
	v_cndmask_b32_e64 v2, v2, 0, s10
	s_delay_alu instid0(VALU_DEP_1)
	v_or_b32_e32 v11, v2, v7
.LBB6_13718:                            ;   in Loop: Header=BB6_12942 Depth=2
	s_or_b32 exec_lo, exec_lo, s41
                                        ; implicit-def: $vgpr7
.LBB6_13719:                            ;   in Loop: Header=BB6_12942 Depth=2
	s_and_not1_saveexec_b32 s10, s40
; %bb.13720:                            ;   in Loop: Header=BB6_12942 Depth=2
	v_or_b32_e32 v11, 0x7b, v7
; %bb.13721:                            ;   in Loop: Header=BB6_12942 Depth=2
	s_or_b32 exec_lo, exec_lo, s10
                                        ; implicit-def: $vgpr4
                                        ; implicit-def: $vgpr2_vgpr3
                                        ; implicit-def: $vgpr5
.LBB6_13722:                            ;   in Loop: Header=BB6_12942 Depth=2
	s_and_not1_saveexec_b32 s10, s29
	s_cbranch_execz .LBB6_13728
; %bb.13723:                            ;   in Loop: Header=BB6_12942 Depth=2
	s_mov_b32 s29, exec_lo
                                        ; implicit-def: $vgpr11
	v_cmpx_ne_u64_e32 0, v[2:3]
	s_xor_b32 s29, exec_lo, s29
; %bb.13724:                            ;   in Loop: Header=BB6_12942 Depth=2
	v_or_b32_e32 v11, 0x7f, v5
                                        ; implicit-def: $vgpr4
; %bb.13725:                            ;   in Loop: Header=BB6_12942 Depth=2
	s_and_not1_saveexec_b32 s29, s29
; %bb.13726:                            ;   in Loop: Header=BB6_12942 Depth=2
	v_cmp_lt_i32_e32 vcc_lo, -1, v4
	v_mov_b32_e32 v2, 0x7c
	s_delay_alu instid0(VALU_DEP_1)
	v_cndmask_b32_e32 v11, 0xfc, v2, vcc_lo
; %bb.13727:                            ;   in Loop: Header=BB6_12942 Depth=2
	s_or_b32 exec_lo, exec_lo, s29
.LBB6_13728:                            ;   in Loop: Header=BB6_12942 Depth=2
	s_delay_alu instid0(SALU_CYCLE_1) | instskip(SKIP_3) | instid1(VALU_DEP_2)
	s_or_b32 exec_lo, exec_lo, s10
	v_lshrrev_b16 v2, 8, v6
	v_mov_b32_e32 v4, 0
	s_mov_b32 s10, exec_lo
	v_cmpx_ne_u16_e32 0, v2
	s_cbranch_execz .LBB6_13738
; %bb.13729:                            ;   in Loop: Header=BB6_12942 Depth=2
	v_bfrev_b32_e32 v4, 1
	s_mov_b32 s29, exec_lo
	v_cmpx_ne_u16_e32 0x80, v2
	s_cbranch_execz .LBB6_13737
; %bb.13730:                            ;   in Loop: Header=BB6_12942 Depth=2
	v_and_b32_e32 v5, 0xffff, v2
	s_delay_alu instid0(VALU_DEP_1) | instskip(SKIP_1) | instid1(VALU_DEP_2)
	v_and_b32_e32 v4, 0x7c, v5
	v_and_b32_e32 v3, 3, v5
	v_cmp_ne_u32_e32 vcc_lo, 0x7c, v4
                                        ; implicit-def: $vgpr4
	s_and_saveexec_b32 s40, vcc_lo
	s_delay_alu instid0(SALU_CYCLE_1)
	s_xor_b32 s40, exec_lo, s40
	s_cbranch_execz .LBB6_13734
; %bb.13731:                            ;   in Loop: Header=BB6_12942 Depth=2
	v_bfe_u32 v4, v5, 2, 5
	s_mov_b32 s41, exec_lo
	s_delay_alu instid0(VALU_DEP_1)
	v_cmpx_eq_u32_e32 0, v4
	s_cbranch_execz .LBB6_13733
; %bb.13732:                            ;   in Loop: Header=BB6_12942 Depth=2
	v_clz_i32_u32_e32 v3, v3
	s_delay_alu instid0(VALU_DEP_1) | instskip(SKIP_1) | instid1(VALU_DEP_2)
	v_min_u32_e32 v4, 32, v3
	v_mov_b32_e32 v3, v1
	v_subrev_nc_u32_e32 v5, 29, v4
	v_sub_nc_u32_e32 v4, 30, v4
	s_delay_alu instid0(VALU_DEP_2) | instskip(NEXT) | instid1(VALU_DEP_1)
	v_lshlrev_b64_e32 v[2:3], v5, v[2:3]
	v_and_b32_e32 v3, 3, v2
.LBB6_13733:                            ;   in Loop: Header=BB6_12942 Depth=2
	s_or_b32 exec_lo, exec_lo, s41
	v_lshlrev_b32_e32 v2, 16, v6
                                        ; implicit-def: $vgpr6
	s_delay_alu instid0(VALU_DEP_1) | instskip(NEXT) | instid1(VALU_DEP_1)
	v_and_b32_e32 v2, 0x80000000, v2
	v_lshl_add_u32 v2, v4, 23, v2
	s_delay_alu instid0(VALU_DEP_1) | instskip(NEXT) | instid1(VALU_DEP_1)
	v_lshl_or_b32 v2, v3, 21, v2
                                        ; implicit-def: $vgpr3
	v_add_nc_u32_e32 v4, 0x38000000, v2
.LBB6_13734:                            ;   in Loop: Header=BB6_12942 Depth=2
	s_and_not1_saveexec_b32 s40, s40
; %bb.13735:                            ;   in Loop: Header=BB6_12942 Depth=2
	v_cmp_lt_i16_e32 vcc_lo, -1, v6
	v_mov_b32_e32 v2, 0x7f800000
	s_delay_alu instid0(VALU_DEP_1) | instskip(SKIP_1) | instid1(VALU_DEP_2)
	v_cndmask_b32_e32 v2, 0xff800000, v2, vcc_lo
	v_cmp_eq_u32_e32 vcc_lo, 0, v3
	v_cndmask_b32_e32 v4, 0x7f800001, v2, vcc_lo
; %bb.13736:                            ;   in Loop: Header=BB6_12942 Depth=2
	s_or_b32 exec_lo, exec_lo, s40
.LBB6_13737:                            ;   in Loop: Header=BB6_12942 Depth=2
	s_delay_alu instid0(SALU_CYCLE_1)
	s_or_b32 exec_lo, exec_lo, s29
.LBB6_13738:                            ;   in Loop: Header=BB6_12942 Depth=2
	s_delay_alu instid0(SALU_CYCLE_1) | instskip(SKIP_3) | instid1(VALU_DEP_1)
	s_or_b32 exec_lo, exec_lo, s10
	v_lshrrev_b16 v2, 8, v12
	s_mov_b32 s29, 0
	s_mov_b32 s10, exec_lo
	v_cmpx_lt_i16_e32 0x7f, v2
	s_xor_b32 s10, exec_lo, s10
	s_cbranch_execnz .LBB6_13985
; %bb.13739:                            ;   in Loop: Header=BB6_12942 Depth=2
	s_or_saveexec_b32 s10, s10
	v_bfrev_b32_e32 v3, 1
	s_xor_b32 exec_lo, exec_lo, s10
	s_cbranch_execnz .LBB6_13988
.LBB6_13740:                            ;   in Loop: Header=BB6_12942 Depth=2
	s_or_b32 exec_lo, exec_lo, s10
	s_and_saveexec_b32 s10, s29
	s_cbranch_execz .LBB6_13742
.LBB6_13741:                            ;   in Loop: Header=BB6_12942 Depth=2
	v_and_b32_e32 v5, 0xffff, v2
	s_delay_alu instid0(VALU_DEP_1) | instskip(NEXT) | instid1(VALU_DEP_1)
	v_and_b32_e32 v25, 3, v5
	v_clz_i32_u32_e32 v3, v25
	s_delay_alu instid0(VALU_DEP_1) | instskip(SKIP_1) | instid1(VALU_DEP_2)
	v_min_u32_e32 v29, 32, v3
	v_mov_b32_e32 v3, v1
	v_subrev_nc_u32_e32 v6, 29, v29
	s_delay_alu instid0(VALU_DEP_1) | instskip(SKIP_3) | instid1(VALU_DEP_3)
	v_lshlrev_b64_e32 v[6:7], v6, v[2:3]
	v_bfe_u32 v3, v5, 2, 5
	v_dual_lshlrev_b32 v2, 24, v2 :: v_dual_sub_nc_u32 v7, 30, v29
	v_and_b32_e32 v5, 0x7c, v5
	v_cmp_eq_u32_e32 vcc_lo, 0, v3
	s_delay_alu instid0(VALU_DEP_3) | instskip(NEXT) | instid1(VALU_DEP_4)
	v_and_b32_e32 v2, 0x80000000, v2
	v_dual_cndmask_b32 v3, v3, v7, vcc_lo :: v_dual_bitop2_b32 v6, 3, v6 bitop3:0x40
	s_delay_alu instid0(VALU_DEP_1) | instskip(SKIP_1) | instid1(VALU_DEP_3)
	v_cndmask_b32_e32 v6, v25, v6, vcc_lo
	v_cmp_lt_i16_e32 vcc_lo, -1, v12
	v_lshl_add_u32 v2, v3, 23, v2
	v_mov_b32_e32 v3, 0x7f800000
	s_delay_alu instid0(VALU_DEP_2) | instskip(NEXT) | instid1(VALU_DEP_2)
	v_lshl_or_b32 v2, v6, 21, v2
	v_cndmask_b32_e32 v3, 0xff800000, v3, vcc_lo
	v_cmp_eq_u32_e32 vcc_lo, 0, v25
	s_delay_alu instid0(VALU_DEP_3) | instskip(NEXT) | instid1(VALU_DEP_3)
	v_add_nc_u32_e32 v2, 0x38000000, v2
	v_cndmask_b32_e32 v3, 0x7f800001, v3, vcc_lo
	v_cmp_eq_u32_e32 vcc_lo, 0x7c, v5
	s_delay_alu instid0(VALU_DEP_2)
	v_cndmask_b32_e32 v3, v2, v3, vcc_lo
.LBB6_13742:                            ;   in Loop: Header=BB6_12942 Depth=2
	s_or_b32 exec_lo, exec_lo, s10
	s_delay_alu instid0(VALU_DEP_1) | instskip(SKIP_2) | instid1(VALU_DEP_2)
	v_dual_add_f32 v4, v4, v3 :: v_dual_mov_b32 v7, v1
	v_mov_b32_e32 v3, v1
                                        ; implicit-def: $vgpr25
	s_mov_b32 s10, exec_lo
	v_and_b32_e32 v6, 0x7f800000, v4
	v_and_b32_e32 v2, 0x7fffff, v4
	v_lshrrev_b32_e32 v5, 24, v4
	s_delay_alu instid0(VALU_DEP_3)
	v_cmpx_ne_u64_e32 0x7f800000, v[6:7]
	s_xor_b32 s29, exec_lo, s10
	s_cbranch_execz .LBB6_13756
; %bb.13743:                            ;   in Loop: Header=BB6_12942 Depth=2
	v_and_b32_e32 v6, 0x7fffffff, v4
	v_mov_b32_e32 v7, v1
                                        ; implicit-def: $vgpr25
	s_delay_alu instid0(VALU_DEP_1) | instskip(SKIP_2) | instid1(SALU_CYCLE_1)
	v_cmp_gt_u64_e32 vcc_lo, 0x47600001, v[6:7]
	v_and_b32_e32 v6, 0x80, v5
	s_and_saveexec_b32 s10, vcc_lo
	s_xor_b32 s40, exec_lo, s10
	s_cbranch_execz .LBB6_13753
; %bb.13744:                            ;   in Loop: Header=BB6_12942 Depth=2
	v_mov_b32_e32 v25, 0
	s_mov_b32 s41, exec_lo
	v_cmpx_ne_u32_e32 0, v4
	s_cbranch_execz .LBB6_13752
; %bb.13745:                            ;   in Loop: Header=BB6_12942 Depth=2
	v_bfe_u32 v7, v4, 23, 8
	v_or_b32_e32 v29, 0x800000, v2
	s_delay_alu instid0(VALU_DEP_2) | instskip(SKIP_1) | instid1(VALU_DEP_2)
	v_sub_nc_u32_e32 v4, 0x71, v7
	v_cmp_gt_u32_e32 vcc_lo, 0x72, v7
	v_cndmask_b32_e32 v4, 0, v4, vcc_lo
	v_cmp_eq_u32_e32 vcc_lo, 0, v7
	s_delay_alu instid0(VALU_DEP_2) | instskip(NEXT) | instid1(VALU_DEP_1)
	v_cndmask_b32_e64 v25, v4, 0x70, vcc_lo
	v_dual_cndmask_b32 v2, v29, v2, vcc_lo :: v_dual_add_nc_u32 v4, 21, v25
	v_add_nc_u32_e32 v32, 20, v25
	s_delay_alu instid0(VALU_DEP_2) | instskip(NEXT) | instid1(VALU_DEP_2)
	v_lshlrev_b64_e64 v[4:5], v4, -1
	v_lshlrev_b64_e64 v[38:39], v32, 1
	s_delay_alu instid0(VALU_DEP_2) | instskip(SKIP_1) | instid1(VALU_DEP_4)
	v_bfi_b32 v4, v4, 0, v2
	v_lshrrev_b64 v[2:3], v25, v[2:3]
	v_bfi_b32 v5, v5, 0, 0
	s_delay_alu instid0(VALU_DEP_1) | instskip(NEXT) | instid1(VALU_DEP_3)
	v_cmp_eq_u64_e64 s10, v[4:5], v[38:39]
	v_mov_b64_e32 v[4:5], v[2:3]
	s_and_saveexec_b32 s42, s10
; %bb.13746:                            ;   in Loop: Header=BB6_12942 Depth=2
	v_bfe_u32 v4, v2, 21, 1
	v_mov_b32_e32 v5, v1
	s_delay_alu instid0(VALU_DEP_1) | instskip(NEXT) | instid1(VALU_DEP_1)
	v_add_nc_u64_e32 v[4:5], v[2:3], v[4:5]
	v_add_nc_u64_e32 v[4:5], -1, v[4:5]
; %bb.13747:                            ;   in Loop: Header=BB6_12942 Depth=2
	s_or_b32 exec_lo, exec_lo, s42
	v_add_nc_u32_e32 v3, 0xffffff81, v7
	v_lshrrev_b32_e32 v5, 23, v2
	s_mov_b32 s10, exec_lo
	s_delay_alu instid0(VALU_DEP_2) | instskip(NEXT) | instid1(VALU_DEP_1)
	v_cndmask_b32_e64 v3, v3, 0xffffff82, vcc_lo
	v_add3_u32 v5, v25, v3, v5
	v_and_b32_e32 v3, 0x1fffff, v4
                                        ; implicit-def: $vgpr4
	s_delay_alu instid0(VALU_DEP_1) | instskip(SKIP_1) | instid1(VALU_DEP_2)
	v_dual_add_nc_u32 v7, 14, v5 :: v_dual_add_nc_u32 v2, v3, v2
	v_mov_b32_e32 v3, v1
	v_cmpx_ne_u32_e32 0, v7
	s_xor_b32 s10, exec_lo, s10
; %bb.13748:                            ;   in Loop: Header=BB6_12942 Depth=2
	s_delay_alu instid0(VALU_DEP_2) | instskip(SKIP_2) | instid1(VALU_DEP_2)
	v_cmp_lt_u64_e32 vcc_lo, 0xffffff, v[2:3]
	v_add_nc_u32_e32 v4, 15, v5
	v_cndmask_b32_e64 v5, 0, 1, vcc_lo
	v_cndmask_b32_e32 v4, v7, v4, vcc_lo
	s_delay_alu instid0(VALU_DEP_2)
	v_lshrrev_b64 v[2:3], v5, v[2:3]
; %bb.13749:                            ;   in Loop: Header=BB6_12942 Depth=2
	s_and_not1_saveexec_b32 s10, s10
; %bb.13750:                            ;   in Loop: Header=BB6_12942 Depth=2
	s_delay_alu instid0(VALU_DEP_1)
	v_bfe_u32 v4, v2, 23, 1
; %bb.13751:                            ;   in Loop: Header=BB6_12942 Depth=2
	s_or_b32 exec_lo, exec_lo, s10
	s_delay_alu instid0(VALU_DEP_2) | instskip(NEXT) | instid1(VALU_DEP_2)
	v_lshrrev_b64 v[2:3], 21, v[2:3]
	v_cmp_gt_i32_e32 vcc_lo, 32, v4
	v_min_i32_e32 v5, 31, v4
	v_cmp_eq_u32_e64 s10, 0, v4
	s_delay_alu instid0(VALU_DEP_2) | instskip(SKIP_1) | instid1(VALU_DEP_2)
	v_dual_cndmask_b32 v3, 0, v3, vcc_lo :: v_dual_lshlrev_b32 v5, 2, v5
	v_cndmask_b32_e32 v2, 3, v2, vcc_lo
	v_and_b32_e32 v5, 0xfc, v5
	s_delay_alu instid0(VALU_DEP_2) | instskip(NEXT) | instid1(VALU_DEP_2)
	v_cmp_eq_u64_e32 vcc_lo, 0, v[2:3]
	v_and_or_b32 v2, v2, 3, v5
	s_and_b32 s10, s10, vcc_lo
	s_delay_alu instid0(VALU_DEP_1) | instid1(SALU_CYCLE_1)
	v_cndmask_b32_e64 v2, v2, 0, s10
	s_delay_alu instid0(VALU_DEP_1)
	v_or_b32_e32 v25, v2, v6
.LBB6_13752:                            ;   in Loop: Header=BB6_12942 Depth=2
	s_or_b32 exec_lo, exec_lo, s41
                                        ; implicit-def: $vgpr6
.LBB6_13753:                            ;   in Loop: Header=BB6_12942 Depth=2
	s_and_not1_saveexec_b32 s10, s40
; %bb.13754:                            ;   in Loop: Header=BB6_12942 Depth=2
	v_or_b32_e32 v25, 0x7b, v6
; %bb.13755:                            ;   in Loop: Header=BB6_12942 Depth=2
	s_or_b32 exec_lo, exec_lo, s10
                                        ; implicit-def: $vgpr4
                                        ; implicit-def: $vgpr2_vgpr3
                                        ; implicit-def: $vgpr5
.LBB6_13756:                            ;   in Loop: Header=BB6_12942 Depth=2
	s_and_not1_saveexec_b32 s10, s29
	s_cbranch_execz .LBB6_13762
; %bb.13757:                            ;   in Loop: Header=BB6_12942 Depth=2
	s_mov_b32 s29, exec_lo
                                        ; implicit-def: $vgpr25
	v_cmpx_ne_u64_e32 0, v[2:3]
	s_xor_b32 s29, exec_lo, s29
; %bb.13758:                            ;   in Loop: Header=BB6_12942 Depth=2
	v_or_b32_e32 v25, 0x7f, v5
                                        ; implicit-def: $vgpr4
; %bb.13759:                            ;   in Loop: Header=BB6_12942 Depth=2
	s_and_not1_saveexec_b32 s29, s29
; %bb.13760:                            ;   in Loop: Header=BB6_12942 Depth=2
	v_cmp_lt_i32_e32 vcc_lo, -1, v4
	v_mov_b32_e32 v2, 0x7c
	s_delay_alu instid0(VALU_DEP_1)
	v_cndmask_b32_e32 v25, 0xfc, v2, vcc_lo
; %bb.13761:                            ;   in Loop: Header=BB6_12942 Depth=2
	s_or_b32 exec_lo, exec_lo, s29
.LBB6_13762:                            ;   in Loop: Header=BB6_12942 Depth=2
	s_delay_alu instid0(SALU_CYCLE_1) | instskip(SKIP_2) | instid1(VALU_DEP_1)
	s_or_b32 exec_lo, exec_lo, s10
	v_dual_mov_b32 v3, 0 :: v_dual_lshrrev_b32 v2, 16, v0
	s_mov_b32 s10, exec_lo
	v_and_b32_e32 v4, 0xff, v2
	s_delay_alu instid0(VALU_DEP_1)
	v_cmpx_ne_u16_e32 0, v4
	s_cbranch_execz .LBB6_13772
; %bb.13763:                            ;   in Loop: Header=BB6_12942 Depth=2
	v_bfrev_b32_e32 v3, 1
	s_mov_b32 s29, exec_lo
	v_cmpx_ne_u16_e32 0x80, v4
	s_cbranch_execz .LBB6_13771
; %bb.13764:                            ;   in Loop: Header=BB6_12942 Depth=2
	v_and_b32_e32 v3, 0x7c0000, v0
	v_bfe_u32 v4, v0, 16, 2
	s_delay_alu instid0(VALU_DEP_2) | instskip(SKIP_1) | instid1(SALU_CYCLE_1)
	v_cmp_ne_u32_e32 vcc_lo, 0x7c0000, v3
                                        ; implicit-def: $vgpr3
	s_and_saveexec_b32 s40, vcc_lo
	s_xor_b32 s40, exec_lo, s40
	s_cbranch_execz .LBB6_13768
; %bb.13765:                            ;   in Loop: Header=BB6_12942 Depth=2
	v_bfe_u32 v3, v0, 18, 5
	s_mov_b32 s41, exec_lo
	s_delay_alu instid0(VALU_DEP_1)
	v_cmpx_eq_u32_e32 0, v3
; %bb.13766:                            ;   in Loop: Header=BB6_12942 Depth=2
	v_clz_i32_u32_e32 v3, v4
	s_delay_alu instid0(VALU_DEP_1) | instskip(NEXT) | instid1(VALU_DEP_1)
	v_min_u32_e32 v3, 32, v3
	v_subrev_nc_u32_e32 v4, 29, v3
	s_delay_alu instid0(VALU_DEP_1) | instskip(NEXT) | instid1(VALU_DEP_1)
	v_lshlrev_b64_e32 v[4:5], v4, v[2:3]
	v_dual_sub_nc_u32 v3, 30, v3 :: v_dual_bitop2_b32 v4, 3, v4 bitop3:0x40
; %bb.13767:                            ;   in Loop: Header=BB6_12942 Depth=2
	s_or_b32 exec_lo, exec_lo, s41
	v_lshlrev_b32_e32 v2, 24, v2
	s_delay_alu instid0(VALU_DEP_1) | instskip(NEXT) | instid1(VALU_DEP_1)
	v_and_b32_e32 v2, 0x80000000, v2
	v_lshl_add_u32 v2, v3, 23, v2
	s_delay_alu instid0(VALU_DEP_1) | instskip(NEXT) | instid1(VALU_DEP_1)
	v_lshl_or_b32 v2, v4, 21, v2
                                        ; implicit-def: $vgpr4
	v_add_nc_u32_e32 v3, 0x38000000, v2
                                        ; implicit-def: $vgpr2
.LBB6_13768:                            ;   in Loop: Header=BB6_12942 Depth=2
	s_and_not1_saveexec_b32 s40, s40
; %bb.13769:                            ;   in Loop: Header=BB6_12942 Depth=2
	v_bfe_i32 v2, v2, 0, 8
	s_delay_alu instid0(VALU_DEP_1) | instskip(SKIP_1) | instid1(VALU_DEP_1)
	v_cmp_lt_i16_e32 vcc_lo, -1, v2
	v_mov_b32_e32 v2, 0x7f800000
	v_cndmask_b32_e32 v2, 0xff800000, v2, vcc_lo
	v_cmp_eq_u32_e32 vcc_lo, 0, v4
	s_delay_alu instid0(VALU_DEP_2)
	v_cndmask_b32_e32 v3, 0x7f800001, v2, vcc_lo
; %bb.13770:                            ;   in Loop: Header=BB6_12942 Depth=2
	s_or_b32 exec_lo, exec_lo, s40
.LBB6_13771:                            ;   in Loop: Header=BB6_12942 Depth=2
	s_delay_alu instid0(SALU_CYCLE_1)
	s_or_b32 exec_lo, exec_lo, s29
.LBB6_13772:                            ;   in Loop: Header=BB6_12942 Depth=2
	s_delay_alu instid0(SALU_CYCLE_1) | instskip(SKIP_3) | instid1(VALU_DEP_1)
	s_or_b32 exec_lo, exec_lo, s10
	v_lshrrev_b32_e32 v2, 16, v12
	s_mov_b32 s29, 0
	s_mov_b32 s10, exec_lo
	v_and_b32_e32 v5, 0xff, v2
	s_delay_alu instid0(VALU_DEP_1)
	v_cmpx_lt_i16_e32 0x7f, v5
	s_xor_b32 s10, exec_lo, s10
	s_cbranch_execnz .LBB6_13989
; %bb.13773:                            ;   in Loop: Header=BB6_12942 Depth=2
	s_or_saveexec_b32 s10, s10
	v_bfrev_b32_e32 v4, 1
	s_xor_b32 exec_lo, exec_lo, s10
	s_cbranch_execnz .LBB6_13992
.LBB6_13774:                            ;   in Loop: Header=BB6_12942 Depth=2
	s_or_b32 exec_lo, exec_lo, s10
	s_and_saveexec_b32 s10, s29
	s_cbranch_execz .LBB6_13776
.LBB6_13775:                            ;   in Loop: Header=BB6_12942 Depth=2
	v_and_b32_e32 v6, 3, v2
	v_bfe_u32 v29, v12, 18, 5
	s_delay_alu instid0(VALU_DEP_2) | instskip(NEXT) | instid1(VALU_DEP_2)
	v_clz_i32_u32_e32 v4, v6
	v_cmp_eq_u32_e32 vcc_lo, 0, v29
	s_delay_alu instid0(VALU_DEP_2) | instskip(NEXT) | instid1(VALU_DEP_1)
	v_min_u32_e32 v7, 32, v4
	v_subrev_nc_u32_e32 v4, 29, v7
	s_delay_alu instid0(VALU_DEP_1) | instskip(SKIP_2) | instid1(VALU_DEP_2)
	v_lshlrev_b64_e32 v[4:5], v4, v[2:3]
	v_dual_lshlrev_b32 v5, 24, v2 :: v_dual_sub_nc_u32 v7, 30, v7
	v_bfe_i32 v2, v2, 0, 8
	v_and_b32_e32 v5, 0x80000000, v5
	s_delay_alu instid0(VALU_DEP_3) | instskip(NEXT) | instid1(VALU_DEP_1)
	v_dual_cndmask_b32 v7, v29, v7, vcc_lo :: v_dual_bitop2_b32 v4, 3, v4 bitop3:0x40
	v_cndmask_b32_e32 v4, v6, v4, vcc_lo
	s_delay_alu instid0(VALU_DEP_2) | instskip(SKIP_2) | instid1(VALU_DEP_3)
	v_lshl_add_u32 v5, v7, 23, v5
	v_cmp_lt_i16_e32 vcc_lo, -1, v2
	v_mov_b32_e32 v2, 0x7f800000
	v_lshl_or_b32 v4, v4, 21, v5
	v_and_b32_e32 v5, 0x7c0000, v12
	s_delay_alu instid0(VALU_DEP_3) | instskip(SKIP_1) | instid1(VALU_DEP_4)
	v_cndmask_b32_e32 v2, 0xff800000, v2, vcc_lo
	v_cmp_eq_u32_e32 vcc_lo, 0, v6
	v_add_nc_u32_e32 v4, 0x38000000, v4
	s_delay_alu instid0(VALU_DEP_3) | instskip(SKIP_1) | instid1(VALU_DEP_2)
	v_cndmask_b32_e32 v2, 0x7f800001, v2, vcc_lo
	v_cmp_eq_u32_e32 vcc_lo, 0x7c0000, v5
	v_cndmask_b32_e32 v4, v4, v2, vcc_lo
.LBB6_13776:                            ;   in Loop: Header=BB6_12942 Depth=2
	s_or_b32 exec_lo, exec_lo, s10
	s_delay_alu instid0(VALU_DEP_1) | instskip(SKIP_2) | instid1(VALU_DEP_2)
	v_dual_add_f32 v4, v3, v4 :: v_dual_mov_b32 v7, v1
	v_mov_b32_e32 v3, v1
                                        ; implicit-def: $vgpr29
	s_mov_b32 s10, exec_lo
	v_and_b32_e32 v6, 0x7f800000, v4
	v_and_b32_e32 v2, 0x7fffff, v4
	v_lshrrev_b32_e32 v5, 24, v4
	s_delay_alu instid0(VALU_DEP_3)
	v_cmpx_ne_u64_e32 0x7f800000, v[6:7]
	s_xor_b32 s29, exec_lo, s10
	s_cbranch_execz .LBB6_13790
; %bb.13777:                            ;   in Loop: Header=BB6_12942 Depth=2
	v_and_b32_e32 v6, 0x7fffffff, v4
	v_mov_b32_e32 v7, v1
                                        ; implicit-def: $vgpr29
	s_delay_alu instid0(VALU_DEP_1) | instskip(SKIP_2) | instid1(SALU_CYCLE_1)
	v_cmp_gt_u64_e32 vcc_lo, 0x47600001, v[6:7]
	v_and_b32_e32 v6, 0x80, v5
	s_and_saveexec_b32 s10, vcc_lo
	s_xor_b32 s40, exec_lo, s10
	s_cbranch_execz .LBB6_13787
; %bb.13778:                            ;   in Loop: Header=BB6_12942 Depth=2
	v_mov_b32_e32 v29, 0
	s_mov_b32 s41, exec_lo
	v_cmpx_ne_u32_e32 0, v4
	s_cbranch_execz .LBB6_13786
; %bb.13779:                            ;   in Loop: Header=BB6_12942 Depth=2
	v_bfe_u32 v7, v4, 23, 8
	v_or_b32_e32 v32, 0x800000, v2
	s_delay_alu instid0(VALU_DEP_2) | instskip(SKIP_1) | instid1(VALU_DEP_2)
	v_sub_nc_u32_e32 v4, 0x71, v7
	v_cmp_gt_u32_e32 vcc_lo, 0x72, v7
	v_cndmask_b32_e32 v4, 0, v4, vcc_lo
	v_cmp_eq_u32_e32 vcc_lo, 0, v7
	s_delay_alu instid0(VALU_DEP_2) | instskip(NEXT) | instid1(VALU_DEP_1)
	v_cndmask_b32_e64 v29, v4, 0x70, vcc_lo
	v_dual_cndmask_b32 v2, v32, v2, vcc_lo :: v_dual_add_nc_u32 v4, 21, v29
	v_add_nc_u32_e32 v34, 20, v29
	s_delay_alu instid0(VALU_DEP_2) | instskip(NEXT) | instid1(VALU_DEP_2)
	v_lshlrev_b64_e64 v[4:5], v4, -1
	v_lshlrev_b64_e64 v[38:39], v34, 1
	s_delay_alu instid0(VALU_DEP_2) | instskip(SKIP_1) | instid1(VALU_DEP_4)
	v_bfi_b32 v4, v4, 0, v2
	v_lshrrev_b64 v[2:3], v29, v[2:3]
	v_bfi_b32 v5, v5, 0, 0
	s_delay_alu instid0(VALU_DEP_1) | instskip(NEXT) | instid1(VALU_DEP_3)
	v_cmp_eq_u64_e64 s10, v[4:5], v[38:39]
	v_mov_b64_e32 v[4:5], v[2:3]
	s_and_saveexec_b32 s42, s10
; %bb.13780:                            ;   in Loop: Header=BB6_12942 Depth=2
	v_bfe_u32 v4, v2, 21, 1
	v_mov_b32_e32 v5, v1
	s_delay_alu instid0(VALU_DEP_1) | instskip(NEXT) | instid1(VALU_DEP_1)
	v_add_nc_u64_e32 v[4:5], v[2:3], v[4:5]
	v_add_nc_u64_e32 v[4:5], -1, v[4:5]
; %bb.13781:                            ;   in Loop: Header=BB6_12942 Depth=2
	s_or_b32 exec_lo, exec_lo, s42
	v_add_nc_u32_e32 v3, 0xffffff81, v7
	v_lshrrev_b32_e32 v5, 23, v2
	s_mov_b32 s10, exec_lo
	s_delay_alu instid0(VALU_DEP_2) | instskip(NEXT) | instid1(VALU_DEP_1)
	v_cndmask_b32_e64 v3, v3, 0xffffff82, vcc_lo
	v_add3_u32 v5, v29, v3, v5
	v_and_b32_e32 v3, 0x1fffff, v4
                                        ; implicit-def: $vgpr4
	s_delay_alu instid0(VALU_DEP_1) | instskip(SKIP_1) | instid1(VALU_DEP_2)
	v_dual_add_nc_u32 v7, 14, v5 :: v_dual_add_nc_u32 v2, v3, v2
	v_mov_b32_e32 v3, v1
	v_cmpx_ne_u32_e32 0, v7
	s_xor_b32 s10, exec_lo, s10
; %bb.13782:                            ;   in Loop: Header=BB6_12942 Depth=2
	s_delay_alu instid0(VALU_DEP_2) | instskip(SKIP_2) | instid1(VALU_DEP_2)
	v_cmp_lt_u64_e32 vcc_lo, 0xffffff, v[2:3]
	v_add_nc_u32_e32 v4, 15, v5
	v_cndmask_b32_e64 v5, 0, 1, vcc_lo
	v_cndmask_b32_e32 v4, v7, v4, vcc_lo
	s_delay_alu instid0(VALU_DEP_2)
	v_lshrrev_b64 v[2:3], v5, v[2:3]
; %bb.13783:                            ;   in Loop: Header=BB6_12942 Depth=2
	s_and_not1_saveexec_b32 s10, s10
; %bb.13784:                            ;   in Loop: Header=BB6_12942 Depth=2
	s_delay_alu instid0(VALU_DEP_1)
	v_bfe_u32 v4, v2, 23, 1
; %bb.13785:                            ;   in Loop: Header=BB6_12942 Depth=2
	s_or_b32 exec_lo, exec_lo, s10
	s_delay_alu instid0(VALU_DEP_2) | instskip(NEXT) | instid1(VALU_DEP_2)
	v_lshrrev_b64 v[2:3], 21, v[2:3]
	v_cmp_gt_i32_e32 vcc_lo, 32, v4
	v_min_i32_e32 v5, 31, v4
	v_cmp_eq_u32_e64 s10, 0, v4
	s_delay_alu instid0(VALU_DEP_2) | instskip(SKIP_1) | instid1(VALU_DEP_2)
	v_dual_cndmask_b32 v3, 0, v3, vcc_lo :: v_dual_lshlrev_b32 v5, 2, v5
	v_cndmask_b32_e32 v2, 3, v2, vcc_lo
	v_and_b32_e32 v5, 0xfc, v5
	s_delay_alu instid0(VALU_DEP_2) | instskip(NEXT) | instid1(VALU_DEP_2)
	v_cmp_eq_u64_e32 vcc_lo, 0, v[2:3]
	v_and_or_b32 v2, v2, 3, v5
	s_and_b32 s10, s10, vcc_lo
	s_delay_alu instid0(VALU_DEP_1) | instid1(SALU_CYCLE_1)
	v_cndmask_b32_e64 v2, v2, 0, s10
	s_delay_alu instid0(VALU_DEP_1)
	v_or_b32_e32 v29, v2, v6
.LBB6_13786:                            ;   in Loop: Header=BB6_12942 Depth=2
	s_or_b32 exec_lo, exec_lo, s41
                                        ; implicit-def: $vgpr6
.LBB6_13787:                            ;   in Loop: Header=BB6_12942 Depth=2
	s_and_not1_saveexec_b32 s10, s40
; %bb.13788:                            ;   in Loop: Header=BB6_12942 Depth=2
	v_or_b32_e32 v29, 0x7b, v6
; %bb.13789:                            ;   in Loop: Header=BB6_12942 Depth=2
	s_or_b32 exec_lo, exec_lo, s10
                                        ; implicit-def: $vgpr4
                                        ; implicit-def: $vgpr2_vgpr3
                                        ; implicit-def: $vgpr5
.LBB6_13790:                            ;   in Loop: Header=BB6_12942 Depth=2
	s_and_not1_saveexec_b32 s10, s29
	s_cbranch_execz .LBB6_13796
; %bb.13791:                            ;   in Loop: Header=BB6_12942 Depth=2
	s_mov_b32 s29, exec_lo
                                        ; implicit-def: $vgpr29
	v_cmpx_ne_u64_e32 0, v[2:3]
	s_xor_b32 s29, exec_lo, s29
; %bb.13792:                            ;   in Loop: Header=BB6_12942 Depth=2
	v_or_b32_e32 v29, 0x7f, v5
                                        ; implicit-def: $vgpr4
; %bb.13793:                            ;   in Loop: Header=BB6_12942 Depth=2
	s_and_not1_saveexec_b32 s29, s29
; %bb.13794:                            ;   in Loop: Header=BB6_12942 Depth=2
	v_cmp_lt_i32_e32 vcc_lo, -1, v4
	v_mov_b32_e32 v2, 0x7c
	s_delay_alu instid0(VALU_DEP_1)
	v_cndmask_b32_e32 v29, 0xfc, v2, vcc_lo
; %bb.13795:                            ;   in Loop: Header=BB6_12942 Depth=2
	s_or_b32 exec_lo, exec_lo, s29
.LBB6_13796:                            ;   in Loop: Header=BB6_12942 Depth=2
	s_delay_alu instid0(SALU_CYCLE_1)
	s_or_b32 exec_lo, exec_lo, s10
	v_mov_b32_e32 v3, 0
	s_mov_b32 s10, exec_lo
	v_cmpx_lt_u32_e32 0xffffff, v0
	s_cbranch_execz .LBB6_13806
; %bb.13797:                            ;   in Loop: Header=BB6_12942 Depth=2
	v_lshrrev_b32_e32 v2, 24, v0
	v_bfrev_b32_e32 v3, 1
	s_mov_b32 s29, exec_lo
	s_delay_alu instid0(VALU_DEP_2)
	v_cmpx_ne_u32_e32 0x80, v2
	s_cbranch_execz .LBB6_13805
; %bb.13798:                            ;   in Loop: Header=BB6_12942 Depth=2
	v_and_b32_e32 v3, 0x7c000000, v0
	v_bfe_u32 v4, v0, 24, 2
	s_delay_alu instid0(VALU_DEP_2) | instskip(SKIP_1) | instid1(SALU_CYCLE_1)
	v_cmp_ne_u32_e32 vcc_lo, 0x7c000000, v3
                                        ; implicit-def: $vgpr3
	s_and_saveexec_b32 s40, vcc_lo
	s_xor_b32 s40, exec_lo, s40
	s_cbranch_execz .LBB6_13802
; %bb.13799:                            ;   in Loop: Header=BB6_12942 Depth=2
	v_bfe_u32 v3, v0, 26, 5
	s_mov_b32 s41, exec_lo
	s_delay_alu instid0(VALU_DEP_1)
	v_cmpx_eq_u32_e32 0, v3
; %bb.13800:                            ;   in Loop: Header=BB6_12942 Depth=2
	v_clz_i32_u32_e32 v3, v4
	s_delay_alu instid0(VALU_DEP_1) | instskip(NEXT) | instid1(VALU_DEP_1)
	v_min_u32_e32 v4, 32, v3
	v_subrev_nc_u32_e32 v3, 29, v4
	s_delay_alu instid0(VALU_DEP_1) | instskip(NEXT) | instid1(VALU_DEP_1)
	v_lshlrev_b64_e32 v[2:3], v3, v[2:3]
	v_dual_sub_nc_u32 v3, 30, v4 :: v_dual_bitop2_b32 v4, 3, v2 bitop3:0x40
; %bb.13801:                            ;   in Loop: Header=BB6_12942 Depth=2
	s_or_b32 exec_lo, exec_lo, s41
	v_and_b32_e32 v0, 0x80000000, v0
	s_delay_alu instid0(VALU_DEP_1) | instskip(NEXT) | instid1(VALU_DEP_1)
	v_lshl_add_u32 v0, v3, 23, v0
	v_lshl_or_b32 v0, v4, 21, v0
                                        ; implicit-def: $vgpr4
	s_delay_alu instid0(VALU_DEP_1)
	v_add_nc_u32_e32 v3, 0x38000000, v0
.LBB6_13802:                            ;   in Loop: Header=BB6_12942 Depth=2
	s_and_not1_saveexec_b32 s40, s40
; %bb.13803:                            ;   in Loop: Header=BB6_12942 Depth=2
	v_cmp_lt_i32_e32 vcc_lo, -1, v0
	v_mov_b32_e32 v0, 0x7f800000
	s_delay_alu instid0(VALU_DEP_1) | instskip(SKIP_1) | instid1(VALU_DEP_2)
	v_cndmask_b32_e32 v0, 0xff800000, v0, vcc_lo
	v_cmp_eq_u32_e32 vcc_lo, 0, v4
	v_cndmask_b32_e32 v3, 0x7f800001, v0, vcc_lo
; %bb.13804:                            ;   in Loop: Header=BB6_12942 Depth=2
	s_or_b32 exec_lo, exec_lo, s40
.LBB6_13805:                            ;   in Loop: Header=BB6_12942 Depth=2
	s_delay_alu instid0(SALU_CYCLE_1)
	s_or_b32 exec_lo, exec_lo, s29
.LBB6_13806:                            ;   in Loop: Header=BB6_12942 Depth=2
	s_delay_alu instid0(SALU_CYCLE_1) | instskip(SKIP_3) | instid1(VALU_DEP_2)
	s_or_b32 exec_lo, exec_lo, s10
	v_bfe_u32 v2, v12, 24, 2
	v_bfe_u32 v7, v12, 26, 5
                                        ; implicit-def: $vgpr32
	s_mov_b32 s10, exec_lo
	v_clz_i32_u32_e32 v0, v2
	s_delay_alu instid0(VALU_DEP_2) | instskip(NEXT) | instid1(VALU_DEP_2)
	v_cmp_eq_u32_e32 vcc_lo, 0, v7
	v_min_u32_e32 v6, 32, v0
	v_lshrrev_b32_e32 v0, 24, v12
	s_delay_alu instid0(VALU_DEP_2) | instskip(NEXT) | instid1(VALU_DEP_1)
	v_subrev_nc_u32_e32 v4, 29, v6
	v_lshlrev_b64_e32 v[4:5], v4, v[0:1]
	v_sub_nc_u32_e32 v5, 30, v6
	v_and_b32_e32 v6, 0x80000000, v12
	s_delay_alu instid0(VALU_DEP_2) | instskip(NEXT) | instid1(VALU_DEP_1)
	v_dual_cndmask_b32 v5, v7, v5, vcc_lo :: v_dual_bitop2_b32 v4, 3, v4 bitop3:0x40
	v_lshl_add_u32 v5, v5, 23, v6
	s_delay_alu instid0(VALU_DEP_2) | instskip(SKIP_2) | instid1(VALU_DEP_3)
	v_cndmask_b32_e32 v4, v2, v4, vcc_lo
	v_cmp_lt_i32_e32 vcc_lo, -1, v12
	v_mov_b32_e32 v6, 0x7f800000
	v_lshl_or_b32 v4, v4, 21, v5
	v_and_b32_e32 v5, 0x7c000000, v12
	s_delay_alu instid0(VALU_DEP_3) | instskip(SKIP_1) | instid1(VALU_DEP_4)
	v_cndmask_b32_e32 v6, 0xff800000, v6, vcc_lo
	v_cmp_eq_u32_e32 vcc_lo, 0, v2
	v_add_nc_u32_e32 v4, 0x38000000, v4
	s_delay_alu instid0(VALU_DEP_3) | instskip(SKIP_1) | instid1(VALU_DEP_2)
	v_cndmask_b32_e32 v2, 0x7f800001, v6, vcc_lo
	v_cmp_eq_u32_e32 vcc_lo, 0x7c000000, v5
	v_dual_mov_b32 v5, v1 :: v_dual_cndmask_b32 v2, v4, v2
	v_cmp_ne_u32_e32 vcc_lo, 0x80, v0
	s_delay_alu instid0(VALU_DEP_2) | instskip(SKIP_1) | instid1(VALU_DEP_2)
	v_cndmask_b32_e32 v0, 0x80000000, v2, vcc_lo
	v_cmp_lt_u32_e32 vcc_lo, 0xffffff, v12
	v_cndmask_b32_e32 v0, 0, v0, vcc_lo
	s_delay_alu instid0(VALU_DEP_1) | instskip(NEXT) | instid1(VALU_DEP_1)
	v_add_f32_e32 v2, v0, v3
	v_and_b32_e32 v4, 0x7f800000, v2
	v_and_b32_e32 v0, 0x7fffff, v2
	v_lshrrev_b32_e32 v3, 24, v2
	s_delay_alu instid0(VALU_DEP_3)
	v_cmpx_ne_u64_e32 0x7f800000, v[4:5]
	s_xor_b32 s29, exec_lo, s10
	s_cbranch_execz .LBB6_13820
; %bb.13807:                            ;   in Loop: Header=BB6_12942 Depth=2
	v_and_b32_e32 v4, 0x7fffffff, v2
	v_mov_b32_e32 v5, v1
	v_and_b32_e32 v6, 0x80, v3
                                        ; implicit-def: $vgpr32
	s_mov_b32 s10, exec_lo
	s_delay_alu instid0(VALU_DEP_2)
	v_cmpx_gt_u64_e32 0x47600001, v[4:5]
	s_xor_b32 s40, exec_lo, s10
	s_cbranch_execz .LBB6_13817
; %bb.13808:                            ;   in Loop: Header=BB6_12942 Depth=2
	v_mov_b32_e32 v32, 0
	s_mov_b32 s41, exec_lo
	v_cmpx_ne_u32_e32 0, v2
	s_cbranch_execz .LBB6_13816
; %bb.13809:                            ;   in Loop: Header=BB6_12942 Depth=2
	v_bfe_u32 v7, v2, 23, 8
	v_or_b32_e32 v4, 0x800000, v0
	s_mov_b32 s42, exec_lo
	s_delay_alu instid0(VALU_DEP_2) | instskip(SKIP_1) | instid1(VALU_DEP_2)
	v_dual_mov_b32 v5, v1 :: v_dual_sub_nc_u32 v2, 0x71, v7
	v_cmp_gt_u32_e32 vcc_lo, 0x72, v7
	v_cndmask_b32_e32 v2, 0, v2, vcc_lo
	v_cmp_eq_u32_e32 vcc_lo, 0, v7
	s_delay_alu instid0(VALU_DEP_2) | instskip(SKIP_1) | instid1(VALU_DEP_2)
	v_cndmask_b32_e64 v32, v2, 0x70, vcc_lo
	v_cndmask_b32_e32 v4, v4, v0, vcc_lo
	v_dual_add_nc_u32 v2, 21, v32 :: v_dual_add_nc_u32 v34, 20, v32
	s_delay_alu instid0(VALU_DEP_1) | instskip(NEXT) | instid1(VALU_DEP_2)
	v_lshlrev_b64_e64 v[2:3], v2, -1
	v_lshlrev_b64_e64 v[38:39], v34, 1
	s_delay_alu instid0(VALU_DEP_2) | instskip(NEXT) | instid1(VALU_DEP_3)
	v_bfi_b32 v49, v3, 0, 0
	v_bfi_b32 v48, v2, 0, v4
	v_lshrrev_b64 v[2:3], v32, v[4:5]
	s_delay_alu instid0(VALU_DEP_1) | instskip(NEXT) | instid1(VALU_DEP_3)
	v_mov_b64_e32 v[4:5], v[2:3]
	v_cmpx_eq_u64_e64 v[48:49], v[38:39]
; %bb.13810:                            ;   in Loop: Header=BB6_12942 Depth=2
	v_bfe_u32 v4, v2, 21, 1
	v_mov_b32_e32 v5, v1
	s_delay_alu instid0(VALU_DEP_1) | instskip(NEXT) | instid1(VALU_DEP_1)
	v_add_nc_u64_e32 v[4:5], v[2:3], v[4:5]
	v_add_nc_u64_e32 v[4:5], -1, v[4:5]
; %bb.13811:                            ;   in Loop: Header=BB6_12942 Depth=2
	s_or_b32 exec_lo, exec_lo, s42
	v_add_nc_u32_e32 v0, 0xffffff81, v7
	s_delay_alu instid0(VALU_DEP_2) | instskip(SKIP_2) | instid1(VALU_DEP_3)
	v_and_b32_e32 v4, 0x1fffff, v4
	v_lshrrev_b32_e32 v3, 23, v2
	s_mov_b32 s10, exec_lo
	v_cndmask_b32_e64 v0, v0, 0xffffff82, vcc_lo
	s_delay_alu instid0(VALU_DEP_1) | instskip(SKIP_1) | instid1(VALU_DEP_2)
	v_add3_u32 v5, v32, v0, v3
	v_add_nc_u32_e32 v0, v4, v2
                                        ; implicit-def: $vgpr2_vgpr3
                                        ; implicit-def: $vgpr4
	v_add_nc_u32_e32 v7, 14, v5
	s_delay_alu instid0(VALU_DEP_1)
	v_cmpx_ne_u32_e32 0, v7
	s_xor_b32 s10, exec_lo, s10
; %bb.13812:                            ;   in Loop: Header=BB6_12942 Depth=2
	s_delay_alu instid0(VALU_DEP_3) | instskip(SKIP_1) | instid1(VALU_DEP_1)
	v_cmp_lt_u64_e32 vcc_lo, 0xffffff, v[0:1]
	v_add_nc_u32_e32 v2, 15, v5
	v_cndmask_b32_e32 v4, v7, v2, vcc_lo
	v_cndmask_b32_e64 v2, 0, 1, vcc_lo
	s_delay_alu instid0(VALU_DEP_1)
	v_lshrrev_b64 v[2:3], v2, v[0:1]
; %bb.13813:                            ;   in Loop: Header=BB6_12942 Depth=2
	s_and_not1_saveexec_b32 s10, s10
; %bb.13814:                            ;   in Loop: Header=BB6_12942 Depth=2
	v_mov_b64_e32 v[2:3], v[0:1]
	v_bfe_u32 v4, v0, 23, 1
; %bb.13815:                            ;   in Loop: Header=BB6_12942 Depth=2
	s_or_b32 exec_lo, exec_lo, s10
	s_delay_alu instid0(VALU_DEP_2) | instskip(NEXT) | instid1(VALU_DEP_2)
	v_lshrrev_b64 v[2:3], 21, v[2:3]
	v_cmp_gt_i32_e32 vcc_lo, 32, v4
	v_min_i32_e32 v0, 31, v4
	v_cmp_eq_u32_e64 s10, 0, v4
	s_delay_alu instid0(VALU_DEP_2) | instskip(SKIP_1) | instid1(VALU_DEP_2)
	v_dual_cndmask_b32 v3, 0, v3 :: v_dual_lshlrev_b32 v0, 2, v0
	v_cndmask_b32_e32 v2, 3, v2, vcc_lo
	v_and_b32_e32 v0, 0xfc, v0
	s_delay_alu instid0(VALU_DEP_2) | instskip(NEXT) | instid1(VALU_DEP_2)
	v_cmp_eq_u64_e32 vcc_lo, 0, v[2:3]
	v_and_or_b32 v0, v2, 3, v0
	s_and_b32 s10, s10, vcc_lo
	s_delay_alu instid0(VALU_DEP_1) | instid1(SALU_CYCLE_1)
	v_cndmask_b32_e64 v0, v0, 0, s10
	s_delay_alu instid0(VALU_DEP_1)
	v_or_b32_e32 v32, v0, v6
.LBB6_13816:                            ;   in Loop: Header=BB6_12942 Depth=2
	s_or_b32 exec_lo, exec_lo, s41
                                        ; implicit-def: $vgpr6
.LBB6_13817:                            ;   in Loop: Header=BB6_12942 Depth=2
	s_and_not1_saveexec_b32 s10, s40
; %bb.13818:                            ;   in Loop: Header=BB6_12942 Depth=2
	v_or_b32_e32 v32, 0x7b, v6
; %bb.13819:                            ;   in Loop: Header=BB6_12942 Depth=2
	s_or_b32 exec_lo, exec_lo, s10
                                        ; implicit-def: $vgpr2
                                        ; implicit-def: $vgpr3
.LBB6_13820:                            ;   in Loop: Header=BB6_12942 Depth=2
	s_and_not1_saveexec_b32 s10, s29
	s_cbranch_execz .LBB6_13826
; %bb.13821:                            ;   in Loop: Header=BB6_12942 Depth=2
	s_mov_b32 s29, exec_lo
                                        ; implicit-def: $vgpr32
	v_cmpx_ne_u64_e32 0, v[0:1]
	s_xor_b32 s29, exec_lo, s29
; %bb.13822:                            ;   in Loop: Header=BB6_12942 Depth=2
	v_or_b32_e32 v32, 0x7f, v3
                                        ; implicit-def: $vgpr2
; %bb.13823:                            ;   in Loop: Header=BB6_12942 Depth=2
	s_and_not1_saveexec_b32 s29, s29
; %bb.13824:                            ;   in Loop: Header=BB6_12942 Depth=2
	v_cmp_lt_i32_e32 vcc_lo, -1, v2
	v_mov_b32_e32 v0, 0x7c
	s_delay_alu instid0(VALU_DEP_1)
	v_cndmask_b32_e32 v32, 0xfc, v0, vcc_lo
; %bb.13825:                            ;   in Loop: Header=BB6_12942 Depth=2
	s_or_b32 exec_lo, exec_lo, s29
.LBB6_13826:                            ;   in Loop: Header=BB6_12942 Depth=2
	s_delay_alu instid0(SALU_CYCLE_1) | instskip(SKIP_4) | instid1(VALU_DEP_2)
	s_or_b32 exec_lo, exec_lo, s10
	v_dual_lshlrev_b32 v0, 24, v31 :: v_dual_lshlrev_b32 v2, 16, v28
	v_lshl_or_b32 v26, v26, 8, v23
	v_mov_b32_e32 v4, 0
	s_mov_b32 s10, exec_lo
	v_or3_b32 v0, v2, v0, v26
	v_cmpx_ne_u32_e32 0, v23
	s_cbranch_execz .LBB6_13836
; %bb.13827:                            ;   in Loop: Header=BB6_12942 Depth=2
	v_bfrev_b32_e32 v4, 1
	s_mov_b32 s29, exec_lo
	v_cmpx_ne_u32_e32 0x80, v23
	s_cbranch_execz .LBB6_13835
; %bb.13828:                            ;   in Loop: Header=BB6_12942 Depth=2
	v_and_b32_e32 v3, 0x7c, v23
	v_and_b32_e32 v2, 3, v23
	s_mov_b32 s40, exec_lo
                                        ; implicit-def: $vgpr4
	s_delay_alu instid0(VALU_DEP_2)
	v_cmpx_ne_u32_e32 0x7c, v3
	s_xor_b32 s40, exec_lo, s40
	s_cbranch_execz .LBB6_13832
; %bb.13829:                            ;   in Loop: Header=BB6_12942 Depth=2
	v_bfe_u32 v3, v23, 2, 5
	s_mov_b32 s41, exec_lo
	s_delay_alu instid0(VALU_DEP_1)
	v_cmpx_eq_u32_e32 0, v3
; %bb.13830:                            ;   in Loop: Header=BB6_12942 Depth=2
	v_clz_i32_u32_e32 v2, v2
	s_delay_alu instid0(VALU_DEP_1) | instskip(NEXT) | instid1(VALU_DEP_1)
	v_min_u32_e32 v4, 32, v2
	v_subrev_nc_u32_e32 v2, 29, v4
	s_delay_alu instid0(VALU_DEP_1) | instskip(NEXT) | instid1(VALU_DEP_1)
	v_lshlrev_b64_e32 v[2:3], v2, v[0:1]
	v_dual_sub_nc_u32 v3, 30, v4 :: v_dual_bitop2_b32 v2, 3, v2 bitop3:0x40
; %bb.13831:                            ;   in Loop: Header=BB6_12942 Depth=2
	s_or_b32 exec_lo, exec_lo, s41
	v_lshlrev_b32_e32 v4, 24, v23
                                        ; implicit-def: $vgpr23
	s_delay_alu instid0(VALU_DEP_1) | instskip(NEXT) | instid1(VALU_DEP_1)
	v_and_b32_e32 v4, 0x80000000, v4
	v_lshl_add_u32 v3, v3, 23, v4
	s_delay_alu instid0(VALU_DEP_1) | instskip(NEXT) | instid1(VALU_DEP_1)
	v_lshl_or_b32 v2, v2, 21, v3
	v_add_nc_u32_e32 v4, 0x38000000, v2
                                        ; implicit-def: $vgpr2
.LBB6_13832:                            ;   in Loop: Header=BB6_12942 Depth=2
	s_and_not1_saveexec_b32 s40, s40
; %bb.13833:                            ;   in Loop: Header=BB6_12942 Depth=2
	v_and_b32_e32 v3, 0x80, v23
	s_delay_alu instid0(VALU_DEP_1) | instskip(SKIP_1) | instid1(VALU_DEP_1)
	v_cmp_eq_u32_e32 vcc_lo, 0, v3
	v_mov_b32_e32 v3, 0x7f800000
	v_cndmask_b32_e32 v3, 0xff800000, v3, vcc_lo
	v_cmp_eq_u32_e32 vcc_lo, 0, v2
	s_delay_alu instid0(VALU_DEP_2)
	v_cndmask_b32_e32 v4, 0x7f800001, v3, vcc_lo
; %bb.13834:                            ;   in Loop: Header=BB6_12942 Depth=2
	s_or_b32 exec_lo, exec_lo, s40
.LBB6_13835:                            ;   in Loop: Header=BB6_12942 Depth=2
	s_delay_alu instid0(SALU_CYCLE_1)
	s_or_b32 exec_lo, exec_lo, s29
.LBB6_13836:                            ;   in Loop: Header=BB6_12942 Depth=2
	s_delay_alu instid0(SALU_CYCLE_1) | instskip(SKIP_4) | instid1(VALU_DEP_2)
	s_or_b32 exec_lo, exec_lo, s10
	v_and_b32_e32 v3, 0xff, v13
	v_mov_b32_e32 v2, v13
	s_mov_b32 s29, 0
	s_mov_b32 s10, exec_lo
	v_cmpx_lt_i16_e32 0x7f, v3
	s_xor_b32 s10, exec_lo, s10
	s_cbranch_execnz .LBB6_13993
; %bb.13837:                            ;   in Loop: Header=BB6_12942 Depth=2
	s_or_saveexec_b32 s10, s10
	v_bfrev_b32_e32 v5, 1
	s_xor_b32 exec_lo, exec_lo, s10
	s_cbranch_execnz .LBB6_13996
.LBB6_13838:                            ;   in Loop: Header=BB6_12942 Depth=2
	s_or_b32 exec_lo, exec_lo, s10
	v_mov_b32_e32 v3, v1
	s_and_saveexec_b32 s10, s29
	s_cbranch_execz .LBB6_13840
.LBB6_13839:                            ;   in Loop: Header=BB6_12942 Depth=2
	v_and_b32_e32 v5, 3, v13
	s_delay_alu instid0(VALU_DEP_1) | instskip(NEXT) | instid1(VALU_DEP_1)
	v_clz_i32_u32_e32 v6, v5
	v_min_u32_e32 v23, 32, v6
	s_delay_alu instid0(VALU_DEP_1) | instskip(NEXT) | instid1(VALU_DEP_1)
	v_subrev_nc_u32_e32 v6, 29, v23
	v_lshlrev_b64_e32 v[6:7], v6, v[2:3]
	v_bfe_u32 v7, v13, 2, 5
	v_dual_lshlrev_b32 v3, 24, v13 :: v_dual_sub_nc_u32 v23, 30, v23
	s_delay_alu instid0(VALU_DEP_2) | instskip(NEXT) | instid1(VALU_DEP_2)
	v_cmp_eq_u32_e32 vcc_lo, 0, v7
	v_and_b32_e32 v3, 0x80000000, v3
	s_delay_alu instid0(VALU_DEP_3) | instskip(SKIP_1) | instid1(VALU_DEP_2)
	v_dual_cndmask_b32 v7, v7, v23, vcc_lo :: v_dual_bitop2_b32 v6, 3, v6 bitop3:0x40
	v_bfe_i32 v23, v13, 0, 8
	v_cndmask_b32_e32 v6, v5, v6, vcc_lo
	s_delay_alu instid0(VALU_DEP_3) | instskip(NEXT) | instid1(VALU_DEP_3)
	v_lshl_add_u32 v3, v7, 23, v3
	v_cmp_lt_i16_e32 vcc_lo, -1, v23
	v_mov_b32_e32 v7, 0x7f800000
	s_delay_alu instid0(VALU_DEP_3) | instskip(SKIP_1) | instid1(VALU_DEP_3)
	v_lshl_or_b32 v3, v6, 21, v3
	v_and_b32_e32 v6, 0x7c, v13
	v_cndmask_b32_e32 v7, 0xff800000, v7, vcc_lo
	v_cmp_eq_u32_e32 vcc_lo, 0, v5
	s_delay_alu instid0(VALU_DEP_4) | instskip(NEXT) | instid1(VALU_DEP_3)
	v_add_nc_u32_e32 v3, 0x38000000, v3
	v_cndmask_b32_e32 v5, 0x7f800001, v7, vcc_lo
	v_cmp_eq_u32_e32 vcc_lo, 0x7c, v6
	s_delay_alu instid0(VALU_DEP_2)
	v_cndmask_b32_e32 v5, v3, v5, vcc_lo
.LBB6_13840:                            ;   in Loop: Header=BB6_12942 Depth=2
	s_or_b32 exec_lo, exec_lo, s10
	s_delay_alu instid0(VALU_DEP_1) | instskip(SKIP_2) | instid1(VALU_DEP_2)
	v_dual_add_f32 v7, v4, v5 :: v_dual_mov_b32 v39, v1
	v_mov_b32_e32 v5, v1
                                        ; implicit-def: $vgpr6
	s_mov_b32 s10, exec_lo
	v_and_b32_e32 v38, 0x7f800000, v7
	v_and_b32_e32 v4, 0x7fffff, v7
	v_lshrrev_b32_e32 v3, 24, v7
	s_delay_alu instid0(VALU_DEP_3)
	v_cmpx_ne_u64_e32 0x7f800000, v[38:39]
	s_xor_b32 s29, exec_lo, s10
	s_cbranch_execz .LBB6_13854
; %bb.13841:                            ;   in Loop: Header=BB6_12942 Depth=2
	v_and_b32_e32 v38, 0x7fffffff, v7
	v_mov_b32_e32 v39, v1
	v_and_b32_e32 v3, 0x80, v3
                                        ; implicit-def: $vgpr6
	s_mov_b32 s10, exec_lo
	s_delay_alu instid0(VALU_DEP_2)
	v_cmpx_gt_u64_e32 0x47600001, v[38:39]
	s_xor_b32 s40, exec_lo, s10
	s_cbranch_execz .LBB6_13851
; %bb.13842:                            ;   in Loop: Header=BB6_12942 Depth=2
	v_mov_b32_e32 v6, 0
	s_mov_b32 s41, exec_lo
	v_cmpx_ne_u32_e32 0, v7
	s_cbranch_execz .LBB6_13850
; %bb.13843:                            ;   in Loop: Header=BB6_12942 Depth=2
	v_bfe_u32 v23, v7, 23, 8
	v_or_b32_e32 v31, 0x800000, v4
	s_delay_alu instid0(VALU_DEP_2) | instskip(SKIP_1) | instid1(VALU_DEP_2)
	v_sub_nc_u32_e32 v6, 0x71, v23
	v_cmp_gt_u32_e32 vcc_lo, 0x72, v23
	v_cndmask_b32_e32 v6, 0, v6, vcc_lo
	v_cmp_eq_u32_e32 vcc_lo, 0, v23
	s_delay_alu instid0(VALU_DEP_2) | instskip(SKIP_1) | instid1(VALU_DEP_2)
	v_cndmask_b32_e64 v28, v6, 0x70, vcc_lo
	v_cndmask_b32_e32 v4, v31, v4, vcc_lo
	v_dual_add_nc_u32 v6, 21, v28 :: v_dual_add_nc_u32 v34, 20, v28
	s_delay_alu instid0(VALU_DEP_1) | instskip(NEXT) | instid1(VALU_DEP_2)
	v_lshlrev_b64_e64 v[6:7], v6, -1
	v_lshlrev_b64_e64 v[38:39], v34, 1
	s_delay_alu instid0(VALU_DEP_2) | instskip(SKIP_1) | instid1(VALU_DEP_4)
	v_bfi_b32 v6, v6, 0, v4
	v_lshrrev_b64 v[4:5], v28, v[4:5]
	v_bfi_b32 v7, v7, 0, 0
	s_delay_alu instid0(VALU_DEP_1) | instskip(NEXT) | instid1(VALU_DEP_3)
	v_cmp_eq_u64_e64 s10, v[6:7], v[38:39]
	v_mov_b64_e32 v[6:7], v[4:5]
	s_and_saveexec_b32 s42, s10
; %bb.13844:                            ;   in Loop: Header=BB6_12942 Depth=2
	v_bfe_u32 v6, v4, 21, 1
	v_mov_b32_e32 v7, v1
	s_delay_alu instid0(VALU_DEP_1) | instskip(NEXT) | instid1(VALU_DEP_1)
	v_add_nc_u64_e32 v[6:7], v[4:5], v[6:7]
	v_add_nc_u64_e32 v[6:7], -1, v[6:7]
; %bb.13845:                            ;   in Loop: Header=BB6_12942 Depth=2
	s_or_b32 exec_lo, exec_lo, s42
	v_add_nc_u32_e32 v5, 0xffffff81, v23
	v_lshrrev_b32_e32 v7, 23, v4
	s_mov_b32 s10, exec_lo
	s_delay_alu instid0(VALU_DEP_2) | instskip(NEXT) | instid1(VALU_DEP_1)
	v_cndmask_b32_e64 v5, v5, 0xffffff82, vcc_lo
	v_add3_u32 v7, v28, v5, v7
	v_and_b32_e32 v5, 0x1fffff, v6
                                        ; implicit-def: $vgpr6
	s_delay_alu instid0(VALU_DEP_1) | instskip(SKIP_1) | instid1(VALU_DEP_2)
	v_dual_add_nc_u32 v23, 14, v7 :: v_dual_add_nc_u32 v4, v5, v4
	v_mov_b32_e32 v5, v1
	v_cmpx_ne_u32_e32 0, v23
	s_xor_b32 s10, exec_lo, s10
; %bb.13846:                            ;   in Loop: Header=BB6_12942 Depth=2
	s_delay_alu instid0(VALU_DEP_2) | instskip(SKIP_2) | instid1(VALU_DEP_2)
	v_cmp_lt_u64_e32 vcc_lo, 0xffffff, v[4:5]
	v_add_nc_u32_e32 v6, 15, v7
	v_cndmask_b32_e64 v7, 0, 1, vcc_lo
	v_cndmask_b32_e32 v6, v23, v6, vcc_lo
	s_delay_alu instid0(VALU_DEP_2)
	v_lshrrev_b64 v[4:5], v7, v[4:5]
; %bb.13847:                            ;   in Loop: Header=BB6_12942 Depth=2
	s_and_not1_saveexec_b32 s10, s10
; %bb.13848:                            ;   in Loop: Header=BB6_12942 Depth=2
	s_delay_alu instid0(VALU_DEP_1)
	v_bfe_u32 v6, v4, 23, 1
; %bb.13849:                            ;   in Loop: Header=BB6_12942 Depth=2
	s_or_b32 exec_lo, exec_lo, s10
	s_delay_alu instid0(VALU_DEP_2) | instskip(NEXT) | instid1(VALU_DEP_2)
	v_lshrrev_b64 v[4:5], 21, v[4:5]
	v_cmp_gt_i32_e32 vcc_lo, 32, v6
	v_min_i32_e32 v7, 31, v6
	v_cmp_eq_u32_e64 s10, 0, v6
	s_delay_alu instid0(VALU_DEP_2) | instskip(SKIP_1) | instid1(VALU_DEP_2)
	v_dual_cndmask_b32 v5, 0, v5, vcc_lo :: v_dual_lshlrev_b32 v7, 2, v7
	v_cndmask_b32_e32 v4, 3, v4, vcc_lo
	v_and_b32_e32 v7, 0xfc, v7
	s_delay_alu instid0(VALU_DEP_2) | instskip(NEXT) | instid1(VALU_DEP_2)
	v_cmp_eq_u64_e32 vcc_lo, 0, v[4:5]
	v_and_or_b32 v4, v4, 3, v7
	s_and_b32 s10, s10, vcc_lo
	s_delay_alu instid0(VALU_DEP_1) | instid1(SALU_CYCLE_1)
	v_cndmask_b32_e64 v4, v4, 0, s10
	s_delay_alu instid0(VALU_DEP_1)
	v_or_b32_e32 v6, v4, v3
.LBB6_13850:                            ;   in Loop: Header=BB6_12942 Depth=2
	s_or_b32 exec_lo, exec_lo, s41
                                        ; implicit-def: $vgpr3
.LBB6_13851:                            ;   in Loop: Header=BB6_12942 Depth=2
	s_and_not1_saveexec_b32 s10, s40
; %bb.13852:                            ;   in Loop: Header=BB6_12942 Depth=2
	v_or_b32_e32 v6, 0x7b, v3
; %bb.13853:                            ;   in Loop: Header=BB6_12942 Depth=2
	s_or_b32 exec_lo, exec_lo, s10
                                        ; implicit-def: $vgpr7
                                        ; implicit-def: $vgpr4_vgpr5
                                        ; implicit-def: $vgpr3
.LBB6_13854:                            ;   in Loop: Header=BB6_12942 Depth=2
	s_and_not1_saveexec_b32 s10, s29
	s_cbranch_execz .LBB6_13860
; %bb.13855:                            ;   in Loop: Header=BB6_12942 Depth=2
	s_mov_b32 s29, exec_lo
                                        ; implicit-def: $vgpr6
	v_cmpx_ne_u64_e32 0, v[4:5]
	s_xor_b32 s29, exec_lo, s29
; %bb.13856:                            ;   in Loop: Header=BB6_12942 Depth=2
	v_or_b32_e32 v6, 0x7f, v3
                                        ; implicit-def: $vgpr7
; %bb.13857:                            ;   in Loop: Header=BB6_12942 Depth=2
	s_and_not1_saveexec_b32 s29, s29
; %bb.13858:                            ;   in Loop: Header=BB6_12942 Depth=2
	v_cmp_lt_i32_e32 vcc_lo, -1, v7
	v_mov_b32_e32 v3, 0x7c
	s_delay_alu instid0(VALU_DEP_1)
	v_cndmask_b32_e32 v6, 0xfc, v3, vcc_lo
; %bb.13859:                            ;   in Loop: Header=BB6_12942 Depth=2
	s_or_b32 exec_lo, exec_lo, s29
.LBB6_13860:                            ;   in Loop: Header=BB6_12942 Depth=2
	s_delay_alu instid0(SALU_CYCLE_1) | instskip(SKIP_3) | instid1(VALU_DEP_2)
	s_or_b32 exec_lo, exec_lo, s10
	v_lshrrev_b16 v4, 8, v26
	v_mov_b32_e32 v3, 0
	s_mov_b32 s10, exec_lo
	v_cmpx_ne_u16_e32 0, v4
	s_cbranch_execz .LBB6_13870
; %bb.13861:                            ;   in Loop: Header=BB6_12942 Depth=2
	v_bfrev_b32_e32 v3, 1
	s_mov_b32 s29, exec_lo
	v_cmpx_ne_u16_e32 0x80, v4
	s_cbranch_execz .LBB6_13869
; %bb.13862:                            ;   in Loop: Header=BB6_12942 Depth=2
	v_and_b32_e32 v7, 0xffff, v4
	s_delay_alu instid0(VALU_DEP_1) | instskip(SKIP_1) | instid1(VALU_DEP_2)
	v_and_b32_e32 v3, 0x7c, v7
	v_and_b32_e32 v5, 3, v7
	v_cmp_ne_u32_e32 vcc_lo, 0x7c, v3
                                        ; implicit-def: $vgpr3
	s_and_saveexec_b32 s40, vcc_lo
	s_delay_alu instid0(SALU_CYCLE_1)
	s_xor_b32 s40, exec_lo, s40
	s_cbranch_execz .LBB6_13866
; %bb.13863:                            ;   in Loop: Header=BB6_12942 Depth=2
	v_bfe_u32 v3, v7, 2, 5
	s_mov_b32 s41, exec_lo
	s_delay_alu instid0(VALU_DEP_1)
	v_cmpx_eq_u32_e32 0, v3
	s_cbranch_execz .LBB6_13865
; %bb.13864:                            ;   in Loop: Header=BB6_12942 Depth=2
	v_clz_i32_u32_e32 v3, v5
	s_delay_alu instid0(VALU_DEP_1) | instskip(SKIP_1) | instid1(VALU_DEP_2)
	v_min_u32_e32 v3, 32, v3
	v_mov_b32_e32 v5, v1
	v_subrev_nc_u32_e32 v7, 29, v3
	v_sub_nc_u32_e32 v3, 30, v3
	s_delay_alu instid0(VALU_DEP_2) | instskip(NEXT) | instid1(VALU_DEP_1)
	v_lshlrev_b64_e32 v[4:5], v7, v[4:5]
	v_and_b32_e32 v5, 3, v4
.LBB6_13865:                            ;   in Loop: Header=BB6_12942 Depth=2
	s_or_b32 exec_lo, exec_lo, s41
	v_lshlrev_b32_e32 v4, 16, v26
                                        ; implicit-def: $vgpr26
	s_delay_alu instid0(VALU_DEP_1) | instskip(NEXT) | instid1(VALU_DEP_1)
	v_and_b32_e32 v4, 0x80000000, v4
	v_lshl_add_u32 v3, v3, 23, v4
	s_delay_alu instid0(VALU_DEP_1) | instskip(NEXT) | instid1(VALU_DEP_1)
	v_lshl_or_b32 v3, v5, 21, v3
                                        ; implicit-def: $vgpr5
	v_add_nc_u32_e32 v3, 0x38000000, v3
.LBB6_13866:                            ;   in Loop: Header=BB6_12942 Depth=2
	s_and_not1_saveexec_b32 s40, s40
; %bb.13867:                            ;   in Loop: Header=BB6_12942 Depth=2
	v_cmp_lt_i16_e32 vcc_lo, -1, v26
	v_mov_b32_e32 v3, 0x7f800000
	s_delay_alu instid0(VALU_DEP_1) | instskip(SKIP_1) | instid1(VALU_DEP_2)
	v_cndmask_b32_e32 v3, 0xff800000, v3, vcc_lo
	v_cmp_eq_u32_e32 vcc_lo, 0, v5
	v_cndmask_b32_e32 v3, 0x7f800001, v3, vcc_lo
; %bb.13868:                            ;   in Loop: Header=BB6_12942 Depth=2
	s_or_b32 exec_lo, exec_lo, s40
.LBB6_13869:                            ;   in Loop: Header=BB6_12942 Depth=2
	s_delay_alu instid0(SALU_CYCLE_1)
	s_or_b32 exec_lo, exec_lo, s29
.LBB6_13870:                            ;   in Loop: Header=BB6_12942 Depth=2
	s_delay_alu instid0(SALU_CYCLE_1) | instskip(SKIP_3) | instid1(VALU_DEP_1)
	s_or_b32 exec_lo, exec_lo, s10
	v_lshrrev_b16 v4, 8, v2
	s_mov_b32 s29, 0
	s_mov_b32 s10, exec_lo
	v_cmpx_lt_i16_e32 0x7f, v4
	s_xor_b32 s10, exec_lo, s10
	s_cbranch_execnz .LBB6_13997
; %bb.13871:                            ;   in Loop: Header=BB6_12942 Depth=2
	s_or_saveexec_b32 s10, s10
	v_bfrev_b32_e32 v5, 1
	s_xor_b32 exec_lo, exec_lo, s10
	s_cbranch_execnz .LBB6_14000
.LBB6_13872:                            ;   in Loop: Header=BB6_12942 Depth=2
	s_or_b32 exec_lo, exec_lo, s10
	s_and_saveexec_b32 s10, s29
	s_cbranch_execz .LBB6_13874
.LBB6_13873:                            ;   in Loop: Header=BB6_12942 Depth=2
	v_and_b32_e32 v7, 0xffff, v4
	s_delay_alu instid0(VALU_DEP_1) | instskip(NEXT) | instid1(VALU_DEP_1)
	v_and_b32_e32 v23, 3, v7
	v_clz_i32_u32_e32 v5, v23
	s_delay_alu instid0(VALU_DEP_1) | instskip(SKIP_1) | instid1(VALU_DEP_2)
	v_min_u32_e32 v26, 32, v5
	v_mov_b32_e32 v5, v1
	v_subrev_nc_u32_e32 v28, 29, v26
	v_sub_nc_u32_e32 v26, 30, v26
	s_delay_alu instid0(VALU_DEP_2) | instskip(SKIP_2) | instid1(VALU_DEP_2)
	v_lshlrev_b64_e32 v[38:39], v28, v[4:5]
	v_bfe_u32 v5, v7, 2, 5
	v_lshlrev_b32_e32 v4, 24, v4
	v_cmp_eq_u32_e32 vcc_lo, 0, v5
	s_delay_alu instid0(VALU_DEP_2) | instskip(SKIP_1) | instid1(VALU_DEP_1)
	v_and_b32_e32 v4, 0x80000000, v4
	v_and_b32_e32 v28, 3, v38
	v_dual_cndmask_b32 v5, v5, v26 :: v_dual_cndmask_b32 v26, v23, v28
	v_cmp_lt_i16_e32 vcc_lo, -1, v2
	v_mov_b32_e32 v2, 0x7f800000
	s_delay_alu instid0(VALU_DEP_3) | instskip(SKIP_1) | instid1(VALU_DEP_3)
	v_lshl_add_u32 v4, v5, 23, v4
	v_and_b32_e32 v5, 0x7c, v7
	v_cndmask_b32_e32 v2, 0xff800000, v2, vcc_lo
	s_delay_alu instid0(VALU_DEP_3) | instskip(SKIP_1) | instid1(VALU_DEP_2)
	v_lshl_or_b32 v4, v26, 21, v4
	v_cmp_eq_u32_e32 vcc_lo, 0, v23
	v_add_nc_u32_e32 v4, 0x38000000, v4
	s_delay_alu instid0(VALU_DEP_4) | instskip(SKIP_1) | instid1(VALU_DEP_2)
	v_cndmask_b32_e32 v2, 0x7f800001, v2, vcc_lo
	v_cmp_eq_u32_e32 vcc_lo, 0x7c, v5
	v_cndmask_b32_e32 v5, v4, v2, vcc_lo
.LBB6_13874:                            ;   in Loop: Header=BB6_12942 Depth=2
	s_or_b32 exec_lo, exec_lo, s10
	s_delay_alu instid0(VALU_DEP_1) | instskip(SKIP_2) | instid1(VALU_DEP_2)
	v_dual_add_f32 v4, v3, v5 :: v_dual_mov_b32 v39, v1
	v_mov_b32_e32 v3, v1
                                        ; implicit-def: $vgpr7
	s_mov_b32 s10, exec_lo
	v_and_b32_e32 v38, 0x7f800000, v4
	v_and_b32_e32 v2, 0x7fffff, v4
	v_lshrrev_b32_e32 v5, 24, v4
	s_delay_alu instid0(VALU_DEP_3)
	v_cmpx_ne_u64_e32 0x7f800000, v[38:39]
	s_xor_b32 s29, exec_lo, s10
	s_cbranch_execz .LBB6_13888
; %bb.13875:                            ;   in Loop: Header=BB6_12942 Depth=2
	v_and_b32_e32 v38, 0x7fffffff, v4
	v_mov_b32_e32 v39, v1
	v_and_b32_e32 v23, 0x80, v5
                                        ; implicit-def: $vgpr7
	s_mov_b32 s10, exec_lo
	s_delay_alu instid0(VALU_DEP_2)
	v_cmpx_gt_u64_e32 0x47600001, v[38:39]
	s_xor_b32 s40, exec_lo, s10
	s_cbranch_execz .LBB6_13885
; %bb.13876:                            ;   in Loop: Header=BB6_12942 Depth=2
	v_mov_b32_e32 v7, 0
	s_mov_b32 s41, exec_lo
	v_cmpx_ne_u32_e32 0, v4
	s_cbranch_execz .LBB6_13884
; %bb.13877:                            ;   in Loop: Header=BB6_12942 Depth=2
	v_bfe_u32 v7, v4, 23, 8
	v_or_b32_e32 v28, 0x800000, v2
	s_delay_alu instid0(VALU_DEP_2) | instskip(SKIP_1) | instid1(VALU_DEP_2)
	v_sub_nc_u32_e32 v4, 0x71, v7
	v_cmp_gt_u32_e32 vcc_lo, 0x72, v7
	v_cndmask_b32_e32 v4, 0, v4, vcc_lo
	v_cmp_eq_u32_e32 vcc_lo, 0, v7
	s_delay_alu instid0(VALU_DEP_2) | instskip(SKIP_1) | instid1(VALU_DEP_2)
	v_cndmask_b32_e64 v26, v4, 0x70, vcc_lo
	v_cndmask_b32_e32 v2, v28, v2, vcc_lo
	v_dual_add_nc_u32 v4, 21, v26 :: v_dual_add_nc_u32 v31, 20, v26
	s_delay_alu instid0(VALU_DEP_1) | instskip(NEXT) | instid1(VALU_DEP_2)
	v_lshlrev_b64_e64 v[4:5], v4, -1
	v_lshlrev_b64_e64 v[38:39], v31, 1
	s_delay_alu instid0(VALU_DEP_2) | instskip(SKIP_1) | instid1(VALU_DEP_4)
	v_bfi_b32 v4, v4, 0, v2
	v_lshrrev_b64 v[2:3], v26, v[2:3]
	v_bfi_b32 v5, v5, 0, 0
	s_delay_alu instid0(VALU_DEP_1) | instskip(NEXT) | instid1(VALU_DEP_3)
	v_cmp_eq_u64_e64 s10, v[4:5], v[38:39]
	v_mov_b64_e32 v[4:5], v[2:3]
	s_and_saveexec_b32 s42, s10
; %bb.13878:                            ;   in Loop: Header=BB6_12942 Depth=2
	v_bfe_u32 v4, v2, 21, 1
	v_mov_b32_e32 v5, v1
	s_delay_alu instid0(VALU_DEP_1) | instskip(NEXT) | instid1(VALU_DEP_1)
	v_add_nc_u64_e32 v[4:5], v[2:3], v[4:5]
	v_add_nc_u64_e32 v[4:5], -1, v[4:5]
; %bb.13879:                            ;   in Loop: Header=BB6_12942 Depth=2
	s_or_b32 exec_lo, exec_lo, s42
	v_add_nc_u32_e32 v3, 0xffffff81, v7
	v_lshrrev_b32_e32 v5, 23, v2
	s_mov_b32 s10, exec_lo
	s_delay_alu instid0(VALU_DEP_2) | instskip(NEXT) | instid1(VALU_DEP_1)
	v_cndmask_b32_e64 v3, v3, 0xffffff82, vcc_lo
	v_add3_u32 v5, v26, v3, v5
	v_and_b32_e32 v3, 0x1fffff, v4
                                        ; implicit-def: $vgpr4
	s_delay_alu instid0(VALU_DEP_1) | instskip(SKIP_1) | instid1(VALU_DEP_2)
	v_dual_add_nc_u32 v7, 14, v5 :: v_dual_add_nc_u32 v2, v3, v2
	v_mov_b32_e32 v3, v1
	v_cmpx_ne_u32_e32 0, v7
	s_xor_b32 s10, exec_lo, s10
; %bb.13880:                            ;   in Loop: Header=BB6_12942 Depth=2
	s_delay_alu instid0(VALU_DEP_2) | instskip(SKIP_2) | instid1(VALU_DEP_2)
	v_cmp_lt_u64_e32 vcc_lo, 0xffffff, v[2:3]
	v_add_nc_u32_e32 v4, 15, v5
	v_cndmask_b32_e64 v5, 0, 1, vcc_lo
	v_cndmask_b32_e32 v4, v7, v4, vcc_lo
	s_delay_alu instid0(VALU_DEP_2)
	v_lshrrev_b64 v[2:3], v5, v[2:3]
; %bb.13881:                            ;   in Loop: Header=BB6_12942 Depth=2
	s_and_not1_saveexec_b32 s10, s10
; %bb.13882:                            ;   in Loop: Header=BB6_12942 Depth=2
	s_delay_alu instid0(VALU_DEP_1)
	v_bfe_u32 v4, v2, 23, 1
; %bb.13883:                            ;   in Loop: Header=BB6_12942 Depth=2
	s_or_b32 exec_lo, exec_lo, s10
	s_delay_alu instid0(VALU_DEP_2) | instskip(NEXT) | instid1(VALU_DEP_2)
	v_lshrrev_b64 v[2:3], 21, v[2:3]
	v_cmp_gt_i32_e32 vcc_lo, 32, v4
	v_min_i32_e32 v5, 31, v4
	v_cmp_eq_u32_e64 s10, 0, v4
	s_delay_alu instid0(VALU_DEP_2) | instskip(SKIP_1) | instid1(VALU_DEP_2)
	v_dual_cndmask_b32 v3, 0, v3, vcc_lo :: v_dual_lshlrev_b32 v5, 2, v5
	v_cndmask_b32_e32 v2, 3, v2, vcc_lo
	v_and_b32_e32 v5, 0xfc, v5
	s_delay_alu instid0(VALU_DEP_2) | instskip(NEXT) | instid1(VALU_DEP_2)
	v_cmp_eq_u64_e32 vcc_lo, 0, v[2:3]
	v_and_or_b32 v2, v2, 3, v5
	s_and_b32 s10, s10, vcc_lo
	s_delay_alu instid0(VALU_DEP_1) | instid1(SALU_CYCLE_1)
	v_cndmask_b32_e64 v2, v2, 0, s10
	s_delay_alu instid0(VALU_DEP_1)
	v_or_b32_e32 v7, v2, v23
.LBB6_13884:                            ;   in Loop: Header=BB6_12942 Depth=2
	s_or_b32 exec_lo, exec_lo, s41
                                        ; implicit-def: $vgpr23
.LBB6_13885:                            ;   in Loop: Header=BB6_12942 Depth=2
	s_and_not1_saveexec_b32 s10, s40
; %bb.13886:                            ;   in Loop: Header=BB6_12942 Depth=2
	v_or_b32_e32 v7, 0x7b, v23
; %bb.13887:                            ;   in Loop: Header=BB6_12942 Depth=2
	s_or_b32 exec_lo, exec_lo, s10
                                        ; implicit-def: $vgpr4
                                        ; implicit-def: $vgpr2_vgpr3
                                        ; implicit-def: $vgpr5
.LBB6_13888:                            ;   in Loop: Header=BB6_12942 Depth=2
	s_and_not1_saveexec_b32 s10, s29
	s_cbranch_execz .LBB6_13894
; %bb.13889:                            ;   in Loop: Header=BB6_12942 Depth=2
	s_mov_b32 s29, exec_lo
                                        ; implicit-def: $vgpr7
	v_cmpx_ne_u64_e32 0, v[2:3]
	s_xor_b32 s29, exec_lo, s29
; %bb.13890:                            ;   in Loop: Header=BB6_12942 Depth=2
	v_or_b32_e32 v7, 0x7f, v5
                                        ; implicit-def: $vgpr4
; %bb.13891:                            ;   in Loop: Header=BB6_12942 Depth=2
	s_and_not1_saveexec_b32 s29, s29
; %bb.13892:                            ;   in Loop: Header=BB6_12942 Depth=2
	v_cmp_lt_i32_e32 vcc_lo, -1, v4
	v_mov_b32_e32 v2, 0x7c
	s_delay_alu instid0(VALU_DEP_1)
	v_cndmask_b32_e32 v7, 0xfc, v2, vcc_lo
; %bb.13893:                            ;   in Loop: Header=BB6_12942 Depth=2
	s_or_b32 exec_lo, exec_lo, s29
.LBB6_13894:                            ;   in Loop: Header=BB6_12942 Depth=2
	s_delay_alu instid0(SALU_CYCLE_1) | instskip(SKIP_2) | instid1(VALU_DEP_1)
	s_or_b32 exec_lo, exec_lo, s10
	v_dual_mov_b32 v3, 0 :: v_dual_lshrrev_b32 v2, 16, v0
	s_mov_b32 s10, exec_lo
	v_and_b32_e32 v4, 0xff, v2
	s_delay_alu instid0(VALU_DEP_1)
	v_cmpx_ne_u16_e32 0, v4
	s_cbranch_execz .LBB6_13904
; %bb.13895:                            ;   in Loop: Header=BB6_12942 Depth=2
	v_bfrev_b32_e32 v3, 1
	s_mov_b32 s29, exec_lo
	v_cmpx_ne_u16_e32 0x80, v4
	s_cbranch_execz .LBB6_13903
; %bb.13896:                            ;   in Loop: Header=BB6_12942 Depth=2
	v_and_b32_e32 v3, 0x7c0000, v0
	v_bfe_u32 v4, v0, 16, 2
	s_delay_alu instid0(VALU_DEP_2) | instskip(SKIP_1) | instid1(SALU_CYCLE_1)
	v_cmp_ne_u32_e32 vcc_lo, 0x7c0000, v3
                                        ; implicit-def: $vgpr3
	s_and_saveexec_b32 s40, vcc_lo
	s_xor_b32 s40, exec_lo, s40
	s_cbranch_execz .LBB6_13900
; %bb.13897:                            ;   in Loop: Header=BB6_12942 Depth=2
	v_bfe_u32 v3, v0, 18, 5
	s_mov_b32 s41, exec_lo
	s_delay_alu instid0(VALU_DEP_1)
	v_cmpx_eq_u32_e32 0, v3
; %bb.13898:                            ;   in Loop: Header=BB6_12942 Depth=2
	v_clz_i32_u32_e32 v3, v4
	s_delay_alu instid0(VALU_DEP_1) | instskip(NEXT) | instid1(VALU_DEP_1)
	v_min_u32_e32 v3, 32, v3
	v_subrev_nc_u32_e32 v4, 29, v3
	s_delay_alu instid0(VALU_DEP_1) | instskip(NEXT) | instid1(VALU_DEP_1)
	v_lshlrev_b64_e32 v[4:5], v4, v[2:3]
	v_dual_sub_nc_u32 v3, 30, v3 :: v_dual_bitop2_b32 v4, 3, v4 bitop3:0x40
; %bb.13899:                            ;   in Loop: Header=BB6_12942 Depth=2
	s_or_b32 exec_lo, exec_lo, s41
	v_lshlrev_b32_e32 v2, 24, v2
	s_delay_alu instid0(VALU_DEP_1) | instskip(NEXT) | instid1(VALU_DEP_1)
	v_and_b32_e32 v2, 0x80000000, v2
	v_lshl_add_u32 v2, v3, 23, v2
	s_delay_alu instid0(VALU_DEP_1) | instskip(NEXT) | instid1(VALU_DEP_1)
	v_lshl_or_b32 v2, v4, 21, v2
                                        ; implicit-def: $vgpr4
	v_add_nc_u32_e32 v3, 0x38000000, v2
                                        ; implicit-def: $vgpr2
.LBB6_13900:                            ;   in Loop: Header=BB6_12942 Depth=2
	s_and_not1_saveexec_b32 s40, s40
; %bb.13901:                            ;   in Loop: Header=BB6_12942 Depth=2
	v_bfe_i32 v2, v2, 0, 8
	s_delay_alu instid0(VALU_DEP_1) | instskip(SKIP_1) | instid1(VALU_DEP_1)
	v_cmp_lt_i16_e32 vcc_lo, -1, v2
	v_mov_b32_e32 v2, 0x7f800000
	v_cndmask_b32_e32 v2, 0xff800000, v2, vcc_lo
	v_cmp_eq_u32_e32 vcc_lo, 0, v4
	s_delay_alu instid0(VALU_DEP_2)
	v_cndmask_b32_e32 v3, 0x7f800001, v2, vcc_lo
; %bb.13902:                            ;   in Loop: Header=BB6_12942 Depth=2
	s_or_b32 exec_lo, exec_lo, s40
.LBB6_13903:                            ;   in Loop: Header=BB6_12942 Depth=2
	s_delay_alu instid0(SALU_CYCLE_1)
	s_or_b32 exec_lo, exec_lo, s29
.LBB6_13904:                            ;   in Loop: Header=BB6_12942 Depth=2
	s_delay_alu instid0(SALU_CYCLE_1) | instskip(SKIP_3) | instid1(VALU_DEP_1)
	s_or_b32 exec_lo, exec_lo, s10
	v_lshrrev_b32_e32 v2, 16, v13
	s_mov_b32 s29, 0
	s_mov_b32 s10, exec_lo
	v_and_b32_e32 v5, 0xff, v2
	s_delay_alu instid0(VALU_DEP_1)
	v_cmpx_lt_i16_e32 0x7f, v5
	s_xor_b32 s10, exec_lo, s10
	s_cbranch_execnz .LBB6_14001
; %bb.13905:                            ;   in Loop: Header=BB6_12942 Depth=2
	s_or_saveexec_b32 s10, s10
	v_bfrev_b32_e32 v4, 1
	s_xor_b32 exec_lo, exec_lo, s10
	s_cbranch_execnz .LBB6_14004
.LBB6_13906:                            ;   in Loop: Header=BB6_12942 Depth=2
	s_or_b32 exec_lo, exec_lo, s10
	s_and_saveexec_b32 s10, s29
	s_cbranch_execz .LBB6_13908
.LBB6_13907:                            ;   in Loop: Header=BB6_12942 Depth=2
	v_and_b32_e32 v23, 3, v2
	v_bfe_u32 v28, v13, 18, 5
	s_delay_alu instid0(VALU_DEP_2) | instskip(NEXT) | instid1(VALU_DEP_2)
	v_clz_i32_u32_e32 v4, v23
	v_cmp_eq_u32_e32 vcc_lo, 0, v28
	s_delay_alu instid0(VALU_DEP_2) | instskip(NEXT) | instid1(VALU_DEP_1)
	v_min_u32_e32 v26, 32, v4
	v_subrev_nc_u32_e32 v4, 29, v26
	s_delay_alu instid0(VALU_DEP_1) | instskip(SKIP_3) | instid1(VALU_DEP_3)
	v_lshlrev_b64_e32 v[4:5], v4, v[2:3]
	v_lshlrev_b32_e32 v5, 24, v2
	v_sub_nc_u32_e32 v26, 30, v26
	v_bfe_i32 v2, v2, 0, 8
	v_and_b32_e32 v5, 0x80000000, v5
	s_delay_alu instid0(VALU_DEP_3) | instskip(NEXT) | instid1(VALU_DEP_1)
	v_dual_cndmask_b32 v26, v28, v26, vcc_lo :: v_dual_bitop2_b32 v4, 3, v4 bitop3:0x40
	v_cndmask_b32_e32 v4, v23, v4, vcc_lo
	s_delay_alu instid0(VALU_DEP_2) | instskip(SKIP_2) | instid1(VALU_DEP_3)
	v_lshl_add_u32 v5, v26, 23, v5
	v_cmp_lt_i16_e32 vcc_lo, -1, v2
	v_mov_b32_e32 v2, 0x7f800000
	v_lshl_or_b32 v4, v4, 21, v5
	v_and_b32_e32 v5, 0x7c0000, v13
	s_delay_alu instid0(VALU_DEP_3) | instskip(SKIP_1) | instid1(VALU_DEP_4)
	v_cndmask_b32_e32 v2, 0xff800000, v2, vcc_lo
	v_cmp_eq_u32_e32 vcc_lo, 0, v23
	v_add_nc_u32_e32 v4, 0x38000000, v4
	s_delay_alu instid0(VALU_DEP_3) | instskip(SKIP_1) | instid1(VALU_DEP_2)
	v_cndmask_b32_e32 v2, 0x7f800001, v2, vcc_lo
	v_cmp_eq_u32_e32 vcc_lo, 0x7c0000, v5
	v_cndmask_b32_e32 v4, v4, v2, vcc_lo
.LBB6_13908:                            ;   in Loop: Header=BB6_12942 Depth=2
	s_or_b32 exec_lo, exec_lo, s10
	s_delay_alu instid0(VALU_DEP_1) | instskip(SKIP_2) | instid1(VALU_DEP_2)
	v_dual_add_f32 v4, v3, v4 :: v_dual_mov_b32 v39, v1
	v_mov_b32_e32 v3, v1
                                        ; implicit-def: $vgpr23
	s_mov_b32 s10, exec_lo
	v_and_b32_e32 v38, 0x7f800000, v4
	v_and_b32_e32 v2, 0x7fffff, v4
	v_lshrrev_b32_e32 v5, 24, v4
	s_delay_alu instid0(VALU_DEP_3)
	v_cmpx_ne_u64_e32 0x7f800000, v[38:39]
	s_xor_b32 s29, exec_lo, s10
	s_cbranch_execz .LBB6_13922
; %bb.13909:                            ;   in Loop: Header=BB6_12942 Depth=2
	v_and_b32_e32 v38, 0x7fffffff, v4
	v_mov_b32_e32 v39, v1
	v_and_b32_e32 v26, 0x80, v5
                                        ; implicit-def: $vgpr23
	s_mov_b32 s10, exec_lo
	s_delay_alu instid0(VALU_DEP_2)
	v_cmpx_gt_u64_e32 0x47600001, v[38:39]
	s_xor_b32 s40, exec_lo, s10
	s_cbranch_execz .LBB6_13919
; %bb.13910:                            ;   in Loop: Header=BB6_12942 Depth=2
	v_mov_b32_e32 v23, 0
	s_mov_b32 s41, exec_lo
	v_cmpx_ne_u32_e32 0, v4
	s_cbranch_execz .LBB6_13918
; %bb.13911:                            ;   in Loop: Header=BB6_12942 Depth=2
	v_bfe_u32 v23, v4, 23, 8
	v_or_b32_e32 v31, 0x800000, v2
	s_delay_alu instid0(VALU_DEP_2) | instskip(SKIP_1) | instid1(VALU_DEP_2)
	v_sub_nc_u32_e32 v4, 0x71, v23
	v_cmp_gt_u32_e32 vcc_lo, 0x72, v23
	v_cndmask_b32_e32 v4, 0, v4, vcc_lo
	v_cmp_eq_u32_e32 vcc_lo, 0, v23
	v_cndmask_b32_e32 v2, v31, v2, vcc_lo
	s_delay_alu instid0(VALU_DEP_3) | instskip(NEXT) | instid1(VALU_DEP_1)
	v_cndmask_b32_e64 v28, v4, 0x70, vcc_lo
	v_dual_add_nc_u32 v4, 21, v28 :: v_dual_add_nc_u32 v34, 20, v28
	s_delay_alu instid0(VALU_DEP_1) | instskip(NEXT) | instid1(VALU_DEP_2)
	v_lshlrev_b64_e64 v[4:5], v4, -1
	v_lshlrev_b64_e64 v[38:39], v34, 1
	s_delay_alu instid0(VALU_DEP_2) | instskip(SKIP_1) | instid1(VALU_DEP_4)
	v_bfi_b32 v4, v4, 0, v2
	v_lshrrev_b64 v[2:3], v28, v[2:3]
	v_bfi_b32 v5, v5, 0, 0
	s_delay_alu instid0(VALU_DEP_1) | instskip(NEXT) | instid1(VALU_DEP_3)
	v_cmp_eq_u64_e64 s10, v[4:5], v[38:39]
	v_mov_b64_e32 v[4:5], v[2:3]
	s_and_saveexec_b32 s42, s10
; %bb.13912:                            ;   in Loop: Header=BB6_12942 Depth=2
	v_bfe_u32 v4, v2, 21, 1
	v_mov_b32_e32 v5, v1
	s_delay_alu instid0(VALU_DEP_1) | instskip(NEXT) | instid1(VALU_DEP_1)
	v_add_nc_u64_e32 v[4:5], v[2:3], v[4:5]
	v_add_nc_u64_e32 v[4:5], -1, v[4:5]
; %bb.13913:                            ;   in Loop: Header=BB6_12942 Depth=2
	s_or_b32 exec_lo, exec_lo, s42
	v_add_nc_u32_e32 v3, 0xffffff81, v23
	v_lshrrev_b32_e32 v5, 23, v2
	s_mov_b32 s10, exec_lo
	s_delay_alu instid0(VALU_DEP_2) | instskip(NEXT) | instid1(VALU_DEP_1)
	v_cndmask_b32_e64 v3, v3, 0xffffff82, vcc_lo
	v_add3_u32 v5, v28, v3, v5
	v_and_b32_e32 v3, 0x1fffff, v4
                                        ; implicit-def: $vgpr4
	s_delay_alu instid0(VALU_DEP_1) | instskip(SKIP_1) | instid1(VALU_DEP_2)
	v_dual_add_nc_u32 v23, 14, v5 :: v_dual_add_nc_u32 v2, v3, v2
	v_mov_b32_e32 v3, v1
	v_cmpx_ne_u32_e32 0, v23
	s_xor_b32 s10, exec_lo, s10
; %bb.13914:                            ;   in Loop: Header=BB6_12942 Depth=2
	s_delay_alu instid0(VALU_DEP_2) | instskip(SKIP_2) | instid1(VALU_DEP_2)
	v_cmp_lt_u64_e32 vcc_lo, 0xffffff, v[2:3]
	v_add_nc_u32_e32 v4, 15, v5
	v_cndmask_b32_e64 v5, 0, 1, vcc_lo
	v_cndmask_b32_e32 v4, v23, v4, vcc_lo
	s_delay_alu instid0(VALU_DEP_2)
	v_lshrrev_b64 v[2:3], v5, v[2:3]
; %bb.13915:                            ;   in Loop: Header=BB6_12942 Depth=2
	s_and_not1_saveexec_b32 s10, s10
; %bb.13916:                            ;   in Loop: Header=BB6_12942 Depth=2
	s_delay_alu instid0(VALU_DEP_1)
	v_bfe_u32 v4, v2, 23, 1
; %bb.13917:                            ;   in Loop: Header=BB6_12942 Depth=2
	s_or_b32 exec_lo, exec_lo, s10
	s_delay_alu instid0(VALU_DEP_2) | instskip(NEXT) | instid1(VALU_DEP_2)
	v_lshrrev_b64 v[2:3], 21, v[2:3]
	v_cmp_gt_i32_e32 vcc_lo, 32, v4
	v_min_i32_e32 v5, 31, v4
	v_cmp_eq_u32_e64 s10, 0, v4
	s_delay_alu instid0(VALU_DEP_2) | instskip(SKIP_1) | instid1(VALU_DEP_2)
	v_dual_cndmask_b32 v3, 0, v3, vcc_lo :: v_dual_lshlrev_b32 v5, 2, v5
	v_cndmask_b32_e32 v2, 3, v2, vcc_lo
	v_and_b32_e32 v5, 0xfc, v5
	s_delay_alu instid0(VALU_DEP_2) | instskip(NEXT) | instid1(VALU_DEP_2)
	v_cmp_eq_u64_e32 vcc_lo, 0, v[2:3]
	v_and_or_b32 v2, v2, 3, v5
	s_and_b32 s10, s10, vcc_lo
	s_delay_alu instid0(VALU_DEP_1) | instid1(SALU_CYCLE_1)
	v_cndmask_b32_e64 v2, v2, 0, s10
	s_delay_alu instid0(VALU_DEP_1)
	v_or_b32_e32 v23, v2, v26
.LBB6_13918:                            ;   in Loop: Header=BB6_12942 Depth=2
	s_or_b32 exec_lo, exec_lo, s41
                                        ; implicit-def: $vgpr26
.LBB6_13919:                            ;   in Loop: Header=BB6_12942 Depth=2
	s_and_not1_saveexec_b32 s10, s40
; %bb.13920:                            ;   in Loop: Header=BB6_12942 Depth=2
	v_or_b32_e32 v23, 0x7b, v26
; %bb.13921:                            ;   in Loop: Header=BB6_12942 Depth=2
	s_or_b32 exec_lo, exec_lo, s10
                                        ; implicit-def: $vgpr4
                                        ; implicit-def: $vgpr2_vgpr3
                                        ; implicit-def: $vgpr5
.LBB6_13922:                            ;   in Loop: Header=BB6_12942 Depth=2
	s_and_not1_saveexec_b32 s10, s29
	s_cbranch_execz .LBB6_13928
; %bb.13923:                            ;   in Loop: Header=BB6_12942 Depth=2
	s_mov_b32 s29, exec_lo
                                        ; implicit-def: $vgpr23
	v_cmpx_ne_u64_e32 0, v[2:3]
	s_xor_b32 s29, exec_lo, s29
; %bb.13924:                            ;   in Loop: Header=BB6_12942 Depth=2
	v_or_b32_e32 v23, 0x7f, v5
                                        ; implicit-def: $vgpr4
; %bb.13925:                            ;   in Loop: Header=BB6_12942 Depth=2
	s_and_not1_saveexec_b32 s29, s29
; %bb.13926:                            ;   in Loop: Header=BB6_12942 Depth=2
	v_cmp_lt_i32_e32 vcc_lo, -1, v4
	v_mov_b32_e32 v2, 0x7c
	s_delay_alu instid0(VALU_DEP_1)
	v_cndmask_b32_e32 v23, 0xfc, v2, vcc_lo
; %bb.13927:                            ;   in Loop: Header=BB6_12942 Depth=2
	s_or_b32 exec_lo, exec_lo, s29
.LBB6_13928:                            ;   in Loop: Header=BB6_12942 Depth=2
	s_delay_alu instid0(SALU_CYCLE_1)
	s_or_b32 exec_lo, exec_lo, s10
	v_mov_b32_e32 v3, 0
	s_mov_b32 s10, exec_lo
	v_cmpx_lt_u32_e32 0xffffff, v0
	s_cbranch_execz .LBB6_13938
; %bb.13929:                            ;   in Loop: Header=BB6_12942 Depth=2
	v_lshrrev_b32_e32 v2, 24, v0
	v_bfrev_b32_e32 v3, 1
	s_mov_b32 s29, exec_lo
	s_delay_alu instid0(VALU_DEP_2)
	v_cmpx_ne_u32_e32 0x80, v2
	s_cbranch_execz .LBB6_13937
; %bb.13930:                            ;   in Loop: Header=BB6_12942 Depth=2
	v_and_b32_e32 v3, 0x7c000000, v0
	v_bfe_u32 v4, v0, 24, 2
	s_delay_alu instid0(VALU_DEP_2) | instskip(SKIP_1) | instid1(SALU_CYCLE_1)
	v_cmp_ne_u32_e32 vcc_lo, 0x7c000000, v3
                                        ; implicit-def: $vgpr3
	s_and_saveexec_b32 s40, vcc_lo
	s_xor_b32 s40, exec_lo, s40
	s_cbranch_execz .LBB6_13934
; %bb.13931:                            ;   in Loop: Header=BB6_12942 Depth=2
	v_bfe_u32 v3, v0, 26, 5
	s_mov_b32 s41, exec_lo
	s_delay_alu instid0(VALU_DEP_1)
	v_cmpx_eq_u32_e32 0, v3
; %bb.13932:                            ;   in Loop: Header=BB6_12942 Depth=2
	v_clz_i32_u32_e32 v3, v4
	s_delay_alu instid0(VALU_DEP_1) | instskip(NEXT) | instid1(VALU_DEP_1)
	v_min_u32_e32 v4, 32, v3
	v_subrev_nc_u32_e32 v3, 29, v4
	s_delay_alu instid0(VALU_DEP_1) | instskip(NEXT) | instid1(VALU_DEP_1)
	v_lshlrev_b64_e32 v[2:3], v3, v[2:3]
	v_dual_sub_nc_u32 v3, 30, v4 :: v_dual_bitop2_b32 v4, 3, v2 bitop3:0x40
; %bb.13933:                            ;   in Loop: Header=BB6_12942 Depth=2
	s_or_b32 exec_lo, exec_lo, s41
	v_and_b32_e32 v0, 0x80000000, v0
	s_delay_alu instid0(VALU_DEP_1) | instskip(NEXT) | instid1(VALU_DEP_1)
	v_lshl_add_u32 v0, v3, 23, v0
	v_lshl_or_b32 v0, v4, 21, v0
                                        ; implicit-def: $vgpr4
	s_delay_alu instid0(VALU_DEP_1)
	v_add_nc_u32_e32 v3, 0x38000000, v0
.LBB6_13934:                            ;   in Loop: Header=BB6_12942 Depth=2
	s_and_not1_saveexec_b32 s40, s40
; %bb.13935:                            ;   in Loop: Header=BB6_12942 Depth=2
	v_cmp_lt_i32_e32 vcc_lo, -1, v0
	v_mov_b32_e32 v0, 0x7f800000
	s_delay_alu instid0(VALU_DEP_1) | instskip(SKIP_1) | instid1(VALU_DEP_2)
	v_cndmask_b32_e32 v0, 0xff800000, v0, vcc_lo
	v_cmp_eq_u32_e32 vcc_lo, 0, v4
	v_cndmask_b32_e32 v3, 0x7f800001, v0, vcc_lo
; %bb.13936:                            ;   in Loop: Header=BB6_12942 Depth=2
	s_or_b32 exec_lo, exec_lo, s40
.LBB6_13937:                            ;   in Loop: Header=BB6_12942 Depth=2
	s_delay_alu instid0(SALU_CYCLE_1)
	s_or_b32 exec_lo, exec_lo, s29
.LBB6_13938:                            ;   in Loop: Header=BB6_12942 Depth=2
	s_delay_alu instid0(SALU_CYCLE_1) | instskip(SKIP_2) | instid1(VALU_DEP_2)
	s_or_b32 exec_lo, exec_lo, s10
	v_bfe_u32 v2, v13, 24, 2
	v_bfe_u32 v28, v13, 26, 5
	v_clz_i32_u32_e32 v0, v2
	s_delay_alu instid0(VALU_DEP_2) | instskip(NEXT) | instid1(VALU_DEP_2)
	v_cmp_eq_u32_e32 vcc_lo, 0, v28
	v_min_u32_e32 v26, 32, v0
	v_lshrrev_b32_e32 v0, 24, v13
	s_delay_alu instid0(VALU_DEP_2) | instskip(NEXT) | instid1(VALU_DEP_1)
	v_subrev_nc_u32_e32 v4, 29, v26
	v_lshlrev_b64_e32 v[4:5], v4, v[0:1]
	v_sub_nc_u32_e32 v5, 30, v26
	v_and_b32_e32 v26, 0x80000000, v13
	s_delay_alu instid0(VALU_DEP_2) | instskip(NEXT) | instid1(VALU_DEP_1)
	v_dual_cndmask_b32 v5, v28, v5, vcc_lo :: v_dual_bitop2_b32 v4, 3, v4 bitop3:0x40
	v_lshl_add_u32 v5, v5, 23, v26
	s_delay_alu instid0(VALU_DEP_2) | instskip(SKIP_2) | instid1(VALU_DEP_3)
	v_cndmask_b32_e32 v4, v2, v4, vcc_lo
	v_cmp_lt_i64_e32 vcc_lo, -1, v[12:13]
	v_mov_b32_e32 v26, 0x7f800000
	v_lshl_or_b32 v4, v4, 21, v5
	v_and_b32_e32 v5, 0x7c000000, v13
	s_delay_alu instid0(VALU_DEP_3) | instskip(SKIP_1) | instid1(VALU_DEP_4)
	v_cndmask_b32_e32 v26, 0xff800000, v26, vcc_lo
	v_cmp_eq_u32_e32 vcc_lo, 0, v2
	v_add_nc_u32_e32 v4, 0x38000000, v4
	s_delay_alu instid0(VALU_DEP_3) | instskip(SKIP_1) | instid1(VALU_DEP_2)
	v_cndmask_b32_e32 v2, 0x7f800001, v26, vcc_lo
	v_cmp_eq_u32_e32 vcc_lo, 0x7c000000, v5
	v_dual_mov_b32 v5, v1 :: v_dual_cndmask_b32 v2, v4, v2
	v_cmp_ne_u32_e32 vcc_lo, 0x80, v0
	s_delay_alu instid0(VALU_DEP_2) | instskip(SKIP_1) | instid1(VALU_DEP_2)
	v_cndmask_b32_e32 v0, 0x80000000, v2, vcc_lo
	v_cmp_lt_u64_e32 vcc_lo, s[12:13], v[12:13]
                                        ; implicit-def: $vgpr2
	v_cndmask_b32_e32 v0, 0, v0, vcc_lo
	s_delay_alu instid0(VALU_DEP_1) | instskip(NEXT) | instid1(VALU_DEP_1)
	v_add_f32_e32 v3, v0, v3
	v_and_b32_e32 v4, 0x7f800000, v3
	v_and_b32_e32 v0, 0x7fffff, v3
	s_delay_alu instid0(VALU_DEP_2) | instskip(SKIP_2) | instid1(SALU_CYCLE_1)
	v_cmp_ne_u64_e32 vcc_lo, 0x7f800000, v[4:5]
	v_lshrrev_b32_e32 v4, 24, v3
	s_and_saveexec_b32 s10, vcc_lo
	s_xor_b32 s29, exec_lo, s10
	s_cbranch_execz .LBB6_13952
; %bb.13939:                            ;   in Loop: Header=BB6_12942 Depth=2
	v_and_b32_e32 v12, 0x7fffffff, v3
	v_mov_b32_e32 v13, v1
                                        ; implicit-def: $vgpr2
	s_delay_alu instid0(VALU_DEP_1) | instskip(SKIP_2) | instid1(SALU_CYCLE_1)
	v_cmp_gt_u64_e32 vcc_lo, 0x47600001, v[12:13]
	v_and_b32_e32 v12, 0x80, v4
	s_and_saveexec_b32 s10, vcc_lo
	s_xor_b32 s40, exec_lo, s10
	s_cbranch_execz .LBB6_13949
; %bb.13940:                            ;   in Loop: Header=BB6_12942 Depth=2
	v_mov_b32_e32 v2, 0
	s_mov_b32 s41, exec_lo
	v_cmpx_ne_u32_e32 0, v3
	s_cbranch_execz .LBB6_13948
; %bb.13941:                            ;   in Loop: Header=BB6_12942 Depth=2
	v_bfe_u32 v13, v3, 23, 8
	v_or_b32_e32 v4, 0x800000, v0
	s_mov_b32 s42, exec_lo
	s_delay_alu instid0(VALU_DEP_2) | instskip(SKIP_1) | instid1(VALU_DEP_2)
	v_dual_mov_b32 v5, v1 :: v_dual_sub_nc_u32 v2, 0x71, v13
	v_cmp_gt_u32_e32 vcc_lo, 0x72, v13
	v_cndmask_b32_e32 v2, 0, v2, vcc_lo
	v_cmp_eq_u32_e32 vcc_lo, 0, v13
	v_cndmask_b32_e32 v4, v4, v0, vcc_lo
	s_delay_alu instid0(VALU_DEP_3) | instskip(NEXT) | instid1(VALU_DEP_1)
	v_cndmask_b32_e64 v26, v2, 0x70, vcc_lo
	v_dual_add_nc_u32 v2, 21, v26 :: v_dual_add_nc_u32 v28, 20, v26
	s_delay_alu instid0(VALU_DEP_1) | instskip(NEXT) | instid1(VALU_DEP_2)
	v_lshlrev_b64_e64 v[2:3], v2, -1
	v_lshlrev_b64_e64 v[38:39], v28, 1
	s_delay_alu instid0(VALU_DEP_2) | instskip(NEXT) | instid1(VALU_DEP_3)
	v_bfi_b32 v49, v3, 0, 0
	v_bfi_b32 v48, v2, 0, v4
	v_lshrrev_b64 v[2:3], v26, v[4:5]
	s_delay_alu instid0(VALU_DEP_1) | instskip(NEXT) | instid1(VALU_DEP_3)
	v_mov_b64_e32 v[4:5], v[2:3]
	v_cmpx_eq_u64_e64 v[48:49], v[38:39]
; %bb.13942:                            ;   in Loop: Header=BB6_12942 Depth=2
	v_bfe_u32 v4, v2, 21, 1
	v_mov_b32_e32 v5, v1
	s_delay_alu instid0(VALU_DEP_1) | instskip(NEXT) | instid1(VALU_DEP_1)
	v_add_nc_u64_e32 v[4:5], v[2:3], v[4:5]
	v_add_nc_u64_e32 v[4:5], -1, v[4:5]
; %bb.13943:                            ;   in Loop: Header=BB6_12942 Depth=2
	s_or_b32 exec_lo, exec_lo, s42
	v_add_nc_u32_e32 v0, 0xffffff81, v13
	s_delay_alu instid0(VALU_DEP_2) | instskip(SKIP_2) | instid1(VALU_DEP_3)
	v_and_b32_e32 v4, 0x1fffff, v4
	v_lshrrev_b32_e32 v3, 23, v2
	s_mov_b32 s10, exec_lo
	v_cndmask_b32_e64 v0, v0, 0xffffff82, vcc_lo
	s_delay_alu instid0(VALU_DEP_1) | instskip(SKIP_1) | instid1(VALU_DEP_2)
	v_add3_u32 v5, v26, v0, v3
	v_add_nc_u32_e32 v0, v4, v2
                                        ; implicit-def: $vgpr2_vgpr3
                                        ; implicit-def: $vgpr4
	v_add_nc_u32_e32 v13, 14, v5
	s_delay_alu instid0(VALU_DEP_1)
	v_cmpx_ne_u32_e32 0, v13
	s_xor_b32 s10, exec_lo, s10
; %bb.13944:                            ;   in Loop: Header=BB6_12942 Depth=2
	s_delay_alu instid0(VALU_DEP_3) | instskip(SKIP_1) | instid1(VALU_DEP_1)
	v_cmp_lt_u64_e32 vcc_lo, 0xffffff, v[0:1]
	v_add_nc_u32_e32 v2, 15, v5
	v_cndmask_b32_e32 v4, v13, v2, vcc_lo
	v_cndmask_b32_e64 v2, 0, 1, vcc_lo
	s_delay_alu instid0(VALU_DEP_1)
	v_lshrrev_b64 v[2:3], v2, v[0:1]
; %bb.13945:                            ;   in Loop: Header=BB6_12942 Depth=2
	s_and_not1_saveexec_b32 s10, s10
; %bb.13946:                            ;   in Loop: Header=BB6_12942 Depth=2
	v_mov_b64_e32 v[2:3], v[0:1]
	v_bfe_u32 v4, v0, 23, 1
; %bb.13947:                            ;   in Loop: Header=BB6_12942 Depth=2
	s_or_b32 exec_lo, exec_lo, s10
	s_delay_alu instid0(VALU_DEP_2) | instskip(NEXT) | instid1(VALU_DEP_2)
	v_lshrrev_b64 v[2:3], 21, v[2:3]
	v_cmp_gt_i32_e32 vcc_lo, 32, v4
	v_min_i32_e32 v0, 31, v4
	v_cmp_eq_u32_e64 s10, 0, v4
	s_delay_alu instid0(VALU_DEP_2) | instskip(SKIP_1) | instid1(VALU_DEP_2)
	v_dual_cndmask_b32 v3, 0, v3 :: v_dual_lshlrev_b32 v0, 2, v0
	v_cndmask_b32_e32 v2, 3, v2, vcc_lo
	v_and_b32_e32 v0, 0xfc, v0
	s_delay_alu instid0(VALU_DEP_2) | instskip(NEXT) | instid1(VALU_DEP_2)
	v_cmp_eq_u64_e32 vcc_lo, 0, v[2:3]
	v_and_or_b32 v0, v2, 3, v0
	s_and_b32 s10, s10, vcc_lo
	s_delay_alu instid0(VALU_DEP_1) | instid1(SALU_CYCLE_1)
	v_cndmask_b32_e64 v0, v0, 0, s10
	s_delay_alu instid0(VALU_DEP_1)
	v_or_b32_e32 v2, v0, v12
.LBB6_13948:                            ;   in Loop: Header=BB6_12942 Depth=2
	s_or_b32 exec_lo, exec_lo, s41
                                        ; implicit-def: $vgpr12
.LBB6_13949:                            ;   in Loop: Header=BB6_12942 Depth=2
	s_and_not1_saveexec_b32 s10, s40
; %bb.13950:                            ;   in Loop: Header=BB6_12942 Depth=2
	v_or_b32_e32 v2, 0x7b, v12
; %bb.13951:                            ;   in Loop: Header=BB6_12942 Depth=2
	s_or_b32 exec_lo, exec_lo, s10
                                        ; implicit-def: $vgpr3
                                        ; implicit-def: $vgpr4
.LBB6_13952:                            ;   in Loop: Header=BB6_12942 Depth=2
	s_and_not1_saveexec_b32 s10, s29
	s_cbranch_execz .LBB6_12941
; %bb.13953:                            ;   in Loop: Header=BB6_12942 Depth=2
	s_mov_b32 s29, exec_lo
                                        ; implicit-def: $vgpr2
	v_cmpx_ne_u64_e32 0, v[0:1]
	s_xor_b32 s29, exec_lo, s29
; %bb.13954:                            ;   in Loop: Header=BB6_12942 Depth=2
	v_or_b32_e32 v2, 0x7f, v4
                                        ; implicit-def: $vgpr3
; %bb.13955:                            ;   in Loop: Header=BB6_12942 Depth=2
	s_and_not1_saveexec_b32 s29, s29
	s_cbranch_execz .LBB6_12940
; %bb.13956:                            ;   in Loop: Header=BB6_12942 Depth=2
	v_cmp_lt_i32_e32 vcc_lo, -1, v3
	v_mov_b32_e32 v0, 0x7c
	s_delay_alu instid0(VALU_DEP_1)
	v_cndmask_b32_e32 v2, 0xfc, v0, vcc_lo
	s_branch .LBB6_12940
.LBB6_13957:                            ;   in Loop: Header=BB6_12942 Depth=2
	s_mov_b32 s29, -1
	s_mov_b32 s40, exec_lo
	v_cmpx_eq_u16_e32 0x80, v4
; %bb.13958:                            ;   in Loop: Header=BB6_12942 Depth=2
	s_xor_b32 s29, exec_lo, -1
; %bb.13959:                            ;   in Loop: Header=BB6_12942 Depth=2
	s_or_b32 exec_lo, exec_lo, s40
	s_delay_alu instid0(SALU_CYCLE_1)
	s_and_b32 s29, s29, exec_lo
                                        ; implicit-def: $vgpr4
	s_or_saveexec_b32 s10, s10
	v_bfrev_b32_e32 v3, 1
	s_xor_b32 exec_lo, exec_lo, s10
	s_cbranch_execz .LBB6_13442
.LBB6_13960:                            ;   in Loop: Header=BB6_12942 Depth=2
	v_cmp_ne_u16_e32 vcc_lo, 0, v4
	v_mov_b32_e32 v3, 0
	s_and_not1_b32 s29, s29, exec_lo
	s_and_b32 s40, vcc_lo, exec_lo
	s_delay_alu instid0(SALU_CYCLE_1)
	s_or_b32 s29, s29, s40
	s_or_b32 exec_lo, exec_lo, s10
	s_and_saveexec_b32 s10, s29
	s_cbranch_execnz .LBB6_13443
	s_branch .LBB6_13444
.LBB6_13961:                            ;   in Loop: Header=BB6_12942 Depth=2
	s_mov_b32 s29, -1
	s_mov_b32 s40, exec_lo
	v_cmpx_eq_u16_e32 0x80, v2
; %bb.13962:                            ;   in Loop: Header=BB6_12942 Depth=2
	s_xor_b32 s29, exec_lo, -1
; %bb.13963:                            ;   in Loop: Header=BB6_12942 Depth=2
	s_or_b32 exec_lo, exec_lo, s40
	s_delay_alu instid0(SALU_CYCLE_1)
	s_and_b32 s29, s29, exec_lo
	s_or_saveexec_b32 s10, s10
	v_bfrev_b32_e32 v3, 1
	s_xor_b32 exec_lo, exec_lo, s10
	s_cbranch_execz .LBB6_13476
.LBB6_13964:                            ;   in Loop: Header=BB6_12942 Depth=2
	v_cmp_ne_u16_e32 vcc_lo, 0, v2
	v_mov_b32_e32 v3, 0
	s_and_not1_b32 s29, s29, exec_lo
	s_and_b32 s40, vcc_lo, exec_lo
	s_delay_alu instid0(SALU_CYCLE_1)
	s_or_b32 s29, s29, s40
	s_or_b32 exec_lo, exec_lo, s10
	s_and_saveexec_b32 s10, s29
	s_cbranch_execnz .LBB6_13477
	s_branch .LBB6_13478
.LBB6_13965:                            ;   in Loop: Header=BB6_12942 Depth=2
	s_mov_b32 s29, -1
	s_mov_b32 s40, exec_lo
	v_cmpx_eq_u16_e32 0x80, v5
; %bb.13966:                            ;   in Loop: Header=BB6_12942 Depth=2
	s_xor_b32 s29, exec_lo, -1
; %bb.13967:                            ;   in Loop: Header=BB6_12942 Depth=2
	s_or_b32 exec_lo, exec_lo, s40
	s_delay_alu instid0(SALU_CYCLE_1)
	s_and_b32 s29, s29, exec_lo
                                        ; implicit-def: $vgpr5
	s_or_saveexec_b32 s10, s10
	v_bfrev_b32_e32 v4, 1
	s_xor_b32 exec_lo, exec_lo, s10
	s_cbranch_execz .LBB6_13510
.LBB6_13968:                            ;   in Loop: Header=BB6_12942 Depth=2
	v_cmp_ne_u16_e32 vcc_lo, 0, v5
	v_mov_b32_e32 v4, 0
	s_and_not1_b32 s29, s29, exec_lo
	s_and_b32 s40, vcc_lo, exec_lo
	s_delay_alu instid0(SALU_CYCLE_1)
	s_or_b32 s29, s29, s40
	s_or_b32 exec_lo, exec_lo, s10
	s_and_saveexec_b32 s10, s29
	s_cbranch_execnz .LBB6_13511
	s_branch .LBB6_13512
.LBB6_13969:                            ;   in Loop: Header=BB6_12942 Depth=2
	s_mov_b32 s29, -1
	s_mov_b32 s40, exec_lo
	v_cmpx_eq_u16_e32 0x80, v3
; %bb.13970:                            ;   in Loop: Header=BB6_12942 Depth=2
	s_xor_b32 s29, exec_lo, -1
; %bb.13971:                            ;   in Loop: Header=BB6_12942 Depth=2
	s_or_b32 exec_lo, exec_lo, s40
	s_delay_alu instid0(SALU_CYCLE_1)
	s_and_b32 s29, s29, exec_lo
                                        ; implicit-def: $vgpr3
	s_or_saveexec_b32 s10, s10
	v_bfrev_b32_e32 v5, 1
	s_xor_b32 exec_lo, exec_lo, s10
	s_cbranch_execz .LBB6_13574
.LBB6_13972:                            ;   in Loop: Header=BB6_12942 Depth=2
	v_cmp_ne_u16_e32 vcc_lo, 0, v3
	v_mov_b32_e32 v5, 0
	s_and_not1_b32 s29, s29, exec_lo
	s_and_b32 s40, vcc_lo, exec_lo
	s_delay_alu instid0(SALU_CYCLE_1)
	s_or_b32 s29, s29, s40
	s_or_b32 exec_lo, exec_lo, s10
	v_mov_b32_e32 v3, v1
	s_and_saveexec_b32 s10, s29
	s_cbranch_execnz .LBB6_13575
	s_branch .LBB6_13576
.LBB6_13973:                            ;   in Loop: Header=BB6_12942 Depth=2
	s_mov_b32 s29, -1
	s_mov_b32 s40, exec_lo
	v_cmpx_eq_u16_e32 0x80, v4
; %bb.13974:                            ;   in Loop: Header=BB6_12942 Depth=2
	s_xor_b32 s29, exec_lo, -1
; %bb.13975:                            ;   in Loop: Header=BB6_12942 Depth=2
	s_or_b32 exec_lo, exec_lo, s40
	s_delay_alu instid0(SALU_CYCLE_1)
	s_and_b32 s29, s29, exec_lo
	s_or_saveexec_b32 s10, s10
	v_bfrev_b32_e32 v5, 1
	s_xor_b32 exec_lo, exec_lo, s10
	s_cbranch_execz .LBB6_13608
.LBB6_13976:                            ;   in Loop: Header=BB6_12942 Depth=2
	v_cmp_ne_u16_e32 vcc_lo, 0, v4
	v_mov_b32_e32 v5, 0
	s_and_not1_b32 s29, s29, exec_lo
	s_and_b32 s40, vcc_lo, exec_lo
	s_delay_alu instid0(SALU_CYCLE_1)
	s_or_b32 s29, s29, s40
	s_or_b32 exec_lo, exec_lo, s10
	s_and_saveexec_b32 s10, s29
	s_cbranch_execnz .LBB6_13609
	s_branch .LBB6_13610
.LBB6_13977:                            ;   in Loop: Header=BB6_12942 Depth=2
	s_mov_b32 s29, -1
	s_mov_b32 s40, exec_lo
	v_cmpx_eq_u16_e32 0x80, v5
; %bb.13978:                            ;   in Loop: Header=BB6_12942 Depth=2
	s_xor_b32 s29, exec_lo, -1
; %bb.13979:                            ;   in Loop: Header=BB6_12942 Depth=2
	s_or_b32 exec_lo, exec_lo, s40
	s_delay_alu instid0(SALU_CYCLE_1)
	s_and_b32 s29, s29, exec_lo
                                        ; implicit-def: $vgpr5
	s_or_saveexec_b32 s10, s10
	v_bfrev_b32_e32 v4, 1
	s_xor_b32 exec_lo, exec_lo, s10
	s_cbranch_execz .LBB6_13642
.LBB6_13980:                            ;   in Loop: Header=BB6_12942 Depth=2
	v_cmp_ne_u16_e32 vcc_lo, 0, v5
	v_mov_b32_e32 v4, 0
	s_and_not1_b32 s29, s29, exec_lo
	s_and_b32 s40, vcc_lo, exec_lo
	s_delay_alu instid0(SALU_CYCLE_1)
	s_or_b32 s29, s29, s40
	s_or_b32 exec_lo, exec_lo, s10
	s_and_saveexec_b32 s10, s29
	s_cbranch_execnz .LBB6_13643
	s_branch .LBB6_13644
.LBB6_13981:                            ;   in Loop: Header=BB6_12942 Depth=2
	s_mov_b32 s29, -1
	s_mov_b32 s40, exec_lo
	v_cmpx_eq_u16_e32 0x80, v4
; %bb.13982:                            ;   in Loop: Header=BB6_12942 Depth=2
	s_xor_b32 s29, exec_lo, -1
; %bb.13983:                            ;   in Loop: Header=BB6_12942 Depth=2
	s_or_b32 exec_lo, exec_lo, s40
	s_delay_alu instid0(SALU_CYCLE_1)
	s_and_b32 s29, s29, exec_lo
                                        ; implicit-def: $vgpr4
	s_or_saveexec_b32 s10, s10
	v_bfrev_b32_e32 v3, 1
	s_xor_b32 exec_lo, exec_lo, s10
	s_cbranch_execz .LBB6_13706
.LBB6_13984:                            ;   in Loop: Header=BB6_12942 Depth=2
	v_cmp_ne_u16_e32 vcc_lo, 0, v4
	v_mov_b32_e32 v3, 0
	s_and_not1_b32 s29, s29, exec_lo
	s_and_b32 s40, vcc_lo, exec_lo
	s_delay_alu instid0(SALU_CYCLE_1)
	s_or_b32 s29, s29, s40
	s_or_b32 exec_lo, exec_lo, s10
	s_and_saveexec_b32 s10, s29
	s_cbranch_execnz .LBB6_13707
	s_branch .LBB6_13708
.LBB6_13985:                            ;   in Loop: Header=BB6_12942 Depth=2
	s_mov_b32 s29, -1
	s_mov_b32 s40, exec_lo
	v_cmpx_eq_u16_e32 0x80, v2
; %bb.13986:                            ;   in Loop: Header=BB6_12942 Depth=2
	s_xor_b32 s29, exec_lo, -1
; %bb.13987:                            ;   in Loop: Header=BB6_12942 Depth=2
	s_or_b32 exec_lo, exec_lo, s40
	s_delay_alu instid0(SALU_CYCLE_1)
	s_and_b32 s29, s29, exec_lo
	s_or_saveexec_b32 s10, s10
	v_bfrev_b32_e32 v3, 1
	s_xor_b32 exec_lo, exec_lo, s10
	s_cbranch_execz .LBB6_13740
.LBB6_13988:                            ;   in Loop: Header=BB6_12942 Depth=2
	v_cmp_ne_u16_e32 vcc_lo, 0, v2
	v_mov_b32_e32 v3, 0
	s_and_not1_b32 s29, s29, exec_lo
	s_and_b32 s40, vcc_lo, exec_lo
	s_delay_alu instid0(SALU_CYCLE_1)
	s_or_b32 s29, s29, s40
	s_or_b32 exec_lo, exec_lo, s10
	s_and_saveexec_b32 s10, s29
	s_cbranch_execnz .LBB6_13741
	s_branch .LBB6_13742
.LBB6_13989:                            ;   in Loop: Header=BB6_12942 Depth=2
	s_mov_b32 s29, -1
	s_mov_b32 s40, exec_lo
	v_cmpx_eq_u16_e32 0x80, v5
; %bb.13990:                            ;   in Loop: Header=BB6_12942 Depth=2
	s_xor_b32 s29, exec_lo, -1
; %bb.13991:                            ;   in Loop: Header=BB6_12942 Depth=2
	s_or_b32 exec_lo, exec_lo, s40
	s_delay_alu instid0(SALU_CYCLE_1)
	s_and_b32 s29, s29, exec_lo
                                        ; implicit-def: $vgpr5
	s_or_saveexec_b32 s10, s10
	v_bfrev_b32_e32 v4, 1
	s_xor_b32 exec_lo, exec_lo, s10
	s_cbranch_execz .LBB6_13774
.LBB6_13992:                            ;   in Loop: Header=BB6_12942 Depth=2
	v_cmp_ne_u16_e32 vcc_lo, 0, v5
	v_mov_b32_e32 v4, 0
	s_and_not1_b32 s29, s29, exec_lo
	s_and_b32 s40, vcc_lo, exec_lo
	s_delay_alu instid0(SALU_CYCLE_1)
	s_or_b32 s29, s29, s40
	s_or_b32 exec_lo, exec_lo, s10
	s_and_saveexec_b32 s10, s29
	s_cbranch_execnz .LBB6_13775
	s_branch .LBB6_13776
.LBB6_13993:                            ;   in Loop: Header=BB6_12942 Depth=2
	s_mov_b32 s29, -1
	s_mov_b32 s40, exec_lo
	v_cmpx_eq_u16_e32 0x80, v3
; %bb.13994:                            ;   in Loop: Header=BB6_12942 Depth=2
	s_xor_b32 s29, exec_lo, -1
; %bb.13995:                            ;   in Loop: Header=BB6_12942 Depth=2
	s_or_b32 exec_lo, exec_lo, s40
	s_delay_alu instid0(SALU_CYCLE_1)
	s_and_b32 s29, s29, exec_lo
                                        ; implicit-def: $vgpr3
	s_or_saveexec_b32 s10, s10
	v_bfrev_b32_e32 v5, 1
	s_xor_b32 exec_lo, exec_lo, s10
	s_cbranch_execz .LBB6_13838
.LBB6_13996:                            ;   in Loop: Header=BB6_12942 Depth=2
	v_cmp_ne_u16_e32 vcc_lo, 0, v3
	v_mov_b32_e32 v5, 0
	s_and_not1_b32 s29, s29, exec_lo
	s_and_b32 s40, vcc_lo, exec_lo
	s_delay_alu instid0(SALU_CYCLE_1)
	s_or_b32 s29, s29, s40
	s_or_b32 exec_lo, exec_lo, s10
	v_mov_b32_e32 v3, v1
	s_and_saveexec_b32 s10, s29
	s_cbranch_execnz .LBB6_13839
	s_branch .LBB6_13840
.LBB6_13997:                            ;   in Loop: Header=BB6_12942 Depth=2
	s_mov_b32 s29, -1
	s_mov_b32 s40, exec_lo
	v_cmpx_eq_u16_e32 0x80, v4
; %bb.13998:                            ;   in Loop: Header=BB6_12942 Depth=2
	s_xor_b32 s29, exec_lo, -1
; %bb.13999:                            ;   in Loop: Header=BB6_12942 Depth=2
	s_or_b32 exec_lo, exec_lo, s40
	s_delay_alu instid0(SALU_CYCLE_1)
	s_and_b32 s29, s29, exec_lo
	s_or_saveexec_b32 s10, s10
	v_bfrev_b32_e32 v5, 1
	s_xor_b32 exec_lo, exec_lo, s10
	s_cbranch_execz .LBB6_13872
.LBB6_14000:                            ;   in Loop: Header=BB6_12942 Depth=2
	v_cmp_ne_u16_e32 vcc_lo, 0, v4
	v_mov_b32_e32 v5, 0
	s_and_not1_b32 s29, s29, exec_lo
	s_and_b32 s40, vcc_lo, exec_lo
	s_delay_alu instid0(SALU_CYCLE_1)
	s_or_b32 s29, s29, s40
	s_or_b32 exec_lo, exec_lo, s10
	s_and_saveexec_b32 s10, s29
	s_cbranch_execnz .LBB6_13873
	s_branch .LBB6_13874
.LBB6_14001:                            ;   in Loop: Header=BB6_12942 Depth=2
	s_mov_b32 s29, -1
	s_mov_b32 s40, exec_lo
	v_cmpx_eq_u16_e32 0x80, v5
; %bb.14002:                            ;   in Loop: Header=BB6_12942 Depth=2
	s_xor_b32 s29, exec_lo, -1
; %bb.14003:                            ;   in Loop: Header=BB6_12942 Depth=2
	s_or_b32 exec_lo, exec_lo, s40
	s_delay_alu instid0(SALU_CYCLE_1)
	s_and_b32 s29, s29, exec_lo
                                        ; implicit-def: $vgpr5
	s_or_saveexec_b32 s10, s10
	v_bfrev_b32_e32 v4, 1
	s_xor_b32 exec_lo, exec_lo, s10
	s_cbranch_execz .LBB6_13906
.LBB6_14004:                            ;   in Loop: Header=BB6_12942 Depth=2
	v_cmp_ne_u16_e32 vcc_lo, 0, v5
	v_mov_b32_e32 v4, 0
	s_and_not1_b32 s29, s29, exec_lo
	s_and_b32 s40, vcc_lo, exec_lo
	s_delay_alu instid0(SALU_CYCLE_1)
	s_or_b32 s29, s29, s40
	s_or_b32 exec_lo, exec_lo, s10
	s_and_saveexec_b32 s10, s29
	s_cbranch_execnz .LBB6_13907
	s_branch .LBB6_13908
.LBB6_14005:                            ;   in Loop: Header=BB6_8372 Depth=1
	s_or_b32 exec_lo, exec_lo, s26
.LBB6_14006:                            ;   in Loop: Header=BB6_8372 Depth=1
	s_delay_alu instid0(SALU_CYCLE_1)
	s_or_b32 exec_lo, exec_lo, s25
	scratch_load_b64 v[4:5], off, s33 offset:276 ; 8-byte Folded Reload
	v_cmp_lt_i32_e32 vcc_lo, 0, v20
	v_and_b32_e32 v0, 15, v103
	v_and_b32_e32 v2, 0x1f0, v103
	s_wait_loadcnt 0x0
	v_cndmask_b32_e32 v3, 0, v4, vcc_lo
	s_delay_alu instid0(VALU_DEP_2) | instskip(NEXT) | instid1(VALU_DEP_2)
	v_dual_cndmask_b32 v4, v9, v0, s7 :: v_dual_cndmask_b32 v0, 0, v2, s7
	v_sub_nc_u32_e32 v2, v3, v20
	s_delay_alu instid0(VALU_DEP_2) | instskip(NEXT) | instid1(VALU_DEP_3)
	v_cmp_ne_u32_e32 vcc_lo, 0, v4
	v_and_or_b32 v10, 0x3ffffe00, v103, v0
	s_delay_alu instid0(VALU_DEP_3)
	v_lshl_add_u32 v5, v2, 5, v8
	s_and_b32 s7, vcc_lo, exec_lo
.LBB6_14007:                            ;   in Loop: Header=BB6_8372 Depth=1
	s_wait_xcnt 0x0
	s_or_b32 exec_lo, exec_lo, s11
	s_and_saveexec_b32 s25, s7
	s_cbranch_execz .LBB6_16606
.LBB6_14008:                            ;   in Loop: Header=BB6_8372 Depth=1
	s_wait_loadcnt 0x0
	v_dual_ashrrev_i32 v0, 31, v5 :: v_dual_lshrrev_b32 v2, 10, v4
	s_mov_b32 s26, exec_lo
	s_delay_alu instid0(VALU_DEP_1) | instskip(NEXT) | instid1(VALU_DEP_1)
	v_lshrrev_b32_e32 v0, 27, v0
	v_add_nc_u32_e32 v0, v5, v0
	s_delay_alu instid0(VALU_DEP_1) | instskip(NEXT) | instid1(VALU_DEP_1)
	v_ashrrev_i32_e32 v6, 5, v0
	v_sub_nc_u32_e32 v126, v2, v6
	s_delay_alu instid0(VALU_DEP_1)
	v_cmpx_lt_i32_e32 0, v126
	s_cbranch_execz .LBB6_16516
; %bb.14009:                            ;   in Loop: Header=BB6_8372 Depth=1
	v_and_b32_e32 v0, 0xffffffe0, v0
	scratch_store_b32 off, v4, s33 offset:344 ; 4-byte Folded Spill
	s_trap 2
	s_wait_xcnt 0x0
	v_lshlrev_b32_e32 v4, 10, v6
	s_clause 0x2
	scratch_store_b32 off, v6, s33 offset:352
	scratch_store_b32 off, v5, s33 offset:348
	;; [unrolled: 1-line block ×3, first 2 shown]
	ds_load_b64 v[2:3], v0
	v_sub_nc_u32_e32 v0, v5, v0
	s_wait_xcnt 0x2
	v_add_nc_u64_e32 v[6:7], 0x3e0, v[96:97]
	s_mov_b32 s27, 0
	s_delay_alu instid0(VALU_DEP_2) | instskip(SKIP_1) | instid1(VALU_DEP_1)
	v_add3_u32 v4, v10, v0, v4
	s_wait_xcnt 0x1
	v_ashrrev_i32_e32 v5, 31, v4
	s_wait_xcnt 0x0
	s_delay_alu instid0(VALU_DEP_1)
	v_add_nc_u64_e32 v[10:11], v[4:5], v[86:87]
	v_add_nc_u64_e32 v[14:15], v[6:7], v[4:5]
	s_wait_dscnt 0x0
	v_add_nc_u64_e32 v[12:13], v[2:3], v[4:5]
	s_branch .LBB6_14012
.LBB6_14010:                            ;   in Loop: Header=BB6_14012 Depth=2
	s_or_b32 exec_lo, exec_lo, s10
.LBB6_14011:                            ;   in Loop: Header=BB6_14012 Depth=2
	s_delay_alu instid0(SALU_CYCLE_1)
	s_or_b32 exec_lo, exec_lo, s7
	s_clause 0x17
	flat_store_b8 v[14:15], v53 offset:-992 th:TH_STORE_NT
	flat_store_b8 v[14:15], v30 offset:-960 th:TH_STORE_NT
	;; [unrolled: 1-line block ×24, first 2 shown]
	scratch_load_b64 v[4:5], off, s33 offset:276 ; 8-byte Folded Reload
	s_clause 0x7
	flat_store_b8 v[14:15], v34 offset:-224 th:TH_STORE_NT
	flat_store_b8 v[14:15], v35 offset:-192 th:TH_STORE_NT
	;; [unrolled: 1-line block ×7, first 2 shown]
	flat_store_b8 v[14:15], v3 th:TH_STORE_NT
	scratch_load_b64 v[2:3], off, s33 offset:284 ; 8-byte Folded Reload
	s_wait_loadcnt 0x1
	v_sub_nc_u32_e32 v126, v126, v4
	s_wait_loadcnt 0x0
	v_add_nc_u64_e32 v[10:11], v[10:11], v[2:3]
	v_add_nc_u64_e32 v[12:13], v[12:13], v[2:3]
	;; [unrolled: 1-line block ×3, first 2 shown]
	v_cmp_gt_i32_e32 vcc_lo, 1, v126
	s_or_b32 s27, vcc_lo, s27
	s_wait_xcnt 0x0
	s_and_not1_b32 exec_lo, exec_lo, s27
	s_cbranch_execz .LBB6_16515
.LBB6_14012:                            ;   Parent Loop BB6_8372 Depth=1
                                        ; =>  This Inner Loop Header: Depth=2
	s_trap 2
	ds_load_b64 v[2:3], v0
	s_mov_b32 s28, 0
	s_wait_dscnt 0x0
	v_and_b32_e32 v0, 0xff, v2
	v_readfirstlane_b32 s10, v2
	v_readfirstlane_b32 s11, v3
	s_delay_alu instid0(VALU_DEP_3)
	v_cmp_eq_u32_e32 vcc_lo, 0, v0
	s_cbranch_vccnz .LBB6_14020
; %bb.14013:                            ;   in Loop: Header=BB6_14012 Depth=2
	s_bfe_i32 s29, s10, 0x80000
	s_brev_b32 s28, 1
	s_and_b32 s7, 0xffff, s29
	s_delay_alu instid0(SALU_CYCLE_1)
	s_cmp_eq_u32 s7, 0xff80
	s_cbranch_scc1 .LBB6_14020
; %bb.14014:                            ;   in Loop: Header=BB6_14012 Depth=2
	s_and_b32 s28, s10, 0x7c
	s_and_b32 s7, s10, 3
	s_mov_b32 s40, -1
	s_cmp_lg_u32 s28, 0x7c
	s_sext_i32_i16 s29, s29
                                        ; implicit-def: $sgpr28
	s_cbranch_scc0 .LBB6_14018
; %bb.14015:                            ;   in Loop: Header=BB6_14012 Depth=2
	s_bfe_u32 s28, s10, 0x50002
	s_mov_b32 s40, s7
	s_cmp_lg_u32 s28, 0
	s_cbranch_scc1 .LBB6_14017
; %bb.14016:                            ;   in Loop: Header=BB6_14012 Depth=2
	s_clz_i32_u32 s28, s7
	s_delay_alu instid0(SALU_CYCLE_1) | instskip(NEXT) | instid1(SALU_CYCLE_1)
	s_min_u32 s28, s28, 32
	s_sub_co_i32 s40, s28, 29
	s_sub_co_i32 s28, 30, s28
	s_lshl_b64 s[10:11], s[10:11], s40
	s_delay_alu instid0(SALU_CYCLE_1)
	s_and_b32 s40, s10, 3
.LBB6_14017:                            ;   in Loop: Header=BB6_14012 Depth=2
	s_and_b32 s10, s29, 0x80000000
	s_lshl_b32 s11, s28, 23
	s_lshl_b32 s28, s40, 21
	s_add_co_i32 s11, s11, s10
	s_mov_b32 s40, 0
	s_or_b32 s10, s11, s28
	s_delay_alu instid0(SALU_CYCLE_1)
	s_add_co_i32 s28, s10, 0x38000000
.LBB6_14018:                            ;   in Loop: Header=BB6_14012 Depth=2
	s_and_b32 vcc_lo, exec_lo, s40
	s_cbranch_vccz .LBB6_14020
; %bb.14019:                            ;   in Loop: Header=BB6_14012 Depth=2
	s_cmp_gt_i32 s29, -1
	s_cselect_b32 s10, s22, 0xff800000
	s_cmp_eq_u32 s7, 0
	s_cselect_b32 s28, s10, 0x7f800001
.LBB6_14020:                            ;   in Loop: Header=BB6_14012 Depth=2
	flat_load_i8 v2, v[10:11] th:TH_LOAD_NT
	v_mov_b32_e32 v3, 0
	s_mov_b32 s7, exec_lo
	s_wait_loadcnt_dscnt 0x0
	s_wait_xcnt 0x0
	v_cmpx_ne_u16_e32 0, v2
	s_cbranch_execz .LBB6_14030
; %bb.14021:                            ;   in Loop: Header=BB6_14012 Depth=2
	v_bfrev_b32_e32 v3, 1
	s_mov_b32 s10, exec_lo
	v_cmpx_ne_u16_e32 0xff80, v2
	s_cbranch_execz .LBB6_14029
; %bb.14022:                            ;   in Loop: Header=BB6_14012 Depth=2
	v_and_b32_e32 v3, 0x7c, v2
	v_and_b32_e32 v0, 3, v2
	s_delay_alu instid0(VALU_DEP_2) | instskip(SKIP_1) | instid1(SALU_CYCLE_1)
	v_cmp_ne_u32_e32 vcc_lo, 0x7c, v3
                                        ; implicit-def: $vgpr3
	s_and_saveexec_b32 s11, vcc_lo
	s_xor_b32 s11, exec_lo, s11
	s_cbranch_execz .LBB6_14026
; %bb.14023:                            ;   in Loop: Header=BB6_14012 Depth=2
	v_and_b32_e32 v3, 0xff, v2
	s_mov_b32 s29, exec_lo
	s_delay_alu instid0(VALU_DEP_1) | instskip(NEXT) | instid1(VALU_DEP_1)
	v_bfe_u32 v3, v3, 2, 5
	v_cmpx_eq_u32_e32 0, v3
	s_cbranch_execz .LBB6_14025
; %bb.14024:                            ;   in Loop: Header=BB6_14012 Depth=2
	v_clz_i32_u32_e32 v0, v0
	v_mov_b32_e32 v3, v1
	s_delay_alu instid0(VALU_DEP_2) | instskip(NEXT) | instid1(VALU_DEP_1)
	v_min_u32_e32 v0, 32, v0
	v_subrev_nc_u32_e32 v4, 29, v0
	s_delay_alu instid0(VALU_DEP_1) | instskip(SKIP_1) | instid1(VALU_DEP_2)
	v_lshlrev_b64_e32 v[4:5], v4, v[2:3]
	v_sub_nc_u32_e32 v3, 30, v0
	v_and_b32_e32 v0, 3, v4
.LBB6_14025:                            ;   in Loop: Header=BB6_14012 Depth=2
	s_or_b32 exec_lo, exec_lo, s29
	v_bfe_i32 v2, v2, 0, 16
	s_delay_alu instid0(VALU_DEP_1) | instskip(NEXT) | instid1(VALU_DEP_1)
	v_and_b32_e32 v2, 0x80000000, v2
	v_lshl_add_u32 v2, v3, 23, v2
	s_delay_alu instid0(VALU_DEP_1) | instskip(NEXT) | instid1(VALU_DEP_1)
	v_lshl_or_b32 v0, v0, 21, v2
                                        ; implicit-def: $vgpr2
	v_add_nc_u32_e32 v3, 0x38000000, v0
                                        ; implicit-def: $vgpr0
.LBB6_14026:                            ;   in Loop: Header=BB6_14012 Depth=2
	s_and_not1_saveexec_b32 s11, s11
; %bb.14027:                            ;   in Loop: Header=BB6_14012 Depth=2
	v_cmp_lt_i16_e32 vcc_lo, -1, v2
	v_mov_b32_e32 v2, 0x7f800000
	s_delay_alu instid0(VALU_DEP_1) | instskip(SKIP_1) | instid1(VALU_DEP_2)
	v_cndmask_b32_e32 v2, 0xff800000, v2, vcc_lo
	v_cmp_eq_u32_e32 vcc_lo, 0, v0
	v_cndmask_b32_e32 v3, 0x7f800001, v2, vcc_lo
; %bb.14028:                            ;   in Loop: Header=BB6_14012 Depth=2
	s_or_b32 exec_lo, exec_lo, s11
.LBB6_14029:                            ;   in Loop: Header=BB6_14012 Depth=2
	s_delay_alu instid0(SALU_CYCLE_1)
	s_or_b32 exec_lo, exec_lo, s10
.LBB6_14030:                            ;   in Loop: Header=BB6_14012 Depth=2
	s_delay_alu instid0(SALU_CYCLE_1) | instskip(NEXT) | instid1(VALU_DEP_1)
	s_or_b32 exec_lo, exec_lo, s7
	v_dual_mul_f32 v2, s28, v3 :: v_dual_mov_b32 v5, v1
                                        ; implicit-def: $vgpr122
	s_mov_b32 s7, exec_lo
	s_delay_alu instid0(VALU_DEP_1) | instskip(SKIP_1) | instid1(VALU_DEP_2)
	v_and_b32_e32 v4, 0x7f800000, v2
	v_and_b32_e32 v0, 0x7fffff, v2
	v_cmpx_ne_u64_e32 0x7f800000, v[4:5]
	s_xor_b32 s10, exec_lo, s7
	s_cbranch_execz .LBB6_14048
; %bb.14031:                            ;   in Loop: Header=BB6_14012 Depth=2
	v_dual_mov_b32 v5, v1 :: v_dual_lshrrev_b32 v3, 24, v2
	v_and_b32_e32 v4, 0x7fffffff, v2
                                        ; implicit-def: $vgpr122
	s_mov_b32 s7, exec_lo
	s_delay_alu instid0(VALU_DEP_2) | instskip(NEXT) | instid1(VALU_DEP_2)
	v_and_b32_e32 v6, 0x80, v3
	v_cmpx_gt_u64_e32 0x47600001, v[4:5]
	s_xor_b32 s11, exec_lo, s7
	s_cbranch_execz .LBB6_14045
; %bb.14032:                            ;   in Loop: Header=BB6_14012 Depth=2
	v_mov_b32_e32 v122, 0
	s_mov_b32 s29, exec_lo
	v_cmpx_ne_u32_e32 0, v2
	s_cbranch_execz .LBB6_14044
; %bb.14033:                            ;   in Loop: Header=BB6_14012 Depth=2
	v_bfe_u32 v7, v2, 23, 8
	v_or_b32_e32 v4, 0x800000, v0
	s_mov_b32 s40, exec_lo
	s_delay_alu instid0(VALU_DEP_2) | instskip(SKIP_1) | instid1(VALU_DEP_2)
	v_dual_mov_b32 v5, v1 :: v_dual_sub_nc_u32 v2, 0x71, v7
	v_cmp_gt_u32_e32 vcc_lo, 0x72, v7
	v_cndmask_b32_e32 v2, 0, v2, vcc_lo
	v_cmp_eq_u32_e32 vcc_lo, 0, v7
	s_delay_alu instid0(VALU_DEP_2) | instskip(SKIP_1) | instid1(VALU_DEP_2)
	v_cndmask_b32_e64 v8, v2, 0x70, vcc_lo
	v_cndmask_b32_e32 v4, v4, v0, vcc_lo
	v_dual_add_nc_u32 v2, 21, v8 :: v_dual_add_nc_u32 v9, 20, v8
	s_delay_alu instid0(VALU_DEP_1) | instskip(NEXT) | instid1(VALU_DEP_2)
	v_lshlrev_b64_e64 v[2:3], v2, -1
	v_lshlrev_b64_e64 v[16:17], v9, 1
	s_delay_alu instid0(VALU_DEP_2) | instskip(NEXT) | instid1(VALU_DEP_3)
	v_bfi_b32 v19, v3, 0, 0
	v_bfi_b32 v18, v2, 0, v4
	v_lshrrev_b64 v[2:3], v8, v[4:5]
	s_delay_alu instid0(VALU_DEP_1) | instskip(NEXT) | instid1(VALU_DEP_3)
	v_mov_b64_e32 v[4:5], v[2:3]
	v_cmpx_eq_u64_e64 v[18:19], v[16:17]
; %bb.14034:                            ;   in Loop: Header=BB6_14012 Depth=2
	v_bfe_u32 v4, v2, 21, 1
	v_mov_b32_e32 v5, v1
	s_delay_alu instid0(VALU_DEP_1) | instskip(NEXT) | instid1(VALU_DEP_1)
	v_add_nc_u64_e32 v[4:5], v[2:3], v[4:5]
	v_add_nc_u64_e32 v[4:5], -1, v[4:5]
; %bb.14035:                            ;   in Loop: Header=BB6_14012 Depth=2
	s_or_b32 exec_lo, exec_lo, s40
	v_add_nc_u32_e32 v0, 0xffffff81, v7
	s_delay_alu instid0(VALU_DEP_2) | instskip(SKIP_2) | instid1(VALU_DEP_3)
	v_and_b32_e32 v4, 0x1fffff, v4
	v_lshrrev_b32_e32 v3, 23, v2
	s_mov_b32 s7, exec_lo
	v_cndmask_b32_e64 v0, v0, 0xffffff82, vcc_lo
	s_delay_alu instid0(VALU_DEP_1) | instskip(SKIP_1) | instid1(VALU_DEP_2)
	v_add3_u32 v5, v8, v0, v3
	v_add_nc_u32_e32 v0, v4, v2
                                        ; implicit-def: $vgpr2_vgpr3
                                        ; implicit-def: $vgpr4
	v_add_nc_u32_e32 v7, 14, v5
	s_delay_alu instid0(VALU_DEP_1)
	v_cmpx_ne_u32_e32 0, v7
	s_xor_b32 s7, exec_lo, s7
; %bb.14036:                            ;   in Loop: Header=BB6_14012 Depth=2
	s_delay_alu instid0(VALU_DEP_3) | instskip(SKIP_1) | instid1(VALU_DEP_1)
	v_cmp_lt_u64_e32 vcc_lo, 0xffffff, v[0:1]
	v_add_nc_u32_e32 v2, 15, v5
	v_cndmask_b32_e32 v4, v7, v2, vcc_lo
	v_cndmask_b32_e64 v2, 0, 1, vcc_lo
	s_delay_alu instid0(VALU_DEP_1)
	v_lshrrev_b64 v[2:3], v2, v[0:1]
; %bb.14037:                            ;   in Loop: Header=BB6_14012 Depth=2
	s_and_not1_saveexec_b32 s7, s7
; %bb.14038:                            ;   in Loop: Header=BB6_14012 Depth=2
	v_mov_b64_e32 v[2:3], v[0:1]
	v_bfe_u32 v4, v0, 23, 1
; %bb.14039:                            ;   in Loop: Header=BB6_14012 Depth=2
	s_or_b32 exec_lo, exec_lo, s7
	s_delay_alu instid0(VALU_DEP_2) | instskip(NEXT) | instid1(VALU_DEP_2)
	v_lshrrev_b64 v[2:3], 21, v[2:3]
	v_cmp_gt_i32_e32 vcc_lo, 32, v4
	v_cmp_ne_u32_e64 s7, 0, v4
                                        ; implicit-def: $vgpr122
	s_delay_alu instid0(VALU_DEP_3) | instskip(NEXT) | instid1(VALU_DEP_1)
	v_dual_cndmask_b32 v3, 0, v3 :: v_dual_cndmask_b32 v2, 3, v2
	v_cmp_ne_u64_e32 vcc_lo, 0, v[2:3]
	s_or_b32 s7, s7, vcc_lo
	s_delay_alu instid0(SALU_CYCLE_1) | instskip(NEXT) | instid1(SALU_CYCLE_1)
	s_and_saveexec_b32 s40, s7
	s_xor_b32 s7, exec_lo, s40
; %bb.14040:                            ;   in Loop: Header=BB6_14012 Depth=2
	v_min_i32_e32 v0, 31, v4
	s_delay_alu instid0(VALU_DEP_1) | instskip(NEXT) | instid1(VALU_DEP_1)
	v_lshl_or_b32 v0, v0, 2, v6
                                        ; implicit-def: $vgpr6
	v_and_or_b32 v122, v2, 3, v0
; %bb.14041:                            ;   in Loop: Header=BB6_14012 Depth=2
	s_and_not1_saveexec_b32 s7, s7
; %bb.14042:                            ;   in Loop: Header=BB6_14012 Depth=2
	v_mov_b32_e32 v122, v6
; %bb.14043:                            ;   in Loop: Header=BB6_14012 Depth=2
	s_or_b32 exec_lo, exec_lo, s7
.LBB6_14044:                            ;   in Loop: Header=BB6_14012 Depth=2
	s_delay_alu instid0(SALU_CYCLE_1)
	s_or_b32 exec_lo, exec_lo, s29
                                        ; implicit-def: $vgpr6
.LBB6_14045:                            ;   in Loop: Header=BB6_14012 Depth=2
	s_and_not1_saveexec_b32 s7, s11
; %bb.14046:                            ;   in Loop: Header=BB6_14012 Depth=2
	v_or_b32_e32 v122, 0x7b, v6
; %bb.14047:                            ;   in Loop: Header=BB6_14012 Depth=2
	s_or_b32 exec_lo, exec_lo, s7
                                        ; implicit-def: $vgpr2
.LBB6_14048:                            ;   in Loop: Header=BB6_14012 Depth=2
	s_and_not1_saveexec_b32 s7, s10
	s_cbranch_execz .LBB6_14054
; %bb.14049:                            ;   in Loop: Header=BB6_14012 Depth=2
	s_mov_b32 s10, exec_lo
                                        ; implicit-def: $vgpr122
	v_cmpx_ne_u64_e32 0, v[0:1]
	s_xor_b32 s10, exec_lo, s10
; %bb.14050:                            ;   in Loop: Header=BB6_14012 Depth=2
	v_lshrrev_b32_e32 v0, 24, v2
                                        ; implicit-def: $vgpr2
	s_delay_alu instid0(VALU_DEP_1)
	v_or_b32_e32 v122, 0x7f, v0
; %bb.14051:                            ;   in Loop: Header=BB6_14012 Depth=2
	s_and_not1_saveexec_b32 s10, s10
; %bb.14052:                            ;   in Loop: Header=BB6_14012 Depth=2
	v_cmp_lt_i32_e32 vcc_lo, -1, v2
	v_cndmask_b32_e64 v122, -4, 0x7c, vcc_lo
; %bb.14053:                            ;   in Loop: Header=BB6_14012 Depth=2
	s_or_b32 exec_lo, exec_lo, s10
.LBB6_14054:                            ;   in Loop: Header=BB6_14012 Depth=2
	s_delay_alu instid0(SALU_CYCLE_1)
	s_or_b32 exec_lo, exec_lo, s7
	flat_load_i8 v2, v[10:11] offset:32 th:TH_LOAD_NT
	v_mov_b32_e32 v3, 0
	s_mov_b32 s7, exec_lo
	s_wait_loadcnt_dscnt 0x0
	v_cmpx_ne_u16_e32 0, v2
	s_cbranch_execz .LBB6_14064
; %bb.14055:                            ;   in Loop: Header=BB6_14012 Depth=2
	v_bfrev_b32_e32 v3, 1
	s_mov_b32 s10, exec_lo
	v_cmpx_ne_u16_e32 0xff80, v2
	s_cbranch_execz .LBB6_14063
; %bb.14056:                            ;   in Loop: Header=BB6_14012 Depth=2
	v_and_b32_e32 v3, 0x7c, v2
	v_and_b32_e32 v0, 3, v2
	s_delay_alu instid0(VALU_DEP_2) | instskip(SKIP_1) | instid1(SALU_CYCLE_1)
	v_cmp_ne_u32_e32 vcc_lo, 0x7c, v3
                                        ; implicit-def: $vgpr3
	s_and_saveexec_b32 s11, vcc_lo
	s_xor_b32 s11, exec_lo, s11
	s_cbranch_execz .LBB6_14060
; %bb.14057:                            ;   in Loop: Header=BB6_14012 Depth=2
	v_and_b32_e32 v3, 0xff, v2
	s_mov_b32 s29, exec_lo
	s_delay_alu instid0(VALU_DEP_1) | instskip(NEXT) | instid1(VALU_DEP_1)
	v_bfe_u32 v3, v3, 2, 5
	v_cmpx_eq_u32_e32 0, v3
	s_cbranch_execz .LBB6_14059
; %bb.14058:                            ;   in Loop: Header=BB6_14012 Depth=2
	v_clz_i32_u32_e32 v0, v0
	v_mov_b32_e32 v3, v1
	s_delay_alu instid0(VALU_DEP_2) | instskip(NEXT) | instid1(VALU_DEP_1)
	v_min_u32_e32 v0, 32, v0
	v_subrev_nc_u32_e32 v4, 29, v0
	s_delay_alu instid0(VALU_DEP_1) | instskip(SKIP_1) | instid1(VALU_DEP_2)
	v_lshlrev_b64_e32 v[4:5], v4, v[2:3]
	v_sub_nc_u32_e32 v3, 30, v0
	v_and_b32_e32 v0, 3, v4
.LBB6_14059:                            ;   in Loop: Header=BB6_14012 Depth=2
	s_or_b32 exec_lo, exec_lo, s29
	v_bfe_i32 v2, v2, 0, 16
	s_delay_alu instid0(VALU_DEP_1) | instskip(NEXT) | instid1(VALU_DEP_1)
	v_and_b32_e32 v2, 0x80000000, v2
	v_lshl_add_u32 v2, v3, 23, v2
	s_delay_alu instid0(VALU_DEP_1) | instskip(NEXT) | instid1(VALU_DEP_1)
	v_lshl_or_b32 v0, v0, 21, v2
                                        ; implicit-def: $vgpr2
	v_add_nc_u32_e32 v3, 0x38000000, v0
                                        ; implicit-def: $vgpr0
.LBB6_14060:                            ;   in Loop: Header=BB6_14012 Depth=2
	s_and_not1_saveexec_b32 s11, s11
; %bb.14061:                            ;   in Loop: Header=BB6_14012 Depth=2
	v_cmp_lt_i16_e32 vcc_lo, -1, v2
	v_mov_b32_e32 v2, 0x7f800000
	s_delay_alu instid0(VALU_DEP_1) | instskip(SKIP_1) | instid1(VALU_DEP_2)
	v_cndmask_b32_e32 v2, 0xff800000, v2, vcc_lo
	v_cmp_eq_u32_e32 vcc_lo, 0, v0
	v_cndmask_b32_e32 v3, 0x7f800001, v2, vcc_lo
; %bb.14062:                            ;   in Loop: Header=BB6_14012 Depth=2
	s_or_b32 exec_lo, exec_lo, s11
.LBB6_14063:                            ;   in Loop: Header=BB6_14012 Depth=2
	s_delay_alu instid0(SALU_CYCLE_1)
	s_or_b32 exec_lo, exec_lo, s10
.LBB6_14064:                            ;   in Loop: Header=BB6_14012 Depth=2
	s_delay_alu instid0(SALU_CYCLE_1) | instskip(NEXT) | instid1(VALU_DEP_1)
	s_or_b32 exec_lo, exec_lo, s7
	v_dual_mul_f32 v2, s28, v3 :: v_dual_mov_b32 v5, v1
                                        ; implicit-def: $vgpr30
	s_mov_b32 s7, exec_lo
	s_delay_alu instid0(VALU_DEP_1) | instskip(SKIP_1) | instid1(VALU_DEP_2)
	v_and_b32_e32 v4, 0x7f800000, v2
	v_and_b32_e32 v0, 0x7fffff, v2
	v_cmpx_ne_u64_e32 0x7f800000, v[4:5]
	s_xor_b32 s10, exec_lo, s7
	s_cbranch_execz .LBB6_14082
; %bb.14065:                            ;   in Loop: Header=BB6_14012 Depth=2
	v_dual_mov_b32 v5, v1 :: v_dual_lshrrev_b32 v3, 24, v2
	v_and_b32_e32 v4, 0x7fffffff, v2
                                        ; implicit-def: $vgpr30
	s_mov_b32 s7, exec_lo
	s_delay_alu instid0(VALU_DEP_2) | instskip(NEXT) | instid1(VALU_DEP_2)
	v_and_b32_e32 v6, 0x80, v3
	v_cmpx_gt_u64_e32 0x47600001, v[4:5]
	s_xor_b32 s11, exec_lo, s7
	s_cbranch_execz .LBB6_14079
; %bb.14066:                            ;   in Loop: Header=BB6_14012 Depth=2
	v_mov_b32_e32 v30, 0
	s_mov_b32 s29, exec_lo
	v_cmpx_ne_u32_e32 0, v2
	s_cbranch_execz .LBB6_14078
; %bb.14067:                            ;   in Loop: Header=BB6_14012 Depth=2
	v_bfe_u32 v7, v2, 23, 8
	v_or_b32_e32 v4, 0x800000, v0
	s_mov_b32 s40, exec_lo
	s_delay_alu instid0(VALU_DEP_2) | instskip(SKIP_1) | instid1(VALU_DEP_2)
	v_dual_mov_b32 v5, v1 :: v_dual_sub_nc_u32 v2, 0x71, v7
	v_cmp_gt_u32_e32 vcc_lo, 0x72, v7
	v_cndmask_b32_e32 v2, 0, v2, vcc_lo
	v_cmp_eq_u32_e32 vcc_lo, 0, v7
	s_delay_alu instid0(VALU_DEP_2) | instskip(SKIP_1) | instid1(VALU_DEP_2)
	v_cndmask_b32_e64 v8, v2, 0x70, vcc_lo
	v_cndmask_b32_e32 v4, v4, v0, vcc_lo
	v_dual_add_nc_u32 v2, 21, v8 :: v_dual_add_nc_u32 v9, 20, v8
	s_delay_alu instid0(VALU_DEP_1) | instskip(NEXT) | instid1(VALU_DEP_2)
	v_lshlrev_b64_e64 v[2:3], v2, -1
	v_lshlrev_b64_e64 v[16:17], v9, 1
	s_delay_alu instid0(VALU_DEP_2) | instskip(NEXT) | instid1(VALU_DEP_3)
	v_bfi_b32 v19, v3, 0, 0
	v_bfi_b32 v18, v2, 0, v4
	v_lshrrev_b64 v[2:3], v8, v[4:5]
	s_delay_alu instid0(VALU_DEP_1) | instskip(NEXT) | instid1(VALU_DEP_3)
	v_mov_b64_e32 v[4:5], v[2:3]
	v_cmpx_eq_u64_e64 v[18:19], v[16:17]
; %bb.14068:                            ;   in Loop: Header=BB6_14012 Depth=2
	v_bfe_u32 v4, v2, 21, 1
	v_mov_b32_e32 v5, v1
	s_delay_alu instid0(VALU_DEP_1) | instskip(NEXT) | instid1(VALU_DEP_1)
	v_add_nc_u64_e32 v[4:5], v[2:3], v[4:5]
	v_add_nc_u64_e32 v[4:5], -1, v[4:5]
; %bb.14069:                            ;   in Loop: Header=BB6_14012 Depth=2
	s_or_b32 exec_lo, exec_lo, s40
	v_add_nc_u32_e32 v0, 0xffffff81, v7
	s_delay_alu instid0(VALU_DEP_2) | instskip(SKIP_2) | instid1(VALU_DEP_3)
	v_and_b32_e32 v4, 0x1fffff, v4
	v_lshrrev_b32_e32 v3, 23, v2
	s_mov_b32 s7, exec_lo
	v_cndmask_b32_e64 v0, v0, 0xffffff82, vcc_lo
	s_delay_alu instid0(VALU_DEP_1) | instskip(SKIP_1) | instid1(VALU_DEP_2)
	v_add3_u32 v5, v8, v0, v3
	v_add_nc_u32_e32 v0, v4, v2
                                        ; implicit-def: $vgpr2_vgpr3
                                        ; implicit-def: $vgpr4
	v_add_nc_u32_e32 v7, 14, v5
	s_delay_alu instid0(VALU_DEP_1)
	v_cmpx_ne_u32_e32 0, v7
	s_xor_b32 s7, exec_lo, s7
; %bb.14070:                            ;   in Loop: Header=BB6_14012 Depth=2
	s_delay_alu instid0(VALU_DEP_3) | instskip(SKIP_1) | instid1(VALU_DEP_1)
	v_cmp_lt_u64_e32 vcc_lo, 0xffffff, v[0:1]
	v_add_nc_u32_e32 v2, 15, v5
	v_cndmask_b32_e32 v4, v7, v2, vcc_lo
	v_cndmask_b32_e64 v2, 0, 1, vcc_lo
	s_delay_alu instid0(VALU_DEP_1)
	v_lshrrev_b64 v[2:3], v2, v[0:1]
; %bb.14071:                            ;   in Loop: Header=BB6_14012 Depth=2
	s_and_not1_saveexec_b32 s7, s7
; %bb.14072:                            ;   in Loop: Header=BB6_14012 Depth=2
	v_mov_b64_e32 v[2:3], v[0:1]
	v_bfe_u32 v4, v0, 23, 1
; %bb.14073:                            ;   in Loop: Header=BB6_14012 Depth=2
	s_or_b32 exec_lo, exec_lo, s7
	s_delay_alu instid0(VALU_DEP_2) | instskip(NEXT) | instid1(VALU_DEP_2)
	v_lshrrev_b64 v[2:3], 21, v[2:3]
	v_cmp_gt_i32_e32 vcc_lo, 32, v4
	v_cmp_ne_u32_e64 s7, 0, v4
                                        ; implicit-def: $vgpr30
	s_delay_alu instid0(VALU_DEP_3) | instskip(NEXT) | instid1(VALU_DEP_1)
	v_dual_cndmask_b32 v3, 0, v3 :: v_dual_cndmask_b32 v2, 3, v2
	v_cmp_ne_u64_e32 vcc_lo, 0, v[2:3]
	s_or_b32 s7, s7, vcc_lo
	s_delay_alu instid0(SALU_CYCLE_1) | instskip(NEXT) | instid1(SALU_CYCLE_1)
	s_and_saveexec_b32 s40, s7
	s_xor_b32 s7, exec_lo, s40
; %bb.14074:                            ;   in Loop: Header=BB6_14012 Depth=2
	v_min_i32_e32 v0, 31, v4
	s_delay_alu instid0(VALU_DEP_1) | instskip(NEXT) | instid1(VALU_DEP_1)
	v_lshl_or_b32 v0, v0, 2, v6
                                        ; implicit-def: $vgpr6
	v_and_or_b32 v30, v2, 3, v0
; %bb.14075:                            ;   in Loop: Header=BB6_14012 Depth=2
	s_and_not1_saveexec_b32 s7, s7
; %bb.14076:                            ;   in Loop: Header=BB6_14012 Depth=2
	v_mov_b32_e32 v30, v6
; %bb.14077:                            ;   in Loop: Header=BB6_14012 Depth=2
	s_or_b32 exec_lo, exec_lo, s7
.LBB6_14078:                            ;   in Loop: Header=BB6_14012 Depth=2
	s_delay_alu instid0(SALU_CYCLE_1)
	s_or_b32 exec_lo, exec_lo, s29
                                        ; implicit-def: $vgpr6
.LBB6_14079:                            ;   in Loop: Header=BB6_14012 Depth=2
	s_and_not1_saveexec_b32 s7, s11
; %bb.14080:                            ;   in Loop: Header=BB6_14012 Depth=2
	v_or_b32_e32 v30, 0x7b, v6
; %bb.14081:                            ;   in Loop: Header=BB6_14012 Depth=2
	s_or_b32 exec_lo, exec_lo, s7
                                        ; implicit-def: $vgpr2
.LBB6_14082:                            ;   in Loop: Header=BB6_14012 Depth=2
	s_and_not1_saveexec_b32 s7, s10
	s_cbranch_execz .LBB6_14088
; %bb.14083:                            ;   in Loop: Header=BB6_14012 Depth=2
	s_mov_b32 s10, exec_lo
                                        ; implicit-def: $vgpr30
	v_cmpx_ne_u64_e32 0, v[0:1]
	s_xor_b32 s10, exec_lo, s10
; %bb.14084:                            ;   in Loop: Header=BB6_14012 Depth=2
	v_lshrrev_b32_e32 v0, 24, v2
                                        ; implicit-def: $vgpr2
	s_delay_alu instid0(VALU_DEP_1)
	v_or_b32_e32 v30, 0x7f, v0
; %bb.14085:                            ;   in Loop: Header=BB6_14012 Depth=2
	s_and_not1_saveexec_b32 s10, s10
; %bb.14086:                            ;   in Loop: Header=BB6_14012 Depth=2
	v_cmp_lt_i32_e32 vcc_lo, -1, v2
	v_cndmask_b32_e64 v30, -4, 0x7c, vcc_lo
; %bb.14087:                            ;   in Loop: Header=BB6_14012 Depth=2
	s_or_b32 exec_lo, exec_lo, s10
.LBB6_14088:                            ;   in Loop: Header=BB6_14012 Depth=2
	s_delay_alu instid0(SALU_CYCLE_1)
	s_or_b32 exec_lo, exec_lo, s7
	flat_load_i8 v2, v[10:11] offset:64 th:TH_LOAD_NT
	v_mov_b32_e32 v3, 0
	s_mov_b32 s7, exec_lo
	s_wait_loadcnt_dscnt 0x0
	v_cmpx_ne_u16_e32 0, v2
	s_cbranch_execz .LBB6_14098
; %bb.14089:                            ;   in Loop: Header=BB6_14012 Depth=2
	v_bfrev_b32_e32 v3, 1
	s_mov_b32 s10, exec_lo
	v_cmpx_ne_u16_e32 0xff80, v2
	s_cbranch_execz .LBB6_14097
; %bb.14090:                            ;   in Loop: Header=BB6_14012 Depth=2
	v_and_b32_e32 v3, 0x7c, v2
	v_and_b32_e32 v0, 3, v2
	s_delay_alu instid0(VALU_DEP_2) | instskip(SKIP_1) | instid1(SALU_CYCLE_1)
	v_cmp_ne_u32_e32 vcc_lo, 0x7c, v3
                                        ; implicit-def: $vgpr3
	s_and_saveexec_b32 s11, vcc_lo
	s_xor_b32 s11, exec_lo, s11
	s_cbranch_execz .LBB6_14094
; %bb.14091:                            ;   in Loop: Header=BB6_14012 Depth=2
	v_and_b32_e32 v3, 0xff, v2
	s_mov_b32 s29, exec_lo
	s_delay_alu instid0(VALU_DEP_1) | instskip(NEXT) | instid1(VALU_DEP_1)
	v_bfe_u32 v3, v3, 2, 5
	v_cmpx_eq_u32_e32 0, v3
	s_cbranch_execz .LBB6_14093
; %bb.14092:                            ;   in Loop: Header=BB6_14012 Depth=2
	v_clz_i32_u32_e32 v0, v0
	v_mov_b32_e32 v3, v1
	s_delay_alu instid0(VALU_DEP_2) | instskip(NEXT) | instid1(VALU_DEP_1)
	v_min_u32_e32 v0, 32, v0
	v_subrev_nc_u32_e32 v4, 29, v0
	s_delay_alu instid0(VALU_DEP_1) | instskip(SKIP_1) | instid1(VALU_DEP_2)
	v_lshlrev_b64_e32 v[4:5], v4, v[2:3]
	v_sub_nc_u32_e32 v3, 30, v0
	v_and_b32_e32 v0, 3, v4
.LBB6_14093:                            ;   in Loop: Header=BB6_14012 Depth=2
	s_or_b32 exec_lo, exec_lo, s29
	v_bfe_i32 v2, v2, 0, 16
	s_delay_alu instid0(VALU_DEP_1) | instskip(NEXT) | instid1(VALU_DEP_1)
	v_and_b32_e32 v2, 0x80000000, v2
	v_lshl_add_u32 v2, v3, 23, v2
	s_delay_alu instid0(VALU_DEP_1) | instskip(NEXT) | instid1(VALU_DEP_1)
	v_lshl_or_b32 v0, v0, 21, v2
                                        ; implicit-def: $vgpr2
	v_add_nc_u32_e32 v3, 0x38000000, v0
                                        ; implicit-def: $vgpr0
.LBB6_14094:                            ;   in Loop: Header=BB6_14012 Depth=2
	s_and_not1_saveexec_b32 s11, s11
; %bb.14095:                            ;   in Loop: Header=BB6_14012 Depth=2
	v_cmp_lt_i16_e32 vcc_lo, -1, v2
	v_mov_b32_e32 v2, 0x7f800000
	s_delay_alu instid0(VALU_DEP_1) | instskip(SKIP_1) | instid1(VALU_DEP_2)
	v_cndmask_b32_e32 v2, 0xff800000, v2, vcc_lo
	v_cmp_eq_u32_e32 vcc_lo, 0, v0
	v_cndmask_b32_e32 v3, 0x7f800001, v2, vcc_lo
; %bb.14096:                            ;   in Loop: Header=BB6_14012 Depth=2
	s_or_b32 exec_lo, exec_lo, s11
.LBB6_14097:                            ;   in Loop: Header=BB6_14012 Depth=2
	s_delay_alu instid0(SALU_CYCLE_1)
	s_or_b32 exec_lo, exec_lo, s10
.LBB6_14098:                            ;   in Loop: Header=BB6_14012 Depth=2
	s_delay_alu instid0(SALU_CYCLE_1) | instskip(NEXT) | instid1(VALU_DEP_1)
	s_or_b32 exec_lo, exec_lo, s7
	v_dual_mul_f32 v2, s28, v3 :: v_dual_mov_b32 v5, v1
                                        ; implicit-def: $vgpr28
	s_mov_b32 s7, exec_lo
	s_delay_alu instid0(VALU_DEP_1) | instskip(SKIP_1) | instid1(VALU_DEP_2)
	v_and_b32_e32 v4, 0x7f800000, v2
	v_and_b32_e32 v0, 0x7fffff, v2
	v_cmpx_ne_u64_e32 0x7f800000, v[4:5]
	s_xor_b32 s10, exec_lo, s7
	s_cbranch_execz .LBB6_14116
; %bb.14099:                            ;   in Loop: Header=BB6_14012 Depth=2
	v_dual_mov_b32 v5, v1 :: v_dual_lshrrev_b32 v3, 24, v2
	v_and_b32_e32 v4, 0x7fffffff, v2
                                        ; implicit-def: $vgpr28
	s_mov_b32 s7, exec_lo
	s_delay_alu instid0(VALU_DEP_2) | instskip(NEXT) | instid1(VALU_DEP_2)
	v_and_b32_e32 v6, 0x80, v3
	v_cmpx_gt_u64_e32 0x47600001, v[4:5]
	s_xor_b32 s11, exec_lo, s7
	s_cbranch_execz .LBB6_14113
; %bb.14100:                            ;   in Loop: Header=BB6_14012 Depth=2
	v_mov_b32_e32 v28, 0
	s_mov_b32 s29, exec_lo
	v_cmpx_ne_u32_e32 0, v2
	s_cbranch_execz .LBB6_14112
; %bb.14101:                            ;   in Loop: Header=BB6_14012 Depth=2
	v_bfe_u32 v7, v2, 23, 8
	v_or_b32_e32 v4, 0x800000, v0
	s_mov_b32 s40, exec_lo
	s_delay_alu instid0(VALU_DEP_2) | instskip(SKIP_1) | instid1(VALU_DEP_2)
	v_dual_mov_b32 v5, v1 :: v_dual_sub_nc_u32 v2, 0x71, v7
	v_cmp_gt_u32_e32 vcc_lo, 0x72, v7
	v_cndmask_b32_e32 v2, 0, v2, vcc_lo
	v_cmp_eq_u32_e32 vcc_lo, 0, v7
	s_delay_alu instid0(VALU_DEP_2) | instskip(SKIP_1) | instid1(VALU_DEP_2)
	v_cndmask_b32_e64 v8, v2, 0x70, vcc_lo
	v_cndmask_b32_e32 v4, v4, v0, vcc_lo
	v_dual_add_nc_u32 v2, 21, v8 :: v_dual_add_nc_u32 v9, 20, v8
	s_delay_alu instid0(VALU_DEP_1) | instskip(NEXT) | instid1(VALU_DEP_2)
	v_lshlrev_b64_e64 v[2:3], v2, -1
	v_lshlrev_b64_e64 v[16:17], v9, 1
	s_delay_alu instid0(VALU_DEP_2) | instskip(NEXT) | instid1(VALU_DEP_3)
	v_bfi_b32 v19, v3, 0, 0
	v_bfi_b32 v18, v2, 0, v4
	v_lshrrev_b64 v[2:3], v8, v[4:5]
	s_delay_alu instid0(VALU_DEP_1) | instskip(NEXT) | instid1(VALU_DEP_3)
	v_mov_b64_e32 v[4:5], v[2:3]
	v_cmpx_eq_u64_e64 v[18:19], v[16:17]
; %bb.14102:                            ;   in Loop: Header=BB6_14012 Depth=2
	v_bfe_u32 v4, v2, 21, 1
	v_mov_b32_e32 v5, v1
	s_delay_alu instid0(VALU_DEP_1) | instskip(NEXT) | instid1(VALU_DEP_1)
	v_add_nc_u64_e32 v[4:5], v[2:3], v[4:5]
	v_add_nc_u64_e32 v[4:5], -1, v[4:5]
; %bb.14103:                            ;   in Loop: Header=BB6_14012 Depth=2
	s_or_b32 exec_lo, exec_lo, s40
	v_add_nc_u32_e32 v0, 0xffffff81, v7
	s_delay_alu instid0(VALU_DEP_2) | instskip(SKIP_2) | instid1(VALU_DEP_3)
	v_and_b32_e32 v4, 0x1fffff, v4
	v_lshrrev_b32_e32 v3, 23, v2
	s_mov_b32 s7, exec_lo
	v_cndmask_b32_e64 v0, v0, 0xffffff82, vcc_lo
	s_delay_alu instid0(VALU_DEP_1) | instskip(SKIP_1) | instid1(VALU_DEP_2)
	v_add3_u32 v5, v8, v0, v3
	v_add_nc_u32_e32 v0, v4, v2
                                        ; implicit-def: $vgpr2_vgpr3
                                        ; implicit-def: $vgpr4
	v_add_nc_u32_e32 v7, 14, v5
	s_delay_alu instid0(VALU_DEP_1)
	v_cmpx_ne_u32_e32 0, v7
	s_xor_b32 s7, exec_lo, s7
; %bb.14104:                            ;   in Loop: Header=BB6_14012 Depth=2
	s_delay_alu instid0(VALU_DEP_3) | instskip(SKIP_1) | instid1(VALU_DEP_1)
	v_cmp_lt_u64_e32 vcc_lo, 0xffffff, v[0:1]
	v_add_nc_u32_e32 v2, 15, v5
	v_cndmask_b32_e32 v4, v7, v2, vcc_lo
	v_cndmask_b32_e64 v2, 0, 1, vcc_lo
	s_delay_alu instid0(VALU_DEP_1)
	v_lshrrev_b64 v[2:3], v2, v[0:1]
; %bb.14105:                            ;   in Loop: Header=BB6_14012 Depth=2
	s_and_not1_saveexec_b32 s7, s7
; %bb.14106:                            ;   in Loop: Header=BB6_14012 Depth=2
	v_mov_b64_e32 v[2:3], v[0:1]
	v_bfe_u32 v4, v0, 23, 1
; %bb.14107:                            ;   in Loop: Header=BB6_14012 Depth=2
	s_or_b32 exec_lo, exec_lo, s7
	s_delay_alu instid0(VALU_DEP_2) | instskip(NEXT) | instid1(VALU_DEP_2)
	v_lshrrev_b64 v[2:3], 21, v[2:3]
	v_cmp_gt_i32_e32 vcc_lo, 32, v4
	v_cmp_ne_u32_e64 s7, 0, v4
                                        ; implicit-def: $vgpr28
	s_delay_alu instid0(VALU_DEP_3) | instskip(NEXT) | instid1(VALU_DEP_1)
	v_dual_cndmask_b32 v3, 0, v3 :: v_dual_cndmask_b32 v2, 3, v2
	v_cmp_ne_u64_e32 vcc_lo, 0, v[2:3]
	s_or_b32 s7, s7, vcc_lo
	s_delay_alu instid0(SALU_CYCLE_1) | instskip(NEXT) | instid1(SALU_CYCLE_1)
	s_and_saveexec_b32 s40, s7
	s_xor_b32 s7, exec_lo, s40
; %bb.14108:                            ;   in Loop: Header=BB6_14012 Depth=2
	v_min_i32_e32 v0, 31, v4
	s_delay_alu instid0(VALU_DEP_1) | instskip(NEXT) | instid1(VALU_DEP_1)
	v_lshl_or_b32 v0, v0, 2, v6
                                        ; implicit-def: $vgpr6
	v_and_or_b32 v28, v2, 3, v0
; %bb.14109:                            ;   in Loop: Header=BB6_14012 Depth=2
	s_and_not1_saveexec_b32 s7, s7
; %bb.14110:                            ;   in Loop: Header=BB6_14012 Depth=2
	v_mov_b32_e32 v28, v6
; %bb.14111:                            ;   in Loop: Header=BB6_14012 Depth=2
	s_or_b32 exec_lo, exec_lo, s7
.LBB6_14112:                            ;   in Loop: Header=BB6_14012 Depth=2
	s_delay_alu instid0(SALU_CYCLE_1)
	s_or_b32 exec_lo, exec_lo, s29
                                        ; implicit-def: $vgpr6
.LBB6_14113:                            ;   in Loop: Header=BB6_14012 Depth=2
	s_and_not1_saveexec_b32 s7, s11
; %bb.14114:                            ;   in Loop: Header=BB6_14012 Depth=2
	v_or_b32_e32 v28, 0x7b, v6
; %bb.14115:                            ;   in Loop: Header=BB6_14012 Depth=2
	s_or_b32 exec_lo, exec_lo, s7
                                        ; implicit-def: $vgpr2
.LBB6_14116:                            ;   in Loop: Header=BB6_14012 Depth=2
	s_and_not1_saveexec_b32 s7, s10
	s_cbranch_execz .LBB6_14122
; %bb.14117:                            ;   in Loop: Header=BB6_14012 Depth=2
	s_mov_b32 s10, exec_lo
                                        ; implicit-def: $vgpr28
	v_cmpx_ne_u64_e32 0, v[0:1]
	s_xor_b32 s10, exec_lo, s10
; %bb.14118:                            ;   in Loop: Header=BB6_14012 Depth=2
	v_lshrrev_b32_e32 v0, 24, v2
                                        ; implicit-def: $vgpr2
	s_delay_alu instid0(VALU_DEP_1)
	v_or_b32_e32 v28, 0x7f, v0
; %bb.14119:                            ;   in Loop: Header=BB6_14012 Depth=2
	s_and_not1_saveexec_b32 s10, s10
; %bb.14120:                            ;   in Loop: Header=BB6_14012 Depth=2
	v_cmp_lt_i32_e32 vcc_lo, -1, v2
	v_cndmask_b32_e64 v28, -4, 0x7c, vcc_lo
; %bb.14121:                            ;   in Loop: Header=BB6_14012 Depth=2
	s_or_b32 exec_lo, exec_lo, s10
.LBB6_14122:                            ;   in Loop: Header=BB6_14012 Depth=2
	s_delay_alu instid0(SALU_CYCLE_1)
	s_or_b32 exec_lo, exec_lo, s7
	flat_load_i8 v2, v[10:11] offset:96 th:TH_LOAD_NT
	v_mov_b32_e32 v3, 0
	s_mov_b32 s7, exec_lo
	s_wait_loadcnt_dscnt 0x0
	v_cmpx_ne_u16_e32 0, v2
	s_cbranch_execz .LBB6_14132
; %bb.14123:                            ;   in Loop: Header=BB6_14012 Depth=2
	v_bfrev_b32_e32 v3, 1
	s_mov_b32 s10, exec_lo
	v_cmpx_ne_u16_e32 0xff80, v2
	s_cbranch_execz .LBB6_14131
; %bb.14124:                            ;   in Loop: Header=BB6_14012 Depth=2
	v_and_b32_e32 v3, 0x7c, v2
	v_and_b32_e32 v0, 3, v2
	s_delay_alu instid0(VALU_DEP_2) | instskip(SKIP_1) | instid1(SALU_CYCLE_1)
	v_cmp_ne_u32_e32 vcc_lo, 0x7c, v3
                                        ; implicit-def: $vgpr3
	s_and_saveexec_b32 s11, vcc_lo
	s_xor_b32 s11, exec_lo, s11
	s_cbranch_execz .LBB6_14128
; %bb.14125:                            ;   in Loop: Header=BB6_14012 Depth=2
	v_and_b32_e32 v3, 0xff, v2
	s_mov_b32 s29, exec_lo
	s_delay_alu instid0(VALU_DEP_1) | instskip(NEXT) | instid1(VALU_DEP_1)
	v_bfe_u32 v3, v3, 2, 5
	v_cmpx_eq_u32_e32 0, v3
	s_cbranch_execz .LBB6_14127
; %bb.14126:                            ;   in Loop: Header=BB6_14012 Depth=2
	v_clz_i32_u32_e32 v0, v0
	v_mov_b32_e32 v3, v1
	s_delay_alu instid0(VALU_DEP_2) | instskip(NEXT) | instid1(VALU_DEP_1)
	v_min_u32_e32 v0, 32, v0
	v_subrev_nc_u32_e32 v4, 29, v0
	s_delay_alu instid0(VALU_DEP_1) | instskip(SKIP_1) | instid1(VALU_DEP_2)
	v_lshlrev_b64_e32 v[4:5], v4, v[2:3]
	v_sub_nc_u32_e32 v3, 30, v0
	v_and_b32_e32 v0, 3, v4
.LBB6_14127:                            ;   in Loop: Header=BB6_14012 Depth=2
	s_or_b32 exec_lo, exec_lo, s29
	v_bfe_i32 v2, v2, 0, 16
	s_delay_alu instid0(VALU_DEP_1) | instskip(NEXT) | instid1(VALU_DEP_1)
	v_and_b32_e32 v2, 0x80000000, v2
	v_lshl_add_u32 v2, v3, 23, v2
	s_delay_alu instid0(VALU_DEP_1) | instskip(NEXT) | instid1(VALU_DEP_1)
	v_lshl_or_b32 v0, v0, 21, v2
                                        ; implicit-def: $vgpr2
	v_add_nc_u32_e32 v3, 0x38000000, v0
                                        ; implicit-def: $vgpr0
.LBB6_14128:                            ;   in Loop: Header=BB6_14012 Depth=2
	s_and_not1_saveexec_b32 s11, s11
; %bb.14129:                            ;   in Loop: Header=BB6_14012 Depth=2
	v_cmp_lt_i16_e32 vcc_lo, -1, v2
	v_mov_b32_e32 v2, 0x7f800000
	s_delay_alu instid0(VALU_DEP_1) | instskip(SKIP_1) | instid1(VALU_DEP_2)
	v_cndmask_b32_e32 v2, 0xff800000, v2, vcc_lo
	v_cmp_eq_u32_e32 vcc_lo, 0, v0
	v_cndmask_b32_e32 v3, 0x7f800001, v2, vcc_lo
; %bb.14130:                            ;   in Loop: Header=BB6_14012 Depth=2
	s_or_b32 exec_lo, exec_lo, s11
.LBB6_14131:                            ;   in Loop: Header=BB6_14012 Depth=2
	s_delay_alu instid0(SALU_CYCLE_1)
	s_or_b32 exec_lo, exec_lo, s10
.LBB6_14132:                            ;   in Loop: Header=BB6_14012 Depth=2
	s_delay_alu instid0(SALU_CYCLE_1) | instskip(NEXT) | instid1(VALU_DEP_1)
	s_or_b32 exec_lo, exec_lo, s7
	v_dual_mul_f32 v2, s28, v3 :: v_dual_mov_b32 v5, v1
                                        ; implicit-def: $vgpr120
	s_mov_b32 s7, exec_lo
	s_delay_alu instid0(VALU_DEP_1) | instskip(SKIP_1) | instid1(VALU_DEP_2)
	v_and_b32_e32 v4, 0x7f800000, v2
	v_and_b32_e32 v0, 0x7fffff, v2
	v_cmpx_ne_u64_e32 0x7f800000, v[4:5]
	s_xor_b32 s10, exec_lo, s7
	s_cbranch_execz .LBB6_14150
; %bb.14133:                            ;   in Loop: Header=BB6_14012 Depth=2
	v_dual_mov_b32 v5, v1 :: v_dual_lshrrev_b32 v3, 24, v2
	v_and_b32_e32 v4, 0x7fffffff, v2
                                        ; implicit-def: $vgpr120
	s_mov_b32 s7, exec_lo
	s_delay_alu instid0(VALU_DEP_2) | instskip(NEXT) | instid1(VALU_DEP_2)
	v_and_b32_e32 v6, 0x80, v3
	v_cmpx_gt_u64_e32 0x47600001, v[4:5]
	s_xor_b32 s11, exec_lo, s7
	s_cbranch_execz .LBB6_14147
; %bb.14134:                            ;   in Loop: Header=BB6_14012 Depth=2
	v_mov_b32_e32 v120, 0
	s_mov_b32 s29, exec_lo
	v_cmpx_ne_u32_e32 0, v2
	s_cbranch_execz .LBB6_14146
; %bb.14135:                            ;   in Loop: Header=BB6_14012 Depth=2
	v_bfe_u32 v7, v2, 23, 8
	v_or_b32_e32 v4, 0x800000, v0
	s_mov_b32 s40, exec_lo
	s_delay_alu instid0(VALU_DEP_2) | instskip(SKIP_1) | instid1(VALU_DEP_2)
	v_dual_mov_b32 v5, v1 :: v_dual_sub_nc_u32 v2, 0x71, v7
	v_cmp_gt_u32_e32 vcc_lo, 0x72, v7
	v_cndmask_b32_e32 v2, 0, v2, vcc_lo
	v_cmp_eq_u32_e32 vcc_lo, 0, v7
	s_delay_alu instid0(VALU_DEP_2) | instskip(SKIP_1) | instid1(VALU_DEP_2)
	v_cndmask_b32_e64 v8, v2, 0x70, vcc_lo
	v_cndmask_b32_e32 v4, v4, v0, vcc_lo
	v_dual_add_nc_u32 v2, 21, v8 :: v_dual_add_nc_u32 v9, 20, v8
	s_delay_alu instid0(VALU_DEP_1) | instskip(NEXT) | instid1(VALU_DEP_2)
	v_lshlrev_b64_e64 v[2:3], v2, -1
	v_lshlrev_b64_e64 v[16:17], v9, 1
	s_delay_alu instid0(VALU_DEP_2) | instskip(NEXT) | instid1(VALU_DEP_3)
	v_bfi_b32 v19, v3, 0, 0
	v_bfi_b32 v18, v2, 0, v4
	v_lshrrev_b64 v[2:3], v8, v[4:5]
	s_delay_alu instid0(VALU_DEP_1) | instskip(NEXT) | instid1(VALU_DEP_3)
	v_mov_b64_e32 v[4:5], v[2:3]
	v_cmpx_eq_u64_e64 v[18:19], v[16:17]
; %bb.14136:                            ;   in Loop: Header=BB6_14012 Depth=2
	v_bfe_u32 v4, v2, 21, 1
	v_mov_b32_e32 v5, v1
	s_delay_alu instid0(VALU_DEP_1) | instskip(NEXT) | instid1(VALU_DEP_1)
	v_add_nc_u64_e32 v[4:5], v[2:3], v[4:5]
	v_add_nc_u64_e32 v[4:5], -1, v[4:5]
; %bb.14137:                            ;   in Loop: Header=BB6_14012 Depth=2
	s_or_b32 exec_lo, exec_lo, s40
	v_add_nc_u32_e32 v0, 0xffffff81, v7
	s_delay_alu instid0(VALU_DEP_2) | instskip(SKIP_2) | instid1(VALU_DEP_3)
	v_and_b32_e32 v4, 0x1fffff, v4
	v_lshrrev_b32_e32 v3, 23, v2
	s_mov_b32 s7, exec_lo
	v_cndmask_b32_e64 v0, v0, 0xffffff82, vcc_lo
	s_delay_alu instid0(VALU_DEP_1) | instskip(SKIP_1) | instid1(VALU_DEP_2)
	v_add3_u32 v5, v8, v0, v3
	v_add_nc_u32_e32 v0, v4, v2
                                        ; implicit-def: $vgpr2_vgpr3
                                        ; implicit-def: $vgpr4
	v_add_nc_u32_e32 v7, 14, v5
	s_delay_alu instid0(VALU_DEP_1)
	v_cmpx_ne_u32_e32 0, v7
	s_xor_b32 s7, exec_lo, s7
; %bb.14138:                            ;   in Loop: Header=BB6_14012 Depth=2
	s_delay_alu instid0(VALU_DEP_3) | instskip(SKIP_1) | instid1(VALU_DEP_1)
	v_cmp_lt_u64_e32 vcc_lo, 0xffffff, v[0:1]
	v_add_nc_u32_e32 v2, 15, v5
	v_cndmask_b32_e32 v4, v7, v2, vcc_lo
	v_cndmask_b32_e64 v2, 0, 1, vcc_lo
	s_delay_alu instid0(VALU_DEP_1)
	v_lshrrev_b64 v[2:3], v2, v[0:1]
; %bb.14139:                            ;   in Loop: Header=BB6_14012 Depth=2
	s_and_not1_saveexec_b32 s7, s7
; %bb.14140:                            ;   in Loop: Header=BB6_14012 Depth=2
	v_mov_b64_e32 v[2:3], v[0:1]
	v_bfe_u32 v4, v0, 23, 1
; %bb.14141:                            ;   in Loop: Header=BB6_14012 Depth=2
	s_or_b32 exec_lo, exec_lo, s7
	s_delay_alu instid0(VALU_DEP_2) | instskip(NEXT) | instid1(VALU_DEP_2)
	v_lshrrev_b64 v[2:3], 21, v[2:3]
	v_cmp_gt_i32_e32 vcc_lo, 32, v4
	v_cmp_ne_u32_e64 s7, 0, v4
                                        ; implicit-def: $vgpr120
	s_delay_alu instid0(VALU_DEP_3) | instskip(NEXT) | instid1(VALU_DEP_1)
	v_dual_cndmask_b32 v3, 0, v3 :: v_dual_cndmask_b32 v2, 3, v2
	v_cmp_ne_u64_e32 vcc_lo, 0, v[2:3]
	s_or_b32 s7, s7, vcc_lo
	s_delay_alu instid0(SALU_CYCLE_1) | instskip(NEXT) | instid1(SALU_CYCLE_1)
	s_and_saveexec_b32 s40, s7
	s_xor_b32 s7, exec_lo, s40
; %bb.14142:                            ;   in Loop: Header=BB6_14012 Depth=2
	v_min_i32_e32 v0, 31, v4
	s_delay_alu instid0(VALU_DEP_1) | instskip(NEXT) | instid1(VALU_DEP_1)
	v_lshl_or_b32 v0, v0, 2, v6
                                        ; implicit-def: $vgpr6
	v_and_or_b32 v120, v2, 3, v0
; %bb.14143:                            ;   in Loop: Header=BB6_14012 Depth=2
	s_and_not1_saveexec_b32 s7, s7
; %bb.14144:                            ;   in Loop: Header=BB6_14012 Depth=2
	v_mov_b32_e32 v120, v6
; %bb.14145:                            ;   in Loop: Header=BB6_14012 Depth=2
	s_or_b32 exec_lo, exec_lo, s7
.LBB6_14146:                            ;   in Loop: Header=BB6_14012 Depth=2
	s_delay_alu instid0(SALU_CYCLE_1)
	s_or_b32 exec_lo, exec_lo, s29
                                        ; implicit-def: $vgpr6
.LBB6_14147:                            ;   in Loop: Header=BB6_14012 Depth=2
	s_and_not1_saveexec_b32 s7, s11
; %bb.14148:                            ;   in Loop: Header=BB6_14012 Depth=2
	v_or_b32_e32 v120, 0x7b, v6
; %bb.14149:                            ;   in Loop: Header=BB6_14012 Depth=2
	s_or_b32 exec_lo, exec_lo, s7
                                        ; implicit-def: $vgpr2
.LBB6_14150:                            ;   in Loop: Header=BB6_14012 Depth=2
	s_and_not1_saveexec_b32 s7, s10
	s_cbranch_execz .LBB6_14156
; %bb.14151:                            ;   in Loop: Header=BB6_14012 Depth=2
	s_mov_b32 s10, exec_lo
                                        ; implicit-def: $vgpr120
	v_cmpx_ne_u64_e32 0, v[0:1]
	s_xor_b32 s10, exec_lo, s10
; %bb.14152:                            ;   in Loop: Header=BB6_14012 Depth=2
	v_lshrrev_b32_e32 v0, 24, v2
                                        ; implicit-def: $vgpr2
	s_delay_alu instid0(VALU_DEP_1)
	v_or_b32_e32 v120, 0x7f, v0
; %bb.14153:                            ;   in Loop: Header=BB6_14012 Depth=2
	s_and_not1_saveexec_b32 s10, s10
; %bb.14154:                            ;   in Loop: Header=BB6_14012 Depth=2
	v_cmp_lt_i32_e32 vcc_lo, -1, v2
	v_cndmask_b32_e64 v120, -4, 0x7c, vcc_lo
; %bb.14155:                            ;   in Loop: Header=BB6_14012 Depth=2
	s_or_b32 exec_lo, exec_lo, s10
.LBB6_14156:                            ;   in Loop: Header=BB6_14012 Depth=2
	s_delay_alu instid0(SALU_CYCLE_1)
	s_or_b32 exec_lo, exec_lo, s7
	flat_load_i8 v2, v[10:11] offset:128 th:TH_LOAD_NT
	v_mov_b32_e32 v3, 0
	s_mov_b32 s7, exec_lo
	s_wait_loadcnt_dscnt 0x0
	v_cmpx_ne_u16_e32 0, v2
	s_cbranch_execz .LBB6_14166
; %bb.14157:                            ;   in Loop: Header=BB6_14012 Depth=2
	v_bfrev_b32_e32 v3, 1
	s_mov_b32 s10, exec_lo
	v_cmpx_ne_u16_e32 0xff80, v2
	s_cbranch_execz .LBB6_14165
; %bb.14158:                            ;   in Loop: Header=BB6_14012 Depth=2
	v_and_b32_e32 v3, 0x7c, v2
	v_and_b32_e32 v0, 3, v2
	s_delay_alu instid0(VALU_DEP_2) | instskip(SKIP_1) | instid1(SALU_CYCLE_1)
	v_cmp_ne_u32_e32 vcc_lo, 0x7c, v3
                                        ; implicit-def: $vgpr3
	s_and_saveexec_b32 s11, vcc_lo
	s_xor_b32 s11, exec_lo, s11
	s_cbranch_execz .LBB6_14162
; %bb.14159:                            ;   in Loop: Header=BB6_14012 Depth=2
	v_and_b32_e32 v3, 0xff, v2
	s_mov_b32 s29, exec_lo
	s_delay_alu instid0(VALU_DEP_1) | instskip(NEXT) | instid1(VALU_DEP_1)
	v_bfe_u32 v3, v3, 2, 5
	v_cmpx_eq_u32_e32 0, v3
	s_cbranch_execz .LBB6_14161
; %bb.14160:                            ;   in Loop: Header=BB6_14012 Depth=2
	v_clz_i32_u32_e32 v0, v0
	v_mov_b32_e32 v3, v1
	s_delay_alu instid0(VALU_DEP_2) | instskip(NEXT) | instid1(VALU_DEP_1)
	v_min_u32_e32 v0, 32, v0
	v_subrev_nc_u32_e32 v4, 29, v0
	s_delay_alu instid0(VALU_DEP_1) | instskip(SKIP_1) | instid1(VALU_DEP_2)
	v_lshlrev_b64_e32 v[4:5], v4, v[2:3]
	v_sub_nc_u32_e32 v3, 30, v0
	v_and_b32_e32 v0, 3, v4
.LBB6_14161:                            ;   in Loop: Header=BB6_14012 Depth=2
	s_or_b32 exec_lo, exec_lo, s29
	v_bfe_i32 v2, v2, 0, 16
	s_delay_alu instid0(VALU_DEP_1) | instskip(NEXT) | instid1(VALU_DEP_1)
	v_and_b32_e32 v2, 0x80000000, v2
	v_lshl_add_u32 v2, v3, 23, v2
	s_delay_alu instid0(VALU_DEP_1) | instskip(NEXT) | instid1(VALU_DEP_1)
	v_lshl_or_b32 v0, v0, 21, v2
                                        ; implicit-def: $vgpr2
	v_add_nc_u32_e32 v3, 0x38000000, v0
                                        ; implicit-def: $vgpr0
.LBB6_14162:                            ;   in Loop: Header=BB6_14012 Depth=2
	s_and_not1_saveexec_b32 s11, s11
; %bb.14163:                            ;   in Loop: Header=BB6_14012 Depth=2
	v_cmp_lt_i16_e32 vcc_lo, -1, v2
	v_mov_b32_e32 v2, 0x7f800000
	s_delay_alu instid0(VALU_DEP_1) | instskip(SKIP_1) | instid1(VALU_DEP_2)
	v_cndmask_b32_e32 v2, 0xff800000, v2, vcc_lo
	v_cmp_eq_u32_e32 vcc_lo, 0, v0
	v_cndmask_b32_e32 v3, 0x7f800001, v2, vcc_lo
; %bb.14164:                            ;   in Loop: Header=BB6_14012 Depth=2
	s_or_b32 exec_lo, exec_lo, s11
.LBB6_14165:                            ;   in Loop: Header=BB6_14012 Depth=2
	s_delay_alu instid0(SALU_CYCLE_1)
	s_or_b32 exec_lo, exec_lo, s10
.LBB6_14166:                            ;   in Loop: Header=BB6_14012 Depth=2
	s_delay_alu instid0(SALU_CYCLE_1) | instskip(NEXT) | instid1(VALU_DEP_1)
	s_or_b32 exec_lo, exec_lo, s7
	v_dual_mul_f32 v3, s28, v3 :: v_dual_mov_b32 v5, v1
                                        ; implicit-def: $vgpr2
	s_mov_b32 s7, exec_lo
	s_delay_alu instid0(VALU_DEP_1) | instskip(SKIP_1) | instid1(VALU_DEP_2)
	v_and_b32_e32 v4, 0x7f800000, v3
	v_and_b32_e32 v0, 0x7fffff, v3
	v_cmpx_ne_u64_e32 0x7f800000, v[4:5]
	s_xor_b32 s10, exec_lo, s7
	s_cbranch_execz .LBB6_14184
; %bb.14167:                            ;   in Loop: Header=BB6_14012 Depth=2
	v_dual_mov_b32 v5, v1 :: v_dual_lshrrev_b32 v2, 24, v3
	v_and_b32_e32 v4, 0x7fffffff, v3
	s_mov_b32 s7, exec_lo
	s_delay_alu instid0(VALU_DEP_2) | instskip(NEXT) | instid1(VALU_DEP_2)
	v_and_b32_e32 v6, 0x80, v2
                                        ; implicit-def: $vgpr2
	v_cmpx_gt_u64_e32 0x47600001, v[4:5]
	s_xor_b32 s11, exec_lo, s7
	s_cbranch_execz .LBB6_14181
; %bb.14168:                            ;   in Loop: Header=BB6_14012 Depth=2
	v_mov_b32_e32 v2, 0
	s_mov_b32 s29, exec_lo
	v_cmpx_ne_u32_e32 0, v3
	s_cbranch_execz .LBB6_14180
; %bb.14169:                            ;   in Loop: Header=BB6_14012 Depth=2
	v_bfe_u32 v7, v3, 23, 8
	v_or_b32_e32 v4, 0x800000, v0
	s_mov_b32 s40, exec_lo
	s_delay_alu instid0(VALU_DEP_2) | instskip(SKIP_1) | instid1(VALU_DEP_2)
	v_dual_mov_b32 v5, v1 :: v_dual_sub_nc_u32 v2, 0x71, v7
	v_cmp_gt_u32_e32 vcc_lo, 0x72, v7
	v_cndmask_b32_e32 v2, 0, v2, vcc_lo
	v_cmp_eq_u32_e32 vcc_lo, 0, v7
	s_delay_alu instid0(VALU_DEP_2) | instskip(SKIP_1) | instid1(VALU_DEP_2)
	v_cndmask_b32_e64 v8, v2, 0x70, vcc_lo
	v_cndmask_b32_e32 v4, v4, v0, vcc_lo
	v_dual_add_nc_u32 v2, 21, v8 :: v_dual_add_nc_u32 v9, 20, v8
	s_delay_alu instid0(VALU_DEP_1) | instskip(NEXT) | instid1(VALU_DEP_2)
	v_lshlrev_b64_e64 v[2:3], v2, -1
	v_lshlrev_b64_e64 v[16:17], v9, 1
	s_delay_alu instid0(VALU_DEP_2) | instskip(NEXT) | instid1(VALU_DEP_3)
	v_bfi_b32 v19, v3, 0, 0
	v_bfi_b32 v18, v2, 0, v4
	v_lshrrev_b64 v[2:3], v8, v[4:5]
	s_delay_alu instid0(VALU_DEP_1) | instskip(NEXT) | instid1(VALU_DEP_3)
	v_mov_b64_e32 v[4:5], v[2:3]
	v_cmpx_eq_u64_e64 v[18:19], v[16:17]
; %bb.14170:                            ;   in Loop: Header=BB6_14012 Depth=2
	v_bfe_u32 v4, v2, 21, 1
	v_mov_b32_e32 v5, v1
	s_delay_alu instid0(VALU_DEP_1) | instskip(NEXT) | instid1(VALU_DEP_1)
	v_add_nc_u64_e32 v[4:5], v[2:3], v[4:5]
	v_add_nc_u64_e32 v[4:5], -1, v[4:5]
; %bb.14171:                            ;   in Loop: Header=BB6_14012 Depth=2
	s_or_b32 exec_lo, exec_lo, s40
	v_add_nc_u32_e32 v0, 0xffffff81, v7
	s_delay_alu instid0(VALU_DEP_2) | instskip(SKIP_2) | instid1(VALU_DEP_3)
	v_and_b32_e32 v5, 0x1fffff, v4
	v_lshrrev_b32_e32 v3, 23, v2
	s_mov_b32 s7, exec_lo
                                        ; implicit-def: $vgpr7
	v_cndmask_b32_e64 v0, v0, 0xffffff82, vcc_lo
	s_delay_alu instid0(VALU_DEP_1) | instskip(SKIP_1) | instid1(VALU_DEP_2)
	v_add3_u32 v4, v8, v0, v3
	v_add_nc_u32_e32 v0, v5, v2
                                        ; implicit-def: $vgpr2_vgpr3
	v_add_nc_u32_e32 v5, 14, v4
	s_delay_alu instid0(VALU_DEP_1)
	v_cmpx_ne_u32_e32 0, v5
	s_xor_b32 s7, exec_lo, s7
; %bb.14172:                            ;   in Loop: Header=BB6_14012 Depth=2
	s_delay_alu instid0(VALU_DEP_3) | instskip(SKIP_1) | instid1(VALU_DEP_1)
	v_cmp_lt_u64_e32 vcc_lo, 0xffffff, v[0:1]
	v_add_nc_u32_e32 v2, 15, v4
	v_cndmask_b32_e32 v7, v5, v2, vcc_lo
	v_cndmask_b32_e64 v2, 0, 1, vcc_lo
	s_delay_alu instid0(VALU_DEP_1)
	v_lshrrev_b64 v[2:3], v2, v[0:1]
; %bb.14173:                            ;   in Loop: Header=BB6_14012 Depth=2
	s_and_not1_saveexec_b32 s7, s7
; %bb.14174:                            ;   in Loop: Header=BB6_14012 Depth=2
	v_mov_b64_e32 v[2:3], v[0:1]
	v_bfe_u32 v7, v0, 23, 1
; %bb.14175:                            ;   in Loop: Header=BB6_14012 Depth=2
	s_or_b32 exec_lo, exec_lo, s7
	s_delay_alu instid0(VALU_DEP_2) | instskip(NEXT) | instid1(VALU_DEP_2)
	v_lshrrev_b64 v[2:3], 21, v[2:3]
	v_cmp_gt_i32_e32 vcc_lo, 32, v7
	v_cmp_ne_u32_e64 s7, 0, v7
	s_delay_alu instid0(VALU_DEP_3) | instskip(NEXT) | instid1(VALU_DEP_1)
	v_dual_cndmask_b32 v5, 0, v3 :: v_dual_cndmask_b32 v4, 3, v2
                                        ; implicit-def: $vgpr2
	v_cmp_ne_u64_e32 vcc_lo, 0, v[4:5]
	s_or_b32 s7, s7, vcc_lo
	s_delay_alu instid0(SALU_CYCLE_1) | instskip(NEXT) | instid1(SALU_CYCLE_1)
	s_and_saveexec_b32 s40, s7
	s_xor_b32 s7, exec_lo, s40
; %bb.14176:                            ;   in Loop: Header=BB6_14012 Depth=2
	v_min_i32_e32 v0, 31, v7
	s_delay_alu instid0(VALU_DEP_1) | instskip(NEXT) | instid1(VALU_DEP_1)
	v_lshl_or_b32 v0, v0, 2, v6
                                        ; implicit-def: $vgpr6
	v_and_or_b32 v2, v4, 3, v0
; %bb.14177:                            ;   in Loop: Header=BB6_14012 Depth=2
	s_and_not1_saveexec_b32 s7, s7
; %bb.14178:                            ;   in Loop: Header=BB6_14012 Depth=2
	v_mov_b32_e32 v2, v6
; %bb.14179:                            ;   in Loop: Header=BB6_14012 Depth=2
	s_or_b32 exec_lo, exec_lo, s7
.LBB6_14180:                            ;   in Loop: Header=BB6_14012 Depth=2
	s_delay_alu instid0(SALU_CYCLE_1)
	s_or_b32 exec_lo, exec_lo, s29
                                        ; implicit-def: $vgpr6
.LBB6_14181:                            ;   in Loop: Header=BB6_14012 Depth=2
	s_and_not1_saveexec_b32 s7, s11
; %bb.14182:                            ;   in Loop: Header=BB6_14012 Depth=2
	v_or_b32_e32 v2, 0x7b, v6
; %bb.14183:                            ;   in Loop: Header=BB6_14012 Depth=2
	s_or_b32 exec_lo, exec_lo, s7
                                        ; implicit-def: $vgpr3
.LBB6_14184:                            ;   in Loop: Header=BB6_14012 Depth=2
	s_and_not1_saveexec_b32 s7, s10
	s_cbranch_execz .LBB6_14190
; %bb.14185:                            ;   in Loop: Header=BB6_14012 Depth=2
	s_mov_b32 s10, exec_lo
                                        ; implicit-def: $vgpr2
	v_cmpx_ne_u64_e32 0, v[0:1]
	s_xor_b32 s10, exec_lo, s10
; %bb.14186:                            ;   in Loop: Header=BB6_14012 Depth=2
	v_lshrrev_b32_e32 v0, 24, v3
                                        ; implicit-def: $vgpr3
	s_delay_alu instid0(VALU_DEP_1)
	v_or_b32_e32 v2, 0x7f, v0
; %bb.14187:                            ;   in Loop: Header=BB6_14012 Depth=2
	s_and_not1_saveexec_b32 s10, s10
; %bb.14188:                            ;   in Loop: Header=BB6_14012 Depth=2
	v_cmp_lt_i32_e32 vcc_lo, -1, v3
	v_cndmask_b32_e64 v2, -4, 0x7c, vcc_lo
; %bb.14189:                            ;   in Loop: Header=BB6_14012 Depth=2
	s_or_b32 exec_lo, exec_lo, s10
.LBB6_14190:                            ;   in Loop: Header=BB6_14012 Depth=2
	s_delay_alu instid0(SALU_CYCLE_1)
	s_or_b32 exec_lo, exec_lo, s7
	flat_load_i8 v4, v[10:11] offset:160 th:TH_LOAD_NT
	v_mov_b32_e32 v3, 0
	s_mov_b32 s7, exec_lo
	s_wait_loadcnt_dscnt 0x0
	v_cmpx_ne_u16_e32 0, v4
	s_cbranch_execz .LBB6_14200
; %bb.14191:                            ;   in Loop: Header=BB6_14012 Depth=2
	v_bfrev_b32_e32 v3, 1
	s_mov_b32 s10, exec_lo
	v_cmpx_ne_u16_e32 0xff80, v4
	s_cbranch_execz .LBB6_14199
; %bb.14192:                            ;   in Loop: Header=BB6_14012 Depth=2
	v_and_b32_e32 v3, 0x7c, v4
	v_and_b32_e32 v0, 3, v4
	s_delay_alu instid0(VALU_DEP_2) | instskip(SKIP_1) | instid1(SALU_CYCLE_1)
	v_cmp_ne_u32_e32 vcc_lo, 0x7c, v3
                                        ; implicit-def: $vgpr3
	s_and_saveexec_b32 s11, vcc_lo
	s_xor_b32 s11, exec_lo, s11
	s_cbranch_execz .LBB6_14196
; %bb.14193:                            ;   in Loop: Header=BB6_14012 Depth=2
	v_and_b32_e32 v3, 0xff, v4
	s_mov_b32 s29, exec_lo
	s_delay_alu instid0(VALU_DEP_1) | instskip(NEXT) | instid1(VALU_DEP_1)
	v_bfe_u32 v3, v3, 2, 5
	v_cmpx_eq_u32_e32 0, v3
; %bb.14194:                            ;   in Loop: Header=BB6_14012 Depth=2
	v_clz_i32_u32_e32 v0, v0
	s_delay_alu instid0(VALU_DEP_1) | instskip(SKIP_1) | instid1(VALU_DEP_2)
	v_min_u32_e32 v0, 32, v0
	v_mov_b32_e32 v5, v1
	v_subrev_nc_u32_e32 v3, 29, v0
	s_delay_alu instid0(VALU_DEP_1) | instskip(NEXT) | instid1(VALU_DEP_1)
	v_lshlrev_b64_e32 v[6:7], v3, v[4:5]
	v_dual_sub_nc_u32 v3, 30, v0 :: v_dual_bitop2_b32 v0, 3, v6 bitop3:0x40
; %bb.14195:                            ;   in Loop: Header=BB6_14012 Depth=2
	s_or_b32 exec_lo, exec_lo, s29
	v_bfe_i32 v4, v4, 0, 16
	s_delay_alu instid0(VALU_DEP_1) | instskip(NEXT) | instid1(VALU_DEP_1)
	v_and_b32_e32 v4, 0x80000000, v4
	v_lshl_add_u32 v3, v3, 23, v4
                                        ; implicit-def: $vgpr4
	s_delay_alu instid0(VALU_DEP_1) | instskip(NEXT) | instid1(VALU_DEP_1)
	v_lshl_or_b32 v0, v0, 21, v3
	v_add_nc_u32_e32 v3, 0x38000000, v0
                                        ; implicit-def: $vgpr0
.LBB6_14196:                            ;   in Loop: Header=BB6_14012 Depth=2
	s_and_not1_saveexec_b32 s11, s11
; %bb.14197:                            ;   in Loop: Header=BB6_14012 Depth=2
	v_cmp_lt_i16_e32 vcc_lo, -1, v4
	v_mov_b32_e32 v3, 0x7f800000
	s_delay_alu instid0(VALU_DEP_1) | instskip(SKIP_1) | instid1(VALU_DEP_2)
	v_cndmask_b32_e32 v3, 0xff800000, v3, vcc_lo
	v_cmp_eq_u32_e32 vcc_lo, 0, v0
	v_cndmask_b32_e32 v3, 0x7f800001, v3, vcc_lo
; %bb.14198:                            ;   in Loop: Header=BB6_14012 Depth=2
	s_or_b32 exec_lo, exec_lo, s11
.LBB6_14199:                            ;   in Loop: Header=BB6_14012 Depth=2
	s_delay_alu instid0(SALU_CYCLE_1)
	s_or_b32 exec_lo, exec_lo, s10
.LBB6_14200:                            ;   in Loop: Header=BB6_14012 Depth=2
	s_delay_alu instid0(SALU_CYCLE_1) | instskip(NEXT) | instid1(VALU_DEP_1)
	s_or_b32 exec_lo, exec_lo, s7
	v_dual_mul_f32 v4, s28, v3 :: v_dual_mov_b32 v7, v1
                                        ; implicit-def: $vgpr108
	s_mov_b32 s7, exec_lo
	s_delay_alu instid0(VALU_DEP_1) | instskip(SKIP_1) | instid1(VALU_DEP_2)
	v_and_b32_e32 v6, 0x7f800000, v4
	v_and_b32_e32 v0, 0x7fffff, v4
	v_cmpx_ne_u64_e32 0x7f800000, v[6:7]
	s_xor_b32 s10, exec_lo, s7
	s_cbranch_execz .LBB6_14218
; %bb.14201:                            ;   in Loop: Header=BB6_14012 Depth=2
	v_dual_mov_b32 v7, v1 :: v_dual_lshrrev_b32 v3, 24, v4
	v_and_b32_e32 v6, 0x7fffffff, v4
                                        ; implicit-def: $vgpr108
	s_mov_b32 s7, exec_lo
	s_delay_alu instid0(VALU_DEP_2) | instskip(NEXT) | instid1(VALU_DEP_2)
	v_and_b32_e32 v3, 0x80, v3
	v_cmpx_gt_u64_e32 0x47600001, v[6:7]
	s_xor_b32 s11, exec_lo, s7
	s_cbranch_execz .LBB6_14215
; %bb.14202:                            ;   in Loop: Header=BB6_14012 Depth=2
	v_mov_b32_e32 v108, 0
	s_mov_b32 s29, exec_lo
	v_cmpx_ne_u32_e32 0, v4
	s_cbranch_execz .LBB6_14214
; %bb.14203:                            ;   in Loop: Header=BB6_14012 Depth=2
	v_bfe_u32 v8, v4, 23, 8
	v_or_b32_e32 v6, 0x800000, v0
	s_mov_b32 s40, exec_lo
	s_delay_alu instid0(VALU_DEP_2) | instskip(SKIP_1) | instid1(VALU_DEP_2)
	v_dual_mov_b32 v7, v1 :: v_dual_sub_nc_u32 v4, 0x71, v8
	v_cmp_gt_u32_e32 vcc_lo, 0x72, v8
	v_cndmask_b32_e32 v4, 0, v4, vcc_lo
	v_cmp_eq_u32_e32 vcc_lo, 0, v8
	s_delay_alu instid0(VALU_DEP_2) | instskip(NEXT) | instid1(VALU_DEP_1)
	v_cndmask_b32_e64 v9, v4, 0x70, vcc_lo
	v_dual_cndmask_b32 v6, v6, v0, vcc_lo :: v_dual_add_nc_u32 v4, 21, v9
	v_add_nc_u32_e32 v16, 20, v9
	s_delay_alu instid0(VALU_DEP_2) | instskip(NEXT) | instid1(VALU_DEP_2)
	v_lshlrev_b64_e64 v[4:5], v4, -1
	v_lshlrev_b64_e64 v[16:17], v16, 1
	s_delay_alu instid0(VALU_DEP_2) | instskip(NEXT) | instid1(VALU_DEP_3)
	v_bfi_b32 v19, v5, 0, 0
	v_bfi_b32 v18, v4, 0, v6
	v_lshrrev_b64 v[4:5], v9, v[6:7]
	s_delay_alu instid0(VALU_DEP_1) | instskip(NEXT) | instid1(VALU_DEP_3)
	v_mov_b64_e32 v[6:7], v[4:5]
	v_cmpx_eq_u64_e64 v[18:19], v[16:17]
; %bb.14204:                            ;   in Loop: Header=BB6_14012 Depth=2
	v_bfe_u32 v6, v4, 21, 1
	v_mov_b32_e32 v7, v1
	s_delay_alu instid0(VALU_DEP_1) | instskip(NEXT) | instid1(VALU_DEP_1)
	v_add_nc_u64_e32 v[6:7], v[4:5], v[6:7]
	v_add_nc_u64_e32 v[6:7], -1, v[6:7]
; %bb.14205:                            ;   in Loop: Header=BB6_14012 Depth=2
	s_or_b32 exec_lo, exec_lo, s40
	v_add_nc_u32_e32 v0, 0xffffff81, v8
	s_delay_alu instid0(VALU_DEP_2) | instskip(SKIP_2) | instid1(VALU_DEP_3)
	v_and_b32_e32 v6, 0x1fffff, v6
	v_lshrrev_b32_e32 v5, 23, v4
	s_mov_b32 s7, exec_lo
	v_cndmask_b32_e64 v0, v0, 0xffffff82, vcc_lo
	s_delay_alu instid0(VALU_DEP_1) | instskip(SKIP_1) | instid1(VALU_DEP_2)
	v_add3_u32 v7, v9, v0, v5
	v_add_nc_u32_e32 v0, v6, v4
                                        ; implicit-def: $vgpr4_vgpr5
                                        ; implicit-def: $vgpr6
	v_add_nc_u32_e32 v8, 14, v7
	s_delay_alu instid0(VALU_DEP_1)
	v_cmpx_ne_u32_e32 0, v8
	s_xor_b32 s7, exec_lo, s7
; %bb.14206:                            ;   in Loop: Header=BB6_14012 Depth=2
	s_delay_alu instid0(VALU_DEP_3) | instskip(SKIP_1) | instid1(VALU_DEP_1)
	v_cmp_lt_u64_e32 vcc_lo, 0xffffff, v[0:1]
	v_add_nc_u32_e32 v4, 15, v7
	v_cndmask_b32_e32 v6, v8, v4, vcc_lo
	v_cndmask_b32_e64 v4, 0, 1, vcc_lo
	s_delay_alu instid0(VALU_DEP_1)
	v_lshrrev_b64 v[4:5], v4, v[0:1]
; %bb.14207:                            ;   in Loop: Header=BB6_14012 Depth=2
	s_and_not1_saveexec_b32 s7, s7
; %bb.14208:                            ;   in Loop: Header=BB6_14012 Depth=2
	v_mov_b64_e32 v[4:5], v[0:1]
	v_bfe_u32 v6, v0, 23, 1
; %bb.14209:                            ;   in Loop: Header=BB6_14012 Depth=2
	s_or_b32 exec_lo, exec_lo, s7
	s_delay_alu instid0(VALU_DEP_2) | instskip(NEXT) | instid1(VALU_DEP_2)
	v_lshrrev_b64 v[4:5], 21, v[4:5]
	v_cmp_gt_i32_e32 vcc_lo, 32, v6
	v_cmp_ne_u32_e64 s7, 0, v6
                                        ; implicit-def: $vgpr108
	s_delay_alu instid0(VALU_DEP_3) | instskip(NEXT) | instid1(VALU_DEP_1)
	v_dual_cndmask_b32 v5, 0, v5 :: v_dual_cndmask_b32 v4, 3, v4
	v_cmp_ne_u64_e32 vcc_lo, 0, v[4:5]
	s_or_b32 s7, s7, vcc_lo
	s_delay_alu instid0(SALU_CYCLE_1) | instskip(NEXT) | instid1(SALU_CYCLE_1)
	s_and_saveexec_b32 s40, s7
	s_xor_b32 s7, exec_lo, s40
; %bb.14210:                            ;   in Loop: Header=BB6_14012 Depth=2
	v_min_i32_e32 v0, 31, v6
	s_delay_alu instid0(VALU_DEP_1) | instskip(NEXT) | instid1(VALU_DEP_1)
	v_lshl_or_b32 v0, v0, 2, v3
                                        ; implicit-def: $vgpr3
	v_and_or_b32 v108, v4, 3, v0
; %bb.14211:                            ;   in Loop: Header=BB6_14012 Depth=2
	s_and_not1_saveexec_b32 s7, s7
; %bb.14212:                            ;   in Loop: Header=BB6_14012 Depth=2
	v_mov_b32_e32 v108, v3
; %bb.14213:                            ;   in Loop: Header=BB6_14012 Depth=2
	s_or_b32 exec_lo, exec_lo, s7
.LBB6_14214:                            ;   in Loop: Header=BB6_14012 Depth=2
	s_delay_alu instid0(SALU_CYCLE_1)
	s_or_b32 exec_lo, exec_lo, s29
                                        ; implicit-def: $vgpr3
.LBB6_14215:                            ;   in Loop: Header=BB6_14012 Depth=2
	s_and_not1_saveexec_b32 s7, s11
; %bb.14216:                            ;   in Loop: Header=BB6_14012 Depth=2
	v_or_b32_e32 v108, 0x7b, v3
; %bb.14217:                            ;   in Loop: Header=BB6_14012 Depth=2
	s_or_b32 exec_lo, exec_lo, s7
                                        ; implicit-def: $vgpr4
.LBB6_14218:                            ;   in Loop: Header=BB6_14012 Depth=2
	s_and_not1_saveexec_b32 s7, s10
	s_cbranch_execz .LBB6_14224
; %bb.14219:                            ;   in Loop: Header=BB6_14012 Depth=2
	s_mov_b32 s10, exec_lo
                                        ; implicit-def: $vgpr108
	v_cmpx_ne_u64_e32 0, v[0:1]
	s_xor_b32 s10, exec_lo, s10
; %bb.14220:                            ;   in Loop: Header=BB6_14012 Depth=2
	v_lshrrev_b32_e32 v0, 24, v4
                                        ; implicit-def: $vgpr4
	s_delay_alu instid0(VALU_DEP_1)
	v_or_b32_e32 v108, 0x7f, v0
; %bb.14221:                            ;   in Loop: Header=BB6_14012 Depth=2
	s_and_not1_saveexec_b32 s10, s10
; %bb.14222:                            ;   in Loop: Header=BB6_14012 Depth=2
	v_cmp_lt_i32_e32 vcc_lo, -1, v4
	v_cndmask_b32_e64 v108, -4, 0x7c, vcc_lo
; %bb.14223:                            ;   in Loop: Header=BB6_14012 Depth=2
	s_or_b32 exec_lo, exec_lo, s10
.LBB6_14224:                            ;   in Loop: Header=BB6_14012 Depth=2
	s_delay_alu instid0(SALU_CYCLE_1)
	s_or_b32 exec_lo, exec_lo, s7
	flat_load_i8 v4, v[10:11] offset:192 th:TH_LOAD_NT
	v_mov_b32_e32 v3, 0
	s_mov_b32 s7, exec_lo
	s_wait_loadcnt_dscnt 0x0
	v_cmpx_ne_u16_e32 0, v4
	s_cbranch_execz .LBB6_14234
; %bb.14225:                            ;   in Loop: Header=BB6_14012 Depth=2
	v_bfrev_b32_e32 v3, 1
	s_mov_b32 s10, exec_lo
	v_cmpx_ne_u16_e32 0xff80, v4
	s_cbranch_execz .LBB6_14233
; %bb.14226:                            ;   in Loop: Header=BB6_14012 Depth=2
	v_and_b32_e32 v3, 0x7c, v4
	v_and_b32_e32 v0, 3, v4
	s_delay_alu instid0(VALU_DEP_2) | instskip(SKIP_1) | instid1(SALU_CYCLE_1)
	v_cmp_ne_u32_e32 vcc_lo, 0x7c, v3
                                        ; implicit-def: $vgpr3
	s_and_saveexec_b32 s11, vcc_lo
	s_xor_b32 s11, exec_lo, s11
	s_cbranch_execz .LBB6_14230
; %bb.14227:                            ;   in Loop: Header=BB6_14012 Depth=2
	v_and_b32_e32 v3, 0xff, v4
	s_mov_b32 s29, exec_lo
	s_delay_alu instid0(VALU_DEP_1) | instskip(NEXT) | instid1(VALU_DEP_1)
	v_bfe_u32 v3, v3, 2, 5
	v_cmpx_eq_u32_e32 0, v3
; %bb.14228:                            ;   in Loop: Header=BB6_14012 Depth=2
	v_clz_i32_u32_e32 v0, v0
	s_delay_alu instid0(VALU_DEP_1) | instskip(SKIP_1) | instid1(VALU_DEP_2)
	v_min_u32_e32 v0, 32, v0
	v_mov_b32_e32 v5, v1
	v_subrev_nc_u32_e32 v3, 29, v0
	s_delay_alu instid0(VALU_DEP_1) | instskip(NEXT) | instid1(VALU_DEP_1)
	v_lshlrev_b64_e32 v[6:7], v3, v[4:5]
	v_dual_sub_nc_u32 v3, 30, v0 :: v_dual_bitop2_b32 v0, 3, v6 bitop3:0x40
; %bb.14229:                            ;   in Loop: Header=BB6_14012 Depth=2
	s_or_b32 exec_lo, exec_lo, s29
	v_bfe_i32 v4, v4, 0, 16
	s_delay_alu instid0(VALU_DEP_1) | instskip(NEXT) | instid1(VALU_DEP_1)
	v_and_b32_e32 v4, 0x80000000, v4
	v_lshl_add_u32 v3, v3, 23, v4
                                        ; implicit-def: $vgpr4
	s_delay_alu instid0(VALU_DEP_1) | instskip(NEXT) | instid1(VALU_DEP_1)
	v_lshl_or_b32 v0, v0, 21, v3
	v_add_nc_u32_e32 v3, 0x38000000, v0
                                        ; implicit-def: $vgpr0
.LBB6_14230:                            ;   in Loop: Header=BB6_14012 Depth=2
	s_and_not1_saveexec_b32 s11, s11
; %bb.14231:                            ;   in Loop: Header=BB6_14012 Depth=2
	v_cmp_lt_i16_e32 vcc_lo, -1, v4
	v_mov_b32_e32 v3, 0x7f800000
	s_delay_alu instid0(VALU_DEP_1) | instskip(SKIP_1) | instid1(VALU_DEP_2)
	v_cndmask_b32_e32 v3, 0xff800000, v3, vcc_lo
	v_cmp_eq_u32_e32 vcc_lo, 0, v0
	v_cndmask_b32_e32 v3, 0x7f800001, v3, vcc_lo
; %bb.14232:                            ;   in Loop: Header=BB6_14012 Depth=2
	s_or_b32 exec_lo, exec_lo, s11
.LBB6_14233:                            ;   in Loop: Header=BB6_14012 Depth=2
	s_delay_alu instid0(SALU_CYCLE_1)
	s_or_b32 exec_lo, exec_lo, s10
.LBB6_14234:                            ;   in Loop: Header=BB6_14012 Depth=2
	s_delay_alu instid0(SALU_CYCLE_1) | instskip(NEXT) | instid1(VALU_DEP_1)
	s_or_b32 exec_lo, exec_lo, s7
	v_dual_mul_f32 v4, s28, v3 :: v_dual_mov_b32 v7, v1
                                        ; implicit-def: $vgpr106
	s_mov_b32 s7, exec_lo
	s_delay_alu instid0(VALU_DEP_1) | instskip(SKIP_1) | instid1(VALU_DEP_2)
	v_and_b32_e32 v6, 0x7f800000, v4
	v_and_b32_e32 v0, 0x7fffff, v4
	v_cmpx_ne_u64_e32 0x7f800000, v[6:7]
	s_xor_b32 s10, exec_lo, s7
	s_cbranch_execz .LBB6_14252
; %bb.14235:                            ;   in Loop: Header=BB6_14012 Depth=2
	v_dual_mov_b32 v7, v1 :: v_dual_lshrrev_b32 v3, 24, v4
	v_and_b32_e32 v6, 0x7fffffff, v4
                                        ; implicit-def: $vgpr106
	s_mov_b32 s7, exec_lo
	s_delay_alu instid0(VALU_DEP_2) | instskip(NEXT) | instid1(VALU_DEP_2)
	v_and_b32_e32 v3, 0x80, v3
	v_cmpx_gt_u64_e32 0x47600001, v[6:7]
	s_xor_b32 s11, exec_lo, s7
	s_cbranch_execz .LBB6_14249
; %bb.14236:                            ;   in Loop: Header=BB6_14012 Depth=2
	v_mov_b32_e32 v106, 0
	s_mov_b32 s29, exec_lo
	v_cmpx_ne_u32_e32 0, v4
	s_cbranch_execz .LBB6_14248
; %bb.14237:                            ;   in Loop: Header=BB6_14012 Depth=2
	v_bfe_u32 v8, v4, 23, 8
	v_or_b32_e32 v6, 0x800000, v0
	s_mov_b32 s40, exec_lo
	s_delay_alu instid0(VALU_DEP_2) | instskip(SKIP_1) | instid1(VALU_DEP_2)
	v_dual_mov_b32 v7, v1 :: v_dual_sub_nc_u32 v4, 0x71, v8
	v_cmp_gt_u32_e32 vcc_lo, 0x72, v8
	v_cndmask_b32_e32 v4, 0, v4, vcc_lo
	v_cmp_eq_u32_e32 vcc_lo, 0, v8
	s_delay_alu instid0(VALU_DEP_2) | instskip(NEXT) | instid1(VALU_DEP_1)
	v_cndmask_b32_e64 v9, v4, 0x70, vcc_lo
	v_dual_cndmask_b32 v6, v6, v0, vcc_lo :: v_dual_add_nc_u32 v4, 21, v9
	v_add_nc_u32_e32 v16, 20, v9
	s_delay_alu instid0(VALU_DEP_2) | instskip(NEXT) | instid1(VALU_DEP_2)
	v_lshlrev_b64_e64 v[4:5], v4, -1
	v_lshlrev_b64_e64 v[16:17], v16, 1
	s_delay_alu instid0(VALU_DEP_2) | instskip(NEXT) | instid1(VALU_DEP_3)
	v_bfi_b32 v19, v5, 0, 0
	v_bfi_b32 v18, v4, 0, v6
	v_lshrrev_b64 v[4:5], v9, v[6:7]
	s_delay_alu instid0(VALU_DEP_1) | instskip(NEXT) | instid1(VALU_DEP_3)
	v_mov_b64_e32 v[6:7], v[4:5]
	v_cmpx_eq_u64_e64 v[18:19], v[16:17]
; %bb.14238:                            ;   in Loop: Header=BB6_14012 Depth=2
	v_bfe_u32 v6, v4, 21, 1
	v_mov_b32_e32 v7, v1
	s_delay_alu instid0(VALU_DEP_1) | instskip(NEXT) | instid1(VALU_DEP_1)
	v_add_nc_u64_e32 v[6:7], v[4:5], v[6:7]
	v_add_nc_u64_e32 v[6:7], -1, v[6:7]
; %bb.14239:                            ;   in Loop: Header=BB6_14012 Depth=2
	s_or_b32 exec_lo, exec_lo, s40
	v_add_nc_u32_e32 v0, 0xffffff81, v8
	s_delay_alu instid0(VALU_DEP_2) | instskip(SKIP_2) | instid1(VALU_DEP_3)
	v_and_b32_e32 v6, 0x1fffff, v6
	v_lshrrev_b32_e32 v5, 23, v4
	s_mov_b32 s7, exec_lo
	v_cndmask_b32_e64 v0, v0, 0xffffff82, vcc_lo
	s_delay_alu instid0(VALU_DEP_1) | instskip(SKIP_1) | instid1(VALU_DEP_2)
	v_add3_u32 v7, v9, v0, v5
	v_add_nc_u32_e32 v0, v6, v4
                                        ; implicit-def: $vgpr4_vgpr5
                                        ; implicit-def: $vgpr6
	v_add_nc_u32_e32 v8, 14, v7
	s_delay_alu instid0(VALU_DEP_1)
	v_cmpx_ne_u32_e32 0, v8
	s_xor_b32 s7, exec_lo, s7
; %bb.14240:                            ;   in Loop: Header=BB6_14012 Depth=2
	s_delay_alu instid0(VALU_DEP_3) | instskip(SKIP_1) | instid1(VALU_DEP_1)
	v_cmp_lt_u64_e32 vcc_lo, 0xffffff, v[0:1]
	v_add_nc_u32_e32 v4, 15, v7
	v_cndmask_b32_e32 v6, v8, v4, vcc_lo
	v_cndmask_b32_e64 v4, 0, 1, vcc_lo
	s_delay_alu instid0(VALU_DEP_1)
	v_lshrrev_b64 v[4:5], v4, v[0:1]
; %bb.14241:                            ;   in Loop: Header=BB6_14012 Depth=2
	s_and_not1_saveexec_b32 s7, s7
; %bb.14242:                            ;   in Loop: Header=BB6_14012 Depth=2
	v_mov_b64_e32 v[4:5], v[0:1]
	v_bfe_u32 v6, v0, 23, 1
; %bb.14243:                            ;   in Loop: Header=BB6_14012 Depth=2
	s_or_b32 exec_lo, exec_lo, s7
	s_delay_alu instid0(VALU_DEP_2) | instskip(NEXT) | instid1(VALU_DEP_2)
	v_lshrrev_b64 v[4:5], 21, v[4:5]
	v_cmp_gt_i32_e32 vcc_lo, 32, v6
	v_cmp_ne_u32_e64 s7, 0, v6
                                        ; implicit-def: $vgpr106
	s_delay_alu instid0(VALU_DEP_3) | instskip(NEXT) | instid1(VALU_DEP_1)
	v_dual_cndmask_b32 v5, 0, v5 :: v_dual_cndmask_b32 v4, 3, v4
	v_cmp_ne_u64_e32 vcc_lo, 0, v[4:5]
	s_or_b32 s7, s7, vcc_lo
	s_delay_alu instid0(SALU_CYCLE_1) | instskip(NEXT) | instid1(SALU_CYCLE_1)
	s_and_saveexec_b32 s40, s7
	s_xor_b32 s7, exec_lo, s40
; %bb.14244:                            ;   in Loop: Header=BB6_14012 Depth=2
	v_min_i32_e32 v0, 31, v6
	s_delay_alu instid0(VALU_DEP_1) | instskip(NEXT) | instid1(VALU_DEP_1)
	v_lshl_or_b32 v0, v0, 2, v3
                                        ; implicit-def: $vgpr3
	v_and_or_b32 v106, v4, 3, v0
; %bb.14245:                            ;   in Loop: Header=BB6_14012 Depth=2
	s_and_not1_saveexec_b32 s7, s7
; %bb.14246:                            ;   in Loop: Header=BB6_14012 Depth=2
	v_mov_b32_e32 v106, v3
; %bb.14247:                            ;   in Loop: Header=BB6_14012 Depth=2
	s_or_b32 exec_lo, exec_lo, s7
.LBB6_14248:                            ;   in Loop: Header=BB6_14012 Depth=2
	s_delay_alu instid0(SALU_CYCLE_1)
	s_or_b32 exec_lo, exec_lo, s29
                                        ; implicit-def: $vgpr3
.LBB6_14249:                            ;   in Loop: Header=BB6_14012 Depth=2
	s_and_not1_saveexec_b32 s7, s11
; %bb.14250:                            ;   in Loop: Header=BB6_14012 Depth=2
	v_or_b32_e32 v106, 0x7b, v3
; %bb.14251:                            ;   in Loop: Header=BB6_14012 Depth=2
	s_or_b32 exec_lo, exec_lo, s7
                                        ; implicit-def: $vgpr4
.LBB6_14252:                            ;   in Loop: Header=BB6_14012 Depth=2
	s_and_not1_saveexec_b32 s7, s10
	s_cbranch_execz .LBB6_14258
; %bb.14253:                            ;   in Loop: Header=BB6_14012 Depth=2
	s_mov_b32 s10, exec_lo
                                        ; implicit-def: $vgpr106
	v_cmpx_ne_u64_e32 0, v[0:1]
	s_xor_b32 s10, exec_lo, s10
; %bb.14254:                            ;   in Loop: Header=BB6_14012 Depth=2
	v_lshrrev_b32_e32 v0, 24, v4
                                        ; implicit-def: $vgpr4
	s_delay_alu instid0(VALU_DEP_1)
	v_or_b32_e32 v106, 0x7f, v0
; %bb.14255:                            ;   in Loop: Header=BB6_14012 Depth=2
	s_and_not1_saveexec_b32 s10, s10
; %bb.14256:                            ;   in Loop: Header=BB6_14012 Depth=2
	v_cmp_lt_i32_e32 vcc_lo, -1, v4
	v_cndmask_b32_e64 v106, -4, 0x7c, vcc_lo
; %bb.14257:                            ;   in Loop: Header=BB6_14012 Depth=2
	s_or_b32 exec_lo, exec_lo, s10
.LBB6_14258:                            ;   in Loop: Header=BB6_14012 Depth=2
	s_delay_alu instid0(SALU_CYCLE_1)
	s_or_b32 exec_lo, exec_lo, s7
	flat_load_i8 v4, v[10:11] offset:224 th:TH_LOAD_NT
	v_mov_b32_e32 v3, 0
	s_mov_b32 s7, exec_lo
	s_wait_loadcnt_dscnt 0x0
	v_cmpx_ne_u16_e32 0, v4
	s_cbranch_execz .LBB6_14268
; %bb.14259:                            ;   in Loop: Header=BB6_14012 Depth=2
	v_bfrev_b32_e32 v3, 1
	s_mov_b32 s10, exec_lo
	v_cmpx_ne_u16_e32 0xff80, v4
	s_cbranch_execz .LBB6_14267
; %bb.14260:                            ;   in Loop: Header=BB6_14012 Depth=2
	v_and_b32_e32 v3, 0x7c, v4
	v_and_b32_e32 v0, 3, v4
	s_delay_alu instid0(VALU_DEP_2) | instskip(SKIP_1) | instid1(SALU_CYCLE_1)
	v_cmp_ne_u32_e32 vcc_lo, 0x7c, v3
                                        ; implicit-def: $vgpr3
	s_and_saveexec_b32 s11, vcc_lo
	s_xor_b32 s11, exec_lo, s11
	s_cbranch_execz .LBB6_14264
; %bb.14261:                            ;   in Loop: Header=BB6_14012 Depth=2
	v_and_b32_e32 v3, 0xff, v4
	s_mov_b32 s29, exec_lo
	s_delay_alu instid0(VALU_DEP_1) | instskip(NEXT) | instid1(VALU_DEP_1)
	v_bfe_u32 v3, v3, 2, 5
	v_cmpx_eq_u32_e32 0, v3
; %bb.14262:                            ;   in Loop: Header=BB6_14012 Depth=2
	v_clz_i32_u32_e32 v0, v0
	s_delay_alu instid0(VALU_DEP_1) | instskip(SKIP_1) | instid1(VALU_DEP_2)
	v_min_u32_e32 v0, 32, v0
	v_mov_b32_e32 v5, v1
	v_subrev_nc_u32_e32 v3, 29, v0
	s_delay_alu instid0(VALU_DEP_1) | instskip(NEXT) | instid1(VALU_DEP_1)
	v_lshlrev_b64_e32 v[6:7], v3, v[4:5]
	v_dual_sub_nc_u32 v3, 30, v0 :: v_dual_bitop2_b32 v0, 3, v6 bitop3:0x40
; %bb.14263:                            ;   in Loop: Header=BB6_14012 Depth=2
	s_or_b32 exec_lo, exec_lo, s29
	v_bfe_i32 v4, v4, 0, 16
	s_delay_alu instid0(VALU_DEP_1) | instskip(NEXT) | instid1(VALU_DEP_1)
	v_and_b32_e32 v4, 0x80000000, v4
	v_lshl_add_u32 v3, v3, 23, v4
                                        ; implicit-def: $vgpr4
	s_delay_alu instid0(VALU_DEP_1) | instskip(NEXT) | instid1(VALU_DEP_1)
	v_lshl_or_b32 v0, v0, 21, v3
	v_add_nc_u32_e32 v3, 0x38000000, v0
                                        ; implicit-def: $vgpr0
.LBB6_14264:                            ;   in Loop: Header=BB6_14012 Depth=2
	s_and_not1_saveexec_b32 s11, s11
; %bb.14265:                            ;   in Loop: Header=BB6_14012 Depth=2
	v_cmp_lt_i16_e32 vcc_lo, -1, v4
	v_mov_b32_e32 v3, 0x7f800000
	s_delay_alu instid0(VALU_DEP_1) | instskip(SKIP_1) | instid1(VALU_DEP_2)
	v_cndmask_b32_e32 v3, 0xff800000, v3, vcc_lo
	v_cmp_eq_u32_e32 vcc_lo, 0, v0
	v_cndmask_b32_e32 v3, 0x7f800001, v3, vcc_lo
; %bb.14266:                            ;   in Loop: Header=BB6_14012 Depth=2
	s_or_b32 exec_lo, exec_lo, s11
.LBB6_14267:                            ;   in Loop: Header=BB6_14012 Depth=2
	s_delay_alu instid0(SALU_CYCLE_1)
	s_or_b32 exec_lo, exec_lo, s10
.LBB6_14268:                            ;   in Loop: Header=BB6_14012 Depth=2
	s_delay_alu instid0(SALU_CYCLE_1) | instskip(NEXT) | instid1(VALU_DEP_1)
	s_or_b32 exec_lo, exec_lo, s7
	v_dual_mul_f32 v4, s28, v3 :: v_dual_mov_b32 v7, v1
                                        ; implicit-def: $vgpr104
	s_mov_b32 s7, exec_lo
	s_delay_alu instid0(VALU_DEP_1) | instskip(SKIP_1) | instid1(VALU_DEP_2)
	v_and_b32_e32 v6, 0x7f800000, v4
	v_and_b32_e32 v0, 0x7fffff, v4
	v_cmpx_ne_u64_e32 0x7f800000, v[6:7]
	s_xor_b32 s10, exec_lo, s7
	s_cbranch_execz .LBB6_14286
; %bb.14269:                            ;   in Loop: Header=BB6_14012 Depth=2
	v_dual_mov_b32 v7, v1 :: v_dual_lshrrev_b32 v3, 24, v4
	v_and_b32_e32 v6, 0x7fffffff, v4
                                        ; implicit-def: $vgpr104
	s_mov_b32 s7, exec_lo
	s_delay_alu instid0(VALU_DEP_2) | instskip(NEXT) | instid1(VALU_DEP_2)
	v_and_b32_e32 v3, 0x80, v3
	v_cmpx_gt_u64_e32 0x47600001, v[6:7]
	s_xor_b32 s11, exec_lo, s7
	s_cbranch_execz .LBB6_14283
; %bb.14270:                            ;   in Loop: Header=BB6_14012 Depth=2
	v_mov_b32_e32 v104, 0
	s_mov_b32 s29, exec_lo
	v_cmpx_ne_u32_e32 0, v4
	s_cbranch_execz .LBB6_14282
; %bb.14271:                            ;   in Loop: Header=BB6_14012 Depth=2
	v_bfe_u32 v8, v4, 23, 8
	v_or_b32_e32 v6, 0x800000, v0
	s_mov_b32 s40, exec_lo
	s_delay_alu instid0(VALU_DEP_2) | instskip(SKIP_1) | instid1(VALU_DEP_2)
	v_dual_mov_b32 v7, v1 :: v_dual_sub_nc_u32 v4, 0x71, v8
	v_cmp_gt_u32_e32 vcc_lo, 0x72, v8
	v_cndmask_b32_e32 v4, 0, v4, vcc_lo
	v_cmp_eq_u32_e32 vcc_lo, 0, v8
	s_delay_alu instid0(VALU_DEP_2) | instskip(NEXT) | instid1(VALU_DEP_1)
	v_cndmask_b32_e64 v9, v4, 0x70, vcc_lo
	v_dual_cndmask_b32 v6, v6, v0, vcc_lo :: v_dual_add_nc_u32 v4, 21, v9
	v_add_nc_u32_e32 v16, 20, v9
	s_delay_alu instid0(VALU_DEP_2) | instskip(NEXT) | instid1(VALU_DEP_2)
	v_lshlrev_b64_e64 v[4:5], v4, -1
	v_lshlrev_b64_e64 v[16:17], v16, 1
	s_delay_alu instid0(VALU_DEP_2) | instskip(NEXT) | instid1(VALU_DEP_3)
	v_bfi_b32 v19, v5, 0, 0
	v_bfi_b32 v18, v4, 0, v6
	v_lshrrev_b64 v[4:5], v9, v[6:7]
	s_delay_alu instid0(VALU_DEP_1) | instskip(NEXT) | instid1(VALU_DEP_3)
	v_mov_b64_e32 v[6:7], v[4:5]
	v_cmpx_eq_u64_e64 v[18:19], v[16:17]
; %bb.14272:                            ;   in Loop: Header=BB6_14012 Depth=2
	v_bfe_u32 v6, v4, 21, 1
	v_mov_b32_e32 v7, v1
	s_delay_alu instid0(VALU_DEP_1) | instskip(NEXT) | instid1(VALU_DEP_1)
	v_add_nc_u64_e32 v[6:7], v[4:5], v[6:7]
	v_add_nc_u64_e32 v[6:7], -1, v[6:7]
; %bb.14273:                            ;   in Loop: Header=BB6_14012 Depth=2
	s_or_b32 exec_lo, exec_lo, s40
	v_add_nc_u32_e32 v0, 0xffffff81, v8
	s_delay_alu instid0(VALU_DEP_2) | instskip(SKIP_2) | instid1(VALU_DEP_3)
	v_and_b32_e32 v6, 0x1fffff, v6
	v_lshrrev_b32_e32 v5, 23, v4
	s_mov_b32 s7, exec_lo
	v_cndmask_b32_e64 v0, v0, 0xffffff82, vcc_lo
	s_delay_alu instid0(VALU_DEP_1) | instskip(SKIP_1) | instid1(VALU_DEP_2)
	v_add3_u32 v7, v9, v0, v5
	v_add_nc_u32_e32 v0, v6, v4
                                        ; implicit-def: $vgpr4_vgpr5
                                        ; implicit-def: $vgpr6
	v_add_nc_u32_e32 v8, 14, v7
	s_delay_alu instid0(VALU_DEP_1)
	v_cmpx_ne_u32_e32 0, v8
	s_xor_b32 s7, exec_lo, s7
; %bb.14274:                            ;   in Loop: Header=BB6_14012 Depth=2
	s_delay_alu instid0(VALU_DEP_3) | instskip(SKIP_1) | instid1(VALU_DEP_1)
	v_cmp_lt_u64_e32 vcc_lo, 0xffffff, v[0:1]
	v_add_nc_u32_e32 v4, 15, v7
	v_cndmask_b32_e32 v6, v8, v4, vcc_lo
	v_cndmask_b32_e64 v4, 0, 1, vcc_lo
	s_delay_alu instid0(VALU_DEP_1)
	v_lshrrev_b64 v[4:5], v4, v[0:1]
; %bb.14275:                            ;   in Loop: Header=BB6_14012 Depth=2
	s_and_not1_saveexec_b32 s7, s7
; %bb.14276:                            ;   in Loop: Header=BB6_14012 Depth=2
	v_mov_b64_e32 v[4:5], v[0:1]
	v_bfe_u32 v6, v0, 23, 1
; %bb.14277:                            ;   in Loop: Header=BB6_14012 Depth=2
	s_or_b32 exec_lo, exec_lo, s7
	s_delay_alu instid0(VALU_DEP_2) | instskip(NEXT) | instid1(VALU_DEP_2)
	v_lshrrev_b64 v[4:5], 21, v[4:5]
	v_cmp_gt_i32_e32 vcc_lo, 32, v6
	v_cmp_ne_u32_e64 s7, 0, v6
                                        ; implicit-def: $vgpr104
	s_delay_alu instid0(VALU_DEP_3) | instskip(NEXT) | instid1(VALU_DEP_1)
	v_dual_cndmask_b32 v5, 0, v5 :: v_dual_cndmask_b32 v4, 3, v4
	v_cmp_ne_u64_e32 vcc_lo, 0, v[4:5]
	s_or_b32 s7, s7, vcc_lo
	s_delay_alu instid0(SALU_CYCLE_1) | instskip(NEXT) | instid1(SALU_CYCLE_1)
	s_and_saveexec_b32 s40, s7
	s_xor_b32 s7, exec_lo, s40
; %bb.14278:                            ;   in Loop: Header=BB6_14012 Depth=2
	v_min_i32_e32 v0, 31, v6
	s_delay_alu instid0(VALU_DEP_1) | instskip(NEXT) | instid1(VALU_DEP_1)
	v_lshl_or_b32 v0, v0, 2, v3
                                        ; implicit-def: $vgpr3
	v_and_or_b32 v104, v4, 3, v0
; %bb.14279:                            ;   in Loop: Header=BB6_14012 Depth=2
	s_and_not1_saveexec_b32 s7, s7
; %bb.14280:                            ;   in Loop: Header=BB6_14012 Depth=2
	v_mov_b32_e32 v104, v3
; %bb.14281:                            ;   in Loop: Header=BB6_14012 Depth=2
	s_or_b32 exec_lo, exec_lo, s7
.LBB6_14282:                            ;   in Loop: Header=BB6_14012 Depth=2
	s_delay_alu instid0(SALU_CYCLE_1)
	s_or_b32 exec_lo, exec_lo, s29
                                        ; implicit-def: $vgpr3
.LBB6_14283:                            ;   in Loop: Header=BB6_14012 Depth=2
	s_and_not1_saveexec_b32 s7, s11
; %bb.14284:                            ;   in Loop: Header=BB6_14012 Depth=2
	v_or_b32_e32 v104, 0x7b, v3
; %bb.14285:                            ;   in Loop: Header=BB6_14012 Depth=2
	s_or_b32 exec_lo, exec_lo, s7
                                        ; implicit-def: $vgpr4
.LBB6_14286:                            ;   in Loop: Header=BB6_14012 Depth=2
	s_and_not1_saveexec_b32 s7, s10
	s_cbranch_execz .LBB6_14292
; %bb.14287:                            ;   in Loop: Header=BB6_14012 Depth=2
	s_mov_b32 s10, exec_lo
                                        ; implicit-def: $vgpr104
	v_cmpx_ne_u64_e32 0, v[0:1]
	s_xor_b32 s10, exec_lo, s10
; %bb.14288:                            ;   in Loop: Header=BB6_14012 Depth=2
	v_lshrrev_b32_e32 v0, 24, v4
                                        ; implicit-def: $vgpr4
	s_delay_alu instid0(VALU_DEP_1)
	v_or_b32_e32 v104, 0x7f, v0
; %bb.14289:                            ;   in Loop: Header=BB6_14012 Depth=2
	s_and_not1_saveexec_b32 s10, s10
; %bb.14290:                            ;   in Loop: Header=BB6_14012 Depth=2
	v_cmp_lt_i32_e32 vcc_lo, -1, v4
	v_cndmask_b32_e64 v104, -4, 0x7c, vcc_lo
; %bb.14291:                            ;   in Loop: Header=BB6_14012 Depth=2
	s_or_b32 exec_lo, exec_lo, s10
.LBB6_14292:                            ;   in Loop: Header=BB6_14012 Depth=2
	s_delay_alu instid0(SALU_CYCLE_1)
	s_or_b32 exec_lo, exec_lo, s7
	flat_load_i8 v4, v[10:11] offset:256 th:TH_LOAD_NT
	v_mov_b32_e32 v3, 0
	s_mov_b32 s7, exec_lo
	s_wait_loadcnt_dscnt 0x0
	v_cmpx_ne_u16_e32 0, v4
	s_cbranch_execz .LBB6_14302
; %bb.14293:                            ;   in Loop: Header=BB6_14012 Depth=2
	v_bfrev_b32_e32 v3, 1
	s_mov_b32 s10, exec_lo
	v_cmpx_ne_u16_e32 0xff80, v4
	s_cbranch_execz .LBB6_14301
; %bb.14294:                            ;   in Loop: Header=BB6_14012 Depth=2
	v_and_b32_e32 v3, 0x7c, v4
	v_and_b32_e32 v0, 3, v4
	s_delay_alu instid0(VALU_DEP_2) | instskip(SKIP_1) | instid1(SALU_CYCLE_1)
	v_cmp_ne_u32_e32 vcc_lo, 0x7c, v3
                                        ; implicit-def: $vgpr3
	s_and_saveexec_b32 s11, vcc_lo
	s_xor_b32 s11, exec_lo, s11
	s_cbranch_execz .LBB6_14298
; %bb.14295:                            ;   in Loop: Header=BB6_14012 Depth=2
	v_and_b32_e32 v3, 0xff, v4
	s_mov_b32 s29, exec_lo
	s_delay_alu instid0(VALU_DEP_1) | instskip(NEXT) | instid1(VALU_DEP_1)
	v_bfe_u32 v3, v3, 2, 5
	v_cmpx_eq_u32_e32 0, v3
; %bb.14296:                            ;   in Loop: Header=BB6_14012 Depth=2
	v_clz_i32_u32_e32 v0, v0
	s_delay_alu instid0(VALU_DEP_1) | instskip(SKIP_1) | instid1(VALU_DEP_2)
	v_min_u32_e32 v0, 32, v0
	v_mov_b32_e32 v5, v1
	v_subrev_nc_u32_e32 v3, 29, v0
	s_delay_alu instid0(VALU_DEP_1) | instskip(NEXT) | instid1(VALU_DEP_1)
	v_lshlrev_b64_e32 v[6:7], v3, v[4:5]
	v_dual_sub_nc_u32 v3, 30, v0 :: v_dual_bitop2_b32 v0, 3, v6 bitop3:0x40
; %bb.14297:                            ;   in Loop: Header=BB6_14012 Depth=2
	s_or_b32 exec_lo, exec_lo, s29
	v_bfe_i32 v4, v4, 0, 16
	s_delay_alu instid0(VALU_DEP_1) | instskip(NEXT) | instid1(VALU_DEP_1)
	v_and_b32_e32 v4, 0x80000000, v4
	v_lshl_add_u32 v3, v3, 23, v4
                                        ; implicit-def: $vgpr4
	s_delay_alu instid0(VALU_DEP_1) | instskip(NEXT) | instid1(VALU_DEP_1)
	v_lshl_or_b32 v0, v0, 21, v3
	v_add_nc_u32_e32 v3, 0x38000000, v0
                                        ; implicit-def: $vgpr0
.LBB6_14298:                            ;   in Loop: Header=BB6_14012 Depth=2
	s_and_not1_saveexec_b32 s11, s11
; %bb.14299:                            ;   in Loop: Header=BB6_14012 Depth=2
	v_cmp_lt_i16_e32 vcc_lo, -1, v4
	v_mov_b32_e32 v3, 0x7f800000
	s_delay_alu instid0(VALU_DEP_1) | instskip(SKIP_1) | instid1(VALU_DEP_2)
	v_cndmask_b32_e32 v3, 0xff800000, v3, vcc_lo
	v_cmp_eq_u32_e32 vcc_lo, 0, v0
	v_cndmask_b32_e32 v3, 0x7f800001, v3, vcc_lo
; %bb.14300:                            ;   in Loop: Header=BB6_14012 Depth=2
	s_or_b32 exec_lo, exec_lo, s11
.LBB6_14301:                            ;   in Loop: Header=BB6_14012 Depth=2
	s_delay_alu instid0(SALU_CYCLE_1)
	s_or_b32 exec_lo, exec_lo, s10
.LBB6_14302:                            ;   in Loop: Header=BB6_14012 Depth=2
	s_delay_alu instid0(SALU_CYCLE_1) | instskip(NEXT) | instid1(VALU_DEP_1)
	s_or_b32 exec_lo, exec_lo, s7
	v_dual_mul_f32 v4, s28, v3 :: v_dual_mov_b32 v7, v1
                                        ; implicit-def: $vgpr92
	s_mov_b32 s7, exec_lo
	s_delay_alu instid0(VALU_DEP_1) | instskip(SKIP_1) | instid1(VALU_DEP_2)
	v_and_b32_e32 v6, 0x7f800000, v4
	v_and_b32_e32 v0, 0x7fffff, v4
	v_cmpx_ne_u64_e32 0x7f800000, v[6:7]
	s_xor_b32 s10, exec_lo, s7
	s_cbranch_execz .LBB6_14320
; %bb.14303:                            ;   in Loop: Header=BB6_14012 Depth=2
	v_dual_mov_b32 v7, v1 :: v_dual_lshrrev_b32 v3, 24, v4
	v_and_b32_e32 v6, 0x7fffffff, v4
                                        ; implicit-def: $vgpr92
	s_mov_b32 s7, exec_lo
	s_delay_alu instid0(VALU_DEP_2) | instskip(NEXT) | instid1(VALU_DEP_2)
	v_and_b32_e32 v3, 0x80, v3
	v_cmpx_gt_u64_e32 0x47600001, v[6:7]
	s_xor_b32 s11, exec_lo, s7
	s_cbranch_execz .LBB6_14317
; %bb.14304:                            ;   in Loop: Header=BB6_14012 Depth=2
	v_mov_b32_e32 v92, 0
	s_mov_b32 s29, exec_lo
	v_cmpx_ne_u32_e32 0, v4
	s_cbranch_execz .LBB6_14316
; %bb.14305:                            ;   in Loop: Header=BB6_14012 Depth=2
	v_bfe_u32 v8, v4, 23, 8
	v_or_b32_e32 v6, 0x800000, v0
	s_mov_b32 s40, exec_lo
	s_delay_alu instid0(VALU_DEP_2) | instskip(SKIP_1) | instid1(VALU_DEP_2)
	v_dual_mov_b32 v7, v1 :: v_dual_sub_nc_u32 v4, 0x71, v8
	v_cmp_gt_u32_e32 vcc_lo, 0x72, v8
	v_cndmask_b32_e32 v4, 0, v4, vcc_lo
	v_cmp_eq_u32_e32 vcc_lo, 0, v8
	s_delay_alu instid0(VALU_DEP_2) | instskip(NEXT) | instid1(VALU_DEP_1)
	v_cndmask_b32_e64 v9, v4, 0x70, vcc_lo
	v_dual_cndmask_b32 v6, v6, v0, vcc_lo :: v_dual_add_nc_u32 v4, 21, v9
	v_add_nc_u32_e32 v16, 20, v9
	s_delay_alu instid0(VALU_DEP_2) | instskip(NEXT) | instid1(VALU_DEP_2)
	v_lshlrev_b64_e64 v[4:5], v4, -1
	v_lshlrev_b64_e64 v[16:17], v16, 1
	s_delay_alu instid0(VALU_DEP_2) | instskip(NEXT) | instid1(VALU_DEP_3)
	v_bfi_b32 v19, v5, 0, 0
	v_bfi_b32 v18, v4, 0, v6
	v_lshrrev_b64 v[4:5], v9, v[6:7]
	s_delay_alu instid0(VALU_DEP_1) | instskip(NEXT) | instid1(VALU_DEP_3)
	v_mov_b64_e32 v[6:7], v[4:5]
	v_cmpx_eq_u64_e64 v[18:19], v[16:17]
; %bb.14306:                            ;   in Loop: Header=BB6_14012 Depth=2
	v_bfe_u32 v6, v4, 21, 1
	v_mov_b32_e32 v7, v1
	s_delay_alu instid0(VALU_DEP_1) | instskip(NEXT) | instid1(VALU_DEP_1)
	v_add_nc_u64_e32 v[6:7], v[4:5], v[6:7]
	v_add_nc_u64_e32 v[6:7], -1, v[6:7]
; %bb.14307:                            ;   in Loop: Header=BB6_14012 Depth=2
	s_or_b32 exec_lo, exec_lo, s40
	v_add_nc_u32_e32 v0, 0xffffff81, v8
	s_delay_alu instid0(VALU_DEP_2) | instskip(SKIP_2) | instid1(VALU_DEP_3)
	v_and_b32_e32 v6, 0x1fffff, v6
	v_lshrrev_b32_e32 v5, 23, v4
	s_mov_b32 s7, exec_lo
	v_cndmask_b32_e64 v0, v0, 0xffffff82, vcc_lo
	s_delay_alu instid0(VALU_DEP_1) | instskip(SKIP_1) | instid1(VALU_DEP_2)
	v_add3_u32 v7, v9, v0, v5
	v_add_nc_u32_e32 v0, v6, v4
                                        ; implicit-def: $vgpr4_vgpr5
                                        ; implicit-def: $vgpr6
	v_add_nc_u32_e32 v8, 14, v7
	s_delay_alu instid0(VALU_DEP_1)
	v_cmpx_ne_u32_e32 0, v8
	s_xor_b32 s7, exec_lo, s7
; %bb.14308:                            ;   in Loop: Header=BB6_14012 Depth=2
	s_delay_alu instid0(VALU_DEP_3) | instskip(SKIP_1) | instid1(VALU_DEP_1)
	v_cmp_lt_u64_e32 vcc_lo, 0xffffff, v[0:1]
	v_add_nc_u32_e32 v4, 15, v7
	v_cndmask_b32_e32 v6, v8, v4, vcc_lo
	v_cndmask_b32_e64 v4, 0, 1, vcc_lo
	s_delay_alu instid0(VALU_DEP_1)
	v_lshrrev_b64 v[4:5], v4, v[0:1]
; %bb.14309:                            ;   in Loop: Header=BB6_14012 Depth=2
	s_and_not1_saveexec_b32 s7, s7
; %bb.14310:                            ;   in Loop: Header=BB6_14012 Depth=2
	v_mov_b64_e32 v[4:5], v[0:1]
	v_bfe_u32 v6, v0, 23, 1
; %bb.14311:                            ;   in Loop: Header=BB6_14012 Depth=2
	s_or_b32 exec_lo, exec_lo, s7
	s_delay_alu instid0(VALU_DEP_2) | instskip(NEXT) | instid1(VALU_DEP_2)
	v_lshrrev_b64 v[4:5], 21, v[4:5]
	v_cmp_gt_i32_e32 vcc_lo, 32, v6
	v_cmp_ne_u32_e64 s7, 0, v6
                                        ; implicit-def: $vgpr92
	s_delay_alu instid0(VALU_DEP_3) | instskip(NEXT) | instid1(VALU_DEP_1)
	v_dual_cndmask_b32 v5, 0, v5 :: v_dual_cndmask_b32 v4, 3, v4
	v_cmp_ne_u64_e32 vcc_lo, 0, v[4:5]
	s_or_b32 s7, s7, vcc_lo
	s_delay_alu instid0(SALU_CYCLE_1) | instskip(NEXT) | instid1(SALU_CYCLE_1)
	s_and_saveexec_b32 s40, s7
	s_xor_b32 s7, exec_lo, s40
; %bb.14312:                            ;   in Loop: Header=BB6_14012 Depth=2
	v_min_i32_e32 v0, 31, v6
	s_delay_alu instid0(VALU_DEP_1) | instskip(NEXT) | instid1(VALU_DEP_1)
	v_lshl_or_b32 v0, v0, 2, v3
                                        ; implicit-def: $vgpr3
	v_and_or_b32 v92, v4, 3, v0
; %bb.14313:                            ;   in Loop: Header=BB6_14012 Depth=2
	s_and_not1_saveexec_b32 s7, s7
; %bb.14314:                            ;   in Loop: Header=BB6_14012 Depth=2
	v_mov_b32_e32 v92, v3
; %bb.14315:                            ;   in Loop: Header=BB6_14012 Depth=2
	s_or_b32 exec_lo, exec_lo, s7
.LBB6_14316:                            ;   in Loop: Header=BB6_14012 Depth=2
	s_delay_alu instid0(SALU_CYCLE_1)
	s_or_b32 exec_lo, exec_lo, s29
                                        ; implicit-def: $vgpr3
.LBB6_14317:                            ;   in Loop: Header=BB6_14012 Depth=2
	s_and_not1_saveexec_b32 s7, s11
; %bb.14318:                            ;   in Loop: Header=BB6_14012 Depth=2
	v_or_b32_e32 v92, 0x7b, v3
; %bb.14319:                            ;   in Loop: Header=BB6_14012 Depth=2
	s_or_b32 exec_lo, exec_lo, s7
                                        ; implicit-def: $vgpr4
.LBB6_14320:                            ;   in Loop: Header=BB6_14012 Depth=2
	s_and_not1_saveexec_b32 s7, s10
	s_cbranch_execz .LBB6_14326
; %bb.14321:                            ;   in Loop: Header=BB6_14012 Depth=2
	s_mov_b32 s10, exec_lo
                                        ; implicit-def: $vgpr92
	v_cmpx_ne_u64_e32 0, v[0:1]
	s_xor_b32 s10, exec_lo, s10
; %bb.14322:                            ;   in Loop: Header=BB6_14012 Depth=2
	v_lshrrev_b32_e32 v0, 24, v4
                                        ; implicit-def: $vgpr4
	s_delay_alu instid0(VALU_DEP_1)
	v_or_b32_e32 v92, 0x7f, v0
; %bb.14323:                            ;   in Loop: Header=BB6_14012 Depth=2
	s_and_not1_saveexec_b32 s10, s10
; %bb.14324:                            ;   in Loop: Header=BB6_14012 Depth=2
	v_cmp_lt_i32_e32 vcc_lo, -1, v4
	v_cndmask_b32_e64 v92, -4, 0x7c, vcc_lo
; %bb.14325:                            ;   in Loop: Header=BB6_14012 Depth=2
	s_or_b32 exec_lo, exec_lo, s10
.LBB6_14326:                            ;   in Loop: Header=BB6_14012 Depth=2
	s_delay_alu instid0(SALU_CYCLE_1)
	s_or_b32 exec_lo, exec_lo, s7
	flat_load_i8 v4, v[10:11] offset:288 th:TH_LOAD_NT
	v_mov_b32_e32 v3, 0
	s_mov_b32 s7, exec_lo
	s_wait_loadcnt_dscnt 0x0
	v_cmpx_ne_u16_e32 0, v4
	s_cbranch_execz .LBB6_14336
; %bb.14327:                            ;   in Loop: Header=BB6_14012 Depth=2
	v_bfrev_b32_e32 v3, 1
	s_mov_b32 s10, exec_lo
	v_cmpx_ne_u16_e32 0xff80, v4
	s_cbranch_execz .LBB6_14335
; %bb.14328:                            ;   in Loop: Header=BB6_14012 Depth=2
	v_and_b32_e32 v3, 0x7c, v4
	v_and_b32_e32 v0, 3, v4
	s_delay_alu instid0(VALU_DEP_2) | instskip(SKIP_1) | instid1(SALU_CYCLE_1)
	v_cmp_ne_u32_e32 vcc_lo, 0x7c, v3
                                        ; implicit-def: $vgpr3
	s_and_saveexec_b32 s11, vcc_lo
	s_xor_b32 s11, exec_lo, s11
	s_cbranch_execz .LBB6_14332
; %bb.14329:                            ;   in Loop: Header=BB6_14012 Depth=2
	v_and_b32_e32 v3, 0xff, v4
	s_mov_b32 s29, exec_lo
	s_delay_alu instid0(VALU_DEP_1) | instskip(NEXT) | instid1(VALU_DEP_1)
	v_bfe_u32 v3, v3, 2, 5
	v_cmpx_eq_u32_e32 0, v3
; %bb.14330:                            ;   in Loop: Header=BB6_14012 Depth=2
	v_clz_i32_u32_e32 v0, v0
	s_delay_alu instid0(VALU_DEP_1) | instskip(SKIP_1) | instid1(VALU_DEP_2)
	v_min_u32_e32 v0, 32, v0
	v_mov_b32_e32 v5, v1
	v_subrev_nc_u32_e32 v3, 29, v0
	s_delay_alu instid0(VALU_DEP_1) | instskip(NEXT) | instid1(VALU_DEP_1)
	v_lshlrev_b64_e32 v[6:7], v3, v[4:5]
	v_dual_sub_nc_u32 v3, 30, v0 :: v_dual_bitop2_b32 v0, 3, v6 bitop3:0x40
; %bb.14331:                            ;   in Loop: Header=BB6_14012 Depth=2
	s_or_b32 exec_lo, exec_lo, s29
	v_bfe_i32 v4, v4, 0, 16
	s_delay_alu instid0(VALU_DEP_1) | instskip(NEXT) | instid1(VALU_DEP_1)
	v_and_b32_e32 v4, 0x80000000, v4
	v_lshl_add_u32 v3, v3, 23, v4
                                        ; implicit-def: $vgpr4
	s_delay_alu instid0(VALU_DEP_1) | instskip(NEXT) | instid1(VALU_DEP_1)
	v_lshl_or_b32 v0, v0, 21, v3
	v_add_nc_u32_e32 v3, 0x38000000, v0
                                        ; implicit-def: $vgpr0
.LBB6_14332:                            ;   in Loop: Header=BB6_14012 Depth=2
	s_and_not1_saveexec_b32 s11, s11
; %bb.14333:                            ;   in Loop: Header=BB6_14012 Depth=2
	v_cmp_lt_i16_e32 vcc_lo, -1, v4
	v_mov_b32_e32 v3, 0x7f800000
	s_delay_alu instid0(VALU_DEP_1) | instskip(SKIP_1) | instid1(VALU_DEP_2)
	v_cndmask_b32_e32 v3, 0xff800000, v3, vcc_lo
	v_cmp_eq_u32_e32 vcc_lo, 0, v0
	v_cndmask_b32_e32 v3, 0x7f800001, v3, vcc_lo
; %bb.14334:                            ;   in Loop: Header=BB6_14012 Depth=2
	s_or_b32 exec_lo, exec_lo, s11
.LBB6_14335:                            ;   in Loop: Header=BB6_14012 Depth=2
	s_delay_alu instid0(SALU_CYCLE_1)
	s_or_b32 exec_lo, exec_lo, s10
.LBB6_14336:                            ;   in Loop: Header=BB6_14012 Depth=2
	s_delay_alu instid0(SALU_CYCLE_1) | instskip(NEXT) | instid1(VALU_DEP_1)
	s_or_b32 exec_lo, exec_lo, s7
	v_dual_mul_f32 v4, s28, v3 :: v_dual_mov_b32 v7, v1
                                        ; implicit-def: $vgpr90
	s_mov_b32 s7, exec_lo
	s_delay_alu instid0(VALU_DEP_1) | instskip(SKIP_1) | instid1(VALU_DEP_2)
	v_and_b32_e32 v6, 0x7f800000, v4
	v_and_b32_e32 v0, 0x7fffff, v4
	v_cmpx_ne_u64_e32 0x7f800000, v[6:7]
	s_xor_b32 s10, exec_lo, s7
	s_cbranch_execz .LBB6_14354
; %bb.14337:                            ;   in Loop: Header=BB6_14012 Depth=2
	v_dual_mov_b32 v7, v1 :: v_dual_lshrrev_b32 v3, 24, v4
	v_and_b32_e32 v6, 0x7fffffff, v4
                                        ; implicit-def: $vgpr90
	s_mov_b32 s7, exec_lo
	s_delay_alu instid0(VALU_DEP_2) | instskip(NEXT) | instid1(VALU_DEP_2)
	v_and_b32_e32 v3, 0x80, v3
	v_cmpx_gt_u64_e32 0x47600001, v[6:7]
	s_xor_b32 s11, exec_lo, s7
	s_cbranch_execz .LBB6_14351
; %bb.14338:                            ;   in Loop: Header=BB6_14012 Depth=2
	v_mov_b32_e32 v90, 0
	s_mov_b32 s29, exec_lo
	v_cmpx_ne_u32_e32 0, v4
	s_cbranch_execz .LBB6_14350
; %bb.14339:                            ;   in Loop: Header=BB6_14012 Depth=2
	v_bfe_u32 v8, v4, 23, 8
	v_or_b32_e32 v6, 0x800000, v0
	s_mov_b32 s40, exec_lo
	s_delay_alu instid0(VALU_DEP_2) | instskip(SKIP_1) | instid1(VALU_DEP_2)
	v_dual_mov_b32 v7, v1 :: v_dual_sub_nc_u32 v4, 0x71, v8
	v_cmp_gt_u32_e32 vcc_lo, 0x72, v8
	v_cndmask_b32_e32 v4, 0, v4, vcc_lo
	v_cmp_eq_u32_e32 vcc_lo, 0, v8
	s_delay_alu instid0(VALU_DEP_2) | instskip(NEXT) | instid1(VALU_DEP_1)
	v_cndmask_b32_e64 v9, v4, 0x70, vcc_lo
	v_dual_cndmask_b32 v6, v6, v0, vcc_lo :: v_dual_add_nc_u32 v4, 21, v9
	v_add_nc_u32_e32 v16, 20, v9
	s_delay_alu instid0(VALU_DEP_2) | instskip(NEXT) | instid1(VALU_DEP_2)
	v_lshlrev_b64_e64 v[4:5], v4, -1
	v_lshlrev_b64_e64 v[16:17], v16, 1
	s_delay_alu instid0(VALU_DEP_2) | instskip(NEXT) | instid1(VALU_DEP_3)
	v_bfi_b32 v19, v5, 0, 0
	v_bfi_b32 v18, v4, 0, v6
	v_lshrrev_b64 v[4:5], v9, v[6:7]
	s_delay_alu instid0(VALU_DEP_1) | instskip(NEXT) | instid1(VALU_DEP_3)
	v_mov_b64_e32 v[6:7], v[4:5]
	v_cmpx_eq_u64_e64 v[18:19], v[16:17]
; %bb.14340:                            ;   in Loop: Header=BB6_14012 Depth=2
	v_bfe_u32 v6, v4, 21, 1
	v_mov_b32_e32 v7, v1
	s_delay_alu instid0(VALU_DEP_1) | instskip(NEXT) | instid1(VALU_DEP_1)
	v_add_nc_u64_e32 v[6:7], v[4:5], v[6:7]
	v_add_nc_u64_e32 v[6:7], -1, v[6:7]
; %bb.14341:                            ;   in Loop: Header=BB6_14012 Depth=2
	s_or_b32 exec_lo, exec_lo, s40
	v_add_nc_u32_e32 v0, 0xffffff81, v8
	s_delay_alu instid0(VALU_DEP_2) | instskip(SKIP_2) | instid1(VALU_DEP_3)
	v_and_b32_e32 v6, 0x1fffff, v6
	v_lshrrev_b32_e32 v5, 23, v4
	s_mov_b32 s7, exec_lo
	v_cndmask_b32_e64 v0, v0, 0xffffff82, vcc_lo
	s_delay_alu instid0(VALU_DEP_1) | instskip(SKIP_1) | instid1(VALU_DEP_2)
	v_add3_u32 v7, v9, v0, v5
	v_add_nc_u32_e32 v0, v6, v4
                                        ; implicit-def: $vgpr4_vgpr5
                                        ; implicit-def: $vgpr6
	v_add_nc_u32_e32 v8, 14, v7
	s_delay_alu instid0(VALU_DEP_1)
	v_cmpx_ne_u32_e32 0, v8
	s_xor_b32 s7, exec_lo, s7
; %bb.14342:                            ;   in Loop: Header=BB6_14012 Depth=2
	s_delay_alu instid0(VALU_DEP_3) | instskip(SKIP_1) | instid1(VALU_DEP_1)
	v_cmp_lt_u64_e32 vcc_lo, 0xffffff, v[0:1]
	v_add_nc_u32_e32 v4, 15, v7
	v_cndmask_b32_e32 v6, v8, v4, vcc_lo
	v_cndmask_b32_e64 v4, 0, 1, vcc_lo
	s_delay_alu instid0(VALU_DEP_1)
	v_lshrrev_b64 v[4:5], v4, v[0:1]
; %bb.14343:                            ;   in Loop: Header=BB6_14012 Depth=2
	s_and_not1_saveexec_b32 s7, s7
; %bb.14344:                            ;   in Loop: Header=BB6_14012 Depth=2
	v_mov_b64_e32 v[4:5], v[0:1]
	v_bfe_u32 v6, v0, 23, 1
; %bb.14345:                            ;   in Loop: Header=BB6_14012 Depth=2
	s_or_b32 exec_lo, exec_lo, s7
	s_delay_alu instid0(VALU_DEP_2) | instskip(NEXT) | instid1(VALU_DEP_2)
	v_lshrrev_b64 v[4:5], 21, v[4:5]
	v_cmp_gt_i32_e32 vcc_lo, 32, v6
	v_cmp_ne_u32_e64 s7, 0, v6
                                        ; implicit-def: $vgpr90
	s_delay_alu instid0(VALU_DEP_3) | instskip(NEXT) | instid1(VALU_DEP_1)
	v_dual_cndmask_b32 v5, 0, v5 :: v_dual_cndmask_b32 v4, 3, v4
	v_cmp_ne_u64_e32 vcc_lo, 0, v[4:5]
	s_or_b32 s7, s7, vcc_lo
	s_delay_alu instid0(SALU_CYCLE_1) | instskip(NEXT) | instid1(SALU_CYCLE_1)
	s_and_saveexec_b32 s40, s7
	s_xor_b32 s7, exec_lo, s40
; %bb.14346:                            ;   in Loop: Header=BB6_14012 Depth=2
	v_min_i32_e32 v0, 31, v6
	s_delay_alu instid0(VALU_DEP_1) | instskip(NEXT) | instid1(VALU_DEP_1)
	v_lshl_or_b32 v0, v0, 2, v3
                                        ; implicit-def: $vgpr3
	v_and_or_b32 v90, v4, 3, v0
; %bb.14347:                            ;   in Loop: Header=BB6_14012 Depth=2
	s_and_not1_saveexec_b32 s7, s7
; %bb.14348:                            ;   in Loop: Header=BB6_14012 Depth=2
	v_mov_b32_e32 v90, v3
; %bb.14349:                            ;   in Loop: Header=BB6_14012 Depth=2
	s_or_b32 exec_lo, exec_lo, s7
.LBB6_14350:                            ;   in Loop: Header=BB6_14012 Depth=2
	s_delay_alu instid0(SALU_CYCLE_1)
	s_or_b32 exec_lo, exec_lo, s29
                                        ; implicit-def: $vgpr3
.LBB6_14351:                            ;   in Loop: Header=BB6_14012 Depth=2
	s_and_not1_saveexec_b32 s7, s11
; %bb.14352:                            ;   in Loop: Header=BB6_14012 Depth=2
	v_or_b32_e32 v90, 0x7b, v3
; %bb.14353:                            ;   in Loop: Header=BB6_14012 Depth=2
	s_or_b32 exec_lo, exec_lo, s7
                                        ; implicit-def: $vgpr4
.LBB6_14354:                            ;   in Loop: Header=BB6_14012 Depth=2
	s_and_not1_saveexec_b32 s7, s10
	s_cbranch_execz .LBB6_14360
; %bb.14355:                            ;   in Loop: Header=BB6_14012 Depth=2
	s_mov_b32 s10, exec_lo
                                        ; implicit-def: $vgpr90
	v_cmpx_ne_u64_e32 0, v[0:1]
	s_xor_b32 s10, exec_lo, s10
; %bb.14356:                            ;   in Loop: Header=BB6_14012 Depth=2
	v_lshrrev_b32_e32 v0, 24, v4
                                        ; implicit-def: $vgpr4
	s_delay_alu instid0(VALU_DEP_1)
	v_or_b32_e32 v90, 0x7f, v0
; %bb.14357:                            ;   in Loop: Header=BB6_14012 Depth=2
	s_and_not1_saveexec_b32 s10, s10
; %bb.14358:                            ;   in Loop: Header=BB6_14012 Depth=2
	v_cmp_lt_i32_e32 vcc_lo, -1, v4
	v_cndmask_b32_e64 v90, -4, 0x7c, vcc_lo
; %bb.14359:                            ;   in Loop: Header=BB6_14012 Depth=2
	s_or_b32 exec_lo, exec_lo, s10
.LBB6_14360:                            ;   in Loop: Header=BB6_14012 Depth=2
	s_delay_alu instid0(SALU_CYCLE_1)
	s_or_b32 exec_lo, exec_lo, s7
	flat_load_i8 v4, v[10:11] offset:320 th:TH_LOAD_NT
	v_mov_b32_e32 v3, 0
	s_mov_b32 s7, exec_lo
	s_wait_loadcnt_dscnt 0x0
	v_cmpx_ne_u16_e32 0, v4
	s_cbranch_execz .LBB6_14370
; %bb.14361:                            ;   in Loop: Header=BB6_14012 Depth=2
	v_bfrev_b32_e32 v3, 1
	s_mov_b32 s10, exec_lo
	v_cmpx_ne_u16_e32 0xff80, v4
	s_cbranch_execz .LBB6_14369
; %bb.14362:                            ;   in Loop: Header=BB6_14012 Depth=2
	v_and_b32_e32 v3, 0x7c, v4
	v_and_b32_e32 v0, 3, v4
	s_delay_alu instid0(VALU_DEP_2) | instskip(SKIP_1) | instid1(SALU_CYCLE_1)
	v_cmp_ne_u32_e32 vcc_lo, 0x7c, v3
                                        ; implicit-def: $vgpr3
	s_and_saveexec_b32 s11, vcc_lo
	s_xor_b32 s11, exec_lo, s11
	s_cbranch_execz .LBB6_14366
; %bb.14363:                            ;   in Loop: Header=BB6_14012 Depth=2
	v_and_b32_e32 v3, 0xff, v4
	s_mov_b32 s29, exec_lo
	s_delay_alu instid0(VALU_DEP_1) | instskip(NEXT) | instid1(VALU_DEP_1)
	v_bfe_u32 v3, v3, 2, 5
	v_cmpx_eq_u32_e32 0, v3
; %bb.14364:                            ;   in Loop: Header=BB6_14012 Depth=2
	v_clz_i32_u32_e32 v0, v0
	s_delay_alu instid0(VALU_DEP_1) | instskip(SKIP_1) | instid1(VALU_DEP_2)
	v_min_u32_e32 v0, 32, v0
	v_mov_b32_e32 v5, v1
	v_subrev_nc_u32_e32 v3, 29, v0
	s_delay_alu instid0(VALU_DEP_1) | instskip(NEXT) | instid1(VALU_DEP_1)
	v_lshlrev_b64_e32 v[6:7], v3, v[4:5]
	v_dual_sub_nc_u32 v3, 30, v0 :: v_dual_bitop2_b32 v0, 3, v6 bitop3:0x40
; %bb.14365:                            ;   in Loop: Header=BB6_14012 Depth=2
	s_or_b32 exec_lo, exec_lo, s29
	v_bfe_i32 v4, v4, 0, 16
	s_delay_alu instid0(VALU_DEP_1) | instskip(NEXT) | instid1(VALU_DEP_1)
	v_and_b32_e32 v4, 0x80000000, v4
	v_lshl_add_u32 v3, v3, 23, v4
                                        ; implicit-def: $vgpr4
	s_delay_alu instid0(VALU_DEP_1) | instskip(NEXT) | instid1(VALU_DEP_1)
	v_lshl_or_b32 v0, v0, 21, v3
	v_add_nc_u32_e32 v3, 0x38000000, v0
                                        ; implicit-def: $vgpr0
.LBB6_14366:                            ;   in Loop: Header=BB6_14012 Depth=2
	s_and_not1_saveexec_b32 s11, s11
; %bb.14367:                            ;   in Loop: Header=BB6_14012 Depth=2
	v_cmp_lt_i16_e32 vcc_lo, -1, v4
	v_mov_b32_e32 v3, 0x7f800000
	s_delay_alu instid0(VALU_DEP_1) | instskip(SKIP_1) | instid1(VALU_DEP_2)
	v_cndmask_b32_e32 v3, 0xff800000, v3, vcc_lo
	v_cmp_eq_u32_e32 vcc_lo, 0, v0
	v_cndmask_b32_e32 v3, 0x7f800001, v3, vcc_lo
; %bb.14368:                            ;   in Loop: Header=BB6_14012 Depth=2
	s_or_b32 exec_lo, exec_lo, s11
.LBB6_14369:                            ;   in Loop: Header=BB6_14012 Depth=2
	s_delay_alu instid0(SALU_CYCLE_1)
	s_or_b32 exec_lo, exec_lo, s10
.LBB6_14370:                            ;   in Loop: Header=BB6_14012 Depth=2
	s_delay_alu instid0(SALU_CYCLE_1) | instskip(NEXT) | instid1(VALU_DEP_1)
	s_or_b32 exec_lo, exec_lo, s7
	v_dual_mul_f32 v4, s28, v3 :: v_dual_mov_b32 v7, v1
                                        ; implicit-def: $vgpr88
	s_mov_b32 s7, exec_lo
	s_delay_alu instid0(VALU_DEP_1) | instskip(SKIP_1) | instid1(VALU_DEP_2)
	v_and_b32_e32 v6, 0x7f800000, v4
	v_and_b32_e32 v0, 0x7fffff, v4
	v_cmpx_ne_u64_e32 0x7f800000, v[6:7]
	s_xor_b32 s10, exec_lo, s7
	s_cbranch_execz .LBB6_14388
; %bb.14371:                            ;   in Loop: Header=BB6_14012 Depth=2
	v_dual_mov_b32 v7, v1 :: v_dual_lshrrev_b32 v3, 24, v4
	v_and_b32_e32 v6, 0x7fffffff, v4
                                        ; implicit-def: $vgpr88
	s_mov_b32 s7, exec_lo
	s_delay_alu instid0(VALU_DEP_2) | instskip(NEXT) | instid1(VALU_DEP_2)
	v_and_b32_e32 v3, 0x80, v3
	v_cmpx_gt_u64_e32 0x47600001, v[6:7]
	s_xor_b32 s11, exec_lo, s7
	s_cbranch_execz .LBB6_14385
; %bb.14372:                            ;   in Loop: Header=BB6_14012 Depth=2
	v_mov_b32_e32 v88, 0
	s_mov_b32 s29, exec_lo
	v_cmpx_ne_u32_e32 0, v4
	s_cbranch_execz .LBB6_14384
; %bb.14373:                            ;   in Loop: Header=BB6_14012 Depth=2
	v_bfe_u32 v8, v4, 23, 8
	v_or_b32_e32 v6, 0x800000, v0
	s_mov_b32 s40, exec_lo
	s_delay_alu instid0(VALU_DEP_2) | instskip(SKIP_1) | instid1(VALU_DEP_2)
	v_dual_mov_b32 v7, v1 :: v_dual_sub_nc_u32 v4, 0x71, v8
	v_cmp_gt_u32_e32 vcc_lo, 0x72, v8
	v_cndmask_b32_e32 v4, 0, v4, vcc_lo
	v_cmp_eq_u32_e32 vcc_lo, 0, v8
	s_delay_alu instid0(VALU_DEP_2) | instskip(NEXT) | instid1(VALU_DEP_1)
	v_cndmask_b32_e64 v9, v4, 0x70, vcc_lo
	v_dual_cndmask_b32 v6, v6, v0, vcc_lo :: v_dual_add_nc_u32 v4, 21, v9
	v_add_nc_u32_e32 v16, 20, v9
	s_delay_alu instid0(VALU_DEP_2) | instskip(NEXT) | instid1(VALU_DEP_2)
	v_lshlrev_b64_e64 v[4:5], v4, -1
	v_lshlrev_b64_e64 v[16:17], v16, 1
	s_delay_alu instid0(VALU_DEP_2) | instskip(NEXT) | instid1(VALU_DEP_3)
	v_bfi_b32 v19, v5, 0, 0
	v_bfi_b32 v18, v4, 0, v6
	v_lshrrev_b64 v[4:5], v9, v[6:7]
	s_delay_alu instid0(VALU_DEP_1) | instskip(NEXT) | instid1(VALU_DEP_3)
	v_mov_b64_e32 v[6:7], v[4:5]
	v_cmpx_eq_u64_e64 v[18:19], v[16:17]
; %bb.14374:                            ;   in Loop: Header=BB6_14012 Depth=2
	v_bfe_u32 v6, v4, 21, 1
	v_mov_b32_e32 v7, v1
	s_delay_alu instid0(VALU_DEP_1) | instskip(NEXT) | instid1(VALU_DEP_1)
	v_add_nc_u64_e32 v[6:7], v[4:5], v[6:7]
	v_add_nc_u64_e32 v[6:7], -1, v[6:7]
; %bb.14375:                            ;   in Loop: Header=BB6_14012 Depth=2
	s_or_b32 exec_lo, exec_lo, s40
	v_add_nc_u32_e32 v0, 0xffffff81, v8
	s_delay_alu instid0(VALU_DEP_2) | instskip(SKIP_2) | instid1(VALU_DEP_3)
	v_and_b32_e32 v6, 0x1fffff, v6
	v_lshrrev_b32_e32 v5, 23, v4
	s_mov_b32 s7, exec_lo
	v_cndmask_b32_e64 v0, v0, 0xffffff82, vcc_lo
	s_delay_alu instid0(VALU_DEP_1) | instskip(SKIP_1) | instid1(VALU_DEP_2)
	v_add3_u32 v7, v9, v0, v5
	v_add_nc_u32_e32 v0, v6, v4
                                        ; implicit-def: $vgpr4_vgpr5
                                        ; implicit-def: $vgpr6
	v_add_nc_u32_e32 v8, 14, v7
	s_delay_alu instid0(VALU_DEP_1)
	v_cmpx_ne_u32_e32 0, v8
	s_xor_b32 s7, exec_lo, s7
; %bb.14376:                            ;   in Loop: Header=BB6_14012 Depth=2
	s_delay_alu instid0(VALU_DEP_3) | instskip(SKIP_1) | instid1(VALU_DEP_1)
	v_cmp_lt_u64_e32 vcc_lo, 0xffffff, v[0:1]
	v_add_nc_u32_e32 v4, 15, v7
	v_cndmask_b32_e32 v6, v8, v4, vcc_lo
	v_cndmask_b32_e64 v4, 0, 1, vcc_lo
	s_delay_alu instid0(VALU_DEP_1)
	v_lshrrev_b64 v[4:5], v4, v[0:1]
; %bb.14377:                            ;   in Loop: Header=BB6_14012 Depth=2
	s_and_not1_saveexec_b32 s7, s7
; %bb.14378:                            ;   in Loop: Header=BB6_14012 Depth=2
	v_mov_b64_e32 v[4:5], v[0:1]
	v_bfe_u32 v6, v0, 23, 1
; %bb.14379:                            ;   in Loop: Header=BB6_14012 Depth=2
	s_or_b32 exec_lo, exec_lo, s7
	s_delay_alu instid0(VALU_DEP_2) | instskip(NEXT) | instid1(VALU_DEP_2)
	v_lshrrev_b64 v[4:5], 21, v[4:5]
	v_cmp_gt_i32_e32 vcc_lo, 32, v6
	v_cmp_ne_u32_e64 s7, 0, v6
                                        ; implicit-def: $vgpr88
	s_delay_alu instid0(VALU_DEP_3) | instskip(NEXT) | instid1(VALU_DEP_1)
	v_dual_cndmask_b32 v5, 0, v5 :: v_dual_cndmask_b32 v4, 3, v4
	v_cmp_ne_u64_e32 vcc_lo, 0, v[4:5]
	s_or_b32 s7, s7, vcc_lo
	s_delay_alu instid0(SALU_CYCLE_1) | instskip(NEXT) | instid1(SALU_CYCLE_1)
	s_and_saveexec_b32 s40, s7
	s_xor_b32 s7, exec_lo, s40
; %bb.14380:                            ;   in Loop: Header=BB6_14012 Depth=2
	v_min_i32_e32 v0, 31, v6
	s_delay_alu instid0(VALU_DEP_1) | instskip(NEXT) | instid1(VALU_DEP_1)
	v_lshl_or_b32 v0, v0, 2, v3
                                        ; implicit-def: $vgpr3
	v_and_or_b32 v88, v4, 3, v0
; %bb.14381:                            ;   in Loop: Header=BB6_14012 Depth=2
	s_and_not1_saveexec_b32 s7, s7
; %bb.14382:                            ;   in Loop: Header=BB6_14012 Depth=2
	v_mov_b32_e32 v88, v3
; %bb.14383:                            ;   in Loop: Header=BB6_14012 Depth=2
	s_or_b32 exec_lo, exec_lo, s7
.LBB6_14384:                            ;   in Loop: Header=BB6_14012 Depth=2
	s_delay_alu instid0(SALU_CYCLE_1)
	s_or_b32 exec_lo, exec_lo, s29
                                        ; implicit-def: $vgpr3
.LBB6_14385:                            ;   in Loop: Header=BB6_14012 Depth=2
	s_and_not1_saveexec_b32 s7, s11
; %bb.14386:                            ;   in Loop: Header=BB6_14012 Depth=2
	v_or_b32_e32 v88, 0x7b, v3
; %bb.14387:                            ;   in Loop: Header=BB6_14012 Depth=2
	s_or_b32 exec_lo, exec_lo, s7
                                        ; implicit-def: $vgpr4
.LBB6_14388:                            ;   in Loop: Header=BB6_14012 Depth=2
	s_and_not1_saveexec_b32 s7, s10
	s_cbranch_execz .LBB6_14394
; %bb.14389:                            ;   in Loop: Header=BB6_14012 Depth=2
	s_mov_b32 s10, exec_lo
                                        ; implicit-def: $vgpr88
	v_cmpx_ne_u64_e32 0, v[0:1]
	s_xor_b32 s10, exec_lo, s10
; %bb.14390:                            ;   in Loop: Header=BB6_14012 Depth=2
	v_lshrrev_b32_e32 v0, 24, v4
                                        ; implicit-def: $vgpr4
	s_delay_alu instid0(VALU_DEP_1)
	v_or_b32_e32 v88, 0x7f, v0
; %bb.14391:                            ;   in Loop: Header=BB6_14012 Depth=2
	s_and_not1_saveexec_b32 s10, s10
; %bb.14392:                            ;   in Loop: Header=BB6_14012 Depth=2
	v_cmp_lt_i32_e32 vcc_lo, -1, v4
	v_cndmask_b32_e64 v88, -4, 0x7c, vcc_lo
; %bb.14393:                            ;   in Loop: Header=BB6_14012 Depth=2
	s_or_b32 exec_lo, exec_lo, s10
.LBB6_14394:                            ;   in Loop: Header=BB6_14012 Depth=2
	s_delay_alu instid0(SALU_CYCLE_1)
	s_or_b32 exec_lo, exec_lo, s7
	flat_load_i8 v4, v[10:11] offset:352 th:TH_LOAD_NT
	v_mov_b32_e32 v3, 0
	s_mov_b32 s7, exec_lo
	s_wait_loadcnt_dscnt 0x0
	v_cmpx_ne_u16_e32 0, v4
	s_cbranch_execz .LBB6_14404
; %bb.14395:                            ;   in Loop: Header=BB6_14012 Depth=2
	v_bfrev_b32_e32 v3, 1
	s_mov_b32 s10, exec_lo
	v_cmpx_ne_u16_e32 0xff80, v4
	s_cbranch_execz .LBB6_14403
; %bb.14396:                            ;   in Loop: Header=BB6_14012 Depth=2
	v_and_b32_e32 v3, 0x7c, v4
	v_and_b32_e32 v0, 3, v4
	s_delay_alu instid0(VALU_DEP_2) | instskip(SKIP_1) | instid1(SALU_CYCLE_1)
	v_cmp_ne_u32_e32 vcc_lo, 0x7c, v3
                                        ; implicit-def: $vgpr3
	s_and_saveexec_b32 s11, vcc_lo
	s_xor_b32 s11, exec_lo, s11
	s_cbranch_execz .LBB6_14400
; %bb.14397:                            ;   in Loop: Header=BB6_14012 Depth=2
	v_and_b32_e32 v3, 0xff, v4
	s_mov_b32 s29, exec_lo
	s_delay_alu instid0(VALU_DEP_1) | instskip(NEXT) | instid1(VALU_DEP_1)
	v_bfe_u32 v3, v3, 2, 5
	v_cmpx_eq_u32_e32 0, v3
; %bb.14398:                            ;   in Loop: Header=BB6_14012 Depth=2
	v_clz_i32_u32_e32 v0, v0
	s_delay_alu instid0(VALU_DEP_1) | instskip(SKIP_1) | instid1(VALU_DEP_2)
	v_min_u32_e32 v0, 32, v0
	v_mov_b32_e32 v5, v1
	v_subrev_nc_u32_e32 v3, 29, v0
	s_delay_alu instid0(VALU_DEP_1) | instskip(NEXT) | instid1(VALU_DEP_1)
	v_lshlrev_b64_e32 v[6:7], v3, v[4:5]
	v_dual_sub_nc_u32 v3, 30, v0 :: v_dual_bitop2_b32 v0, 3, v6 bitop3:0x40
; %bb.14399:                            ;   in Loop: Header=BB6_14012 Depth=2
	s_or_b32 exec_lo, exec_lo, s29
	v_bfe_i32 v4, v4, 0, 16
	s_delay_alu instid0(VALU_DEP_1) | instskip(NEXT) | instid1(VALU_DEP_1)
	v_and_b32_e32 v4, 0x80000000, v4
	v_lshl_add_u32 v3, v3, 23, v4
                                        ; implicit-def: $vgpr4
	s_delay_alu instid0(VALU_DEP_1) | instskip(NEXT) | instid1(VALU_DEP_1)
	v_lshl_or_b32 v0, v0, 21, v3
	v_add_nc_u32_e32 v3, 0x38000000, v0
                                        ; implicit-def: $vgpr0
.LBB6_14400:                            ;   in Loop: Header=BB6_14012 Depth=2
	s_and_not1_saveexec_b32 s11, s11
; %bb.14401:                            ;   in Loop: Header=BB6_14012 Depth=2
	v_cmp_lt_i16_e32 vcc_lo, -1, v4
	v_mov_b32_e32 v3, 0x7f800000
	s_delay_alu instid0(VALU_DEP_1) | instskip(SKIP_1) | instid1(VALU_DEP_2)
	v_cndmask_b32_e32 v3, 0xff800000, v3, vcc_lo
	v_cmp_eq_u32_e32 vcc_lo, 0, v0
	v_cndmask_b32_e32 v3, 0x7f800001, v3, vcc_lo
; %bb.14402:                            ;   in Loop: Header=BB6_14012 Depth=2
	s_or_b32 exec_lo, exec_lo, s11
.LBB6_14403:                            ;   in Loop: Header=BB6_14012 Depth=2
	s_delay_alu instid0(SALU_CYCLE_1)
	s_or_b32 exec_lo, exec_lo, s10
.LBB6_14404:                            ;   in Loop: Header=BB6_14012 Depth=2
	s_delay_alu instid0(SALU_CYCLE_1) | instskip(NEXT) | instid1(VALU_DEP_1)
	s_or_b32 exec_lo, exec_lo, s7
	v_dual_mul_f32 v4, s28, v3 :: v_dual_mov_b32 v7, v1
                                        ; implicit-def: $vgpr78
	s_mov_b32 s7, exec_lo
	s_delay_alu instid0(VALU_DEP_1) | instskip(SKIP_1) | instid1(VALU_DEP_2)
	v_and_b32_e32 v6, 0x7f800000, v4
	v_and_b32_e32 v0, 0x7fffff, v4
	v_cmpx_ne_u64_e32 0x7f800000, v[6:7]
	s_xor_b32 s10, exec_lo, s7
	s_cbranch_execz .LBB6_14422
; %bb.14405:                            ;   in Loop: Header=BB6_14012 Depth=2
	v_dual_mov_b32 v7, v1 :: v_dual_lshrrev_b32 v3, 24, v4
	v_and_b32_e32 v6, 0x7fffffff, v4
                                        ; implicit-def: $vgpr78
	s_mov_b32 s7, exec_lo
	s_delay_alu instid0(VALU_DEP_2) | instskip(NEXT) | instid1(VALU_DEP_2)
	v_and_b32_e32 v3, 0x80, v3
	v_cmpx_gt_u64_e32 0x47600001, v[6:7]
	s_xor_b32 s11, exec_lo, s7
	s_cbranch_execz .LBB6_14419
; %bb.14406:                            ;   in Loop: Header=BB6_14012 Depth=2
	v_mov_b32_e32 v78, 0
	s_mov_b32 s29, exec_lo
	v_cmpx_ne_u32_e32 0, v4
	s_cbranch_execz .LBB6_14418
; %bb.14407:                            ;   in Loop: Header=BB6_14012 Depth=2
	v_bfe_u32 v8, v4, 23, 8
	v_or_b32_e32 v6, 0x800000, v0
	s_mov_b32 s40, exec_lo
	s_delay_alu instid0(VALU_DEP_2) | instskip(SKIP_1) | instid1(VALU_DEP_2)
	v_dual_mov_b32 v7, v1 :: v_dual_sub_nc_u32 v4, 0x71, v8
	v_cmp_gt_u32_e32 vcc_lo, 0x72, v8
	v_cndmask_b32_e32 v4, 0, v4, vcc_lo
	v_cmp_eq_u32_e32 vcc_lo, 0, v8
	s_delay_alu instid0(VALU_DEP_2) | instskip(NEXT) | instid1(VALU_DEP_1)
	v_cndmask_b32_e64 v9, v4, 0x70, vcc_lo
	v_dual_cndmask_b32 v6, v6, v0, vcc_lo :: v_dual_add_nc_u32 v4, 21, v9
	v_add_nc_u32_e32 v16, 20, v9
	s_delay_alu instid0(VALU_DEP_2) | instskip(NEXT) | instid1(VALU_DEP_2)
	v_lshlrev_b64_e64 v[4:5], v4, -1
	v_lshlrev_b64_e64 v[16:17], v16, 1
	s_delay_alu instid0(VALU_DEP_2) | instskip(NEXT) | instid1(VALU_DEP_3)
	v_bfi_b32 v19, v5, 0, 0
	v_bfi_b32 v18, v4, 0, v6
	v_lshrrev_b64 v[4:5], v9, v[6:7]
	s_delay_alu instid0(VALU_DEP_1) | instskip(NEXT) | instid1(VALU_DEP_3)
	v_mov_b64_e32 v[6:7], v[4:5]
	v_cmpx_eq_u64_e64 v[18:19], v[16:17]
; %bb.14408:                            ;   in Loop: Header=BB6_14012 Depth=2
	v_bfe_u32 v6, v4, 21, 1
	v_mov_b32_e32 v7, v1
	s_delay_alu instid0(VALU_DEP_1) | instskip(NEXT) | instid1(VALU_DEP_1)
	v_add_nc_u64_e32 v[6:7], v[4:5], v[6:7]
	v_add_nc_u64_e32 v[6:7], -1, v[6:7]
; %bb.14409:                            ;   in Loop: Header=BB6_14012 Depth=2
	s_or_b32 exec_lo, exec_lo, s40
	v_add_nc_u32_e32 v0, 0xffffff81, v8
	s_delay_alu instid0(VALU_DEP_2) | instskip(SKIP_2) | instid1(VALU_DEP_3)
	v_and_b32_e32 v6, 0x1fffff, v6
	v_lshrrev_b32_e32 v5, 23, v4
	s_mov_b32 s7, exec_lo
	v_cndmask_b32_e64 v0, v0, 0xffffff82, vcc_lo
	s_delay_alu instid0(VALU_DEP_1) | instskip(SKIP_1) | instid1(VALU_DEP_2)
	v_add3_u32 v7, v9, v0, v5
	v_add_nc_u32_e32 v0, v6, v4
                                        ; implicit-def: $vgpr4_vgpr5
                                        ; implicit-def: $vgpr6
	v_add_nc_u32_e32 v8, 14, v7
	s_delay_alu instid0(VALU_DEP_1)
	v_cmpx_ne_u32_e32 0, v8
	s_xor_b32 s7, exec_lo, s7
; %bb.14410:                            ;   in Loop: Header=BB6_14012 Depth=2
	s_delay_alu instid0(VALU_DEP_3) | instskip(SKIP_1) | instid1(VALU_DEP_1)
	v_cmp_lt_u64_e32 vcc_lo, 0xffffff, v[0:1]
	v_add_nc_u32_e32 v4, 15, v7
	v_cndmask_b32_e32 v6, v8, v4, vcc_lo
	v_cndmask_b32_e64 v4, 0, 1, vcc_lo
	s_delay_alu instid0(VALU_DEP_1)
	v_lshrrev_b64 v[4:5], v4, v[0:1]
; %bb.14411:                            ;   in Loop: Header=BB6_14012 Depth=2
	s_and_not1_saveexec_b32 s7, s7
; %bb.14412:                            ;   in Loop: Header=BB6_14012 Depth=2
	v_mov_b64_e32 v[4:5], v[0:1]
	v_bfe_u32 v6, v0, 23, 1
; %bb.14413:                            ;   in Loop: Header=BB6_14012 Depth=2
	s_or_b32 exec_lo, exec_lo, s7
	s_delay_alu instid0(VALU_DEP_2) | instskip(NEXT) | instid1(VALU_DEP_2)
	v_lshrrev_b64 v[4:5], 21, v[4:5]
	v_cmp_gt_i32_e32 vcc_lo, 32, v6
	v_cmp_ne_u32_e64 s7, 0, v6
                                        ; implicit-def: $vgpr78
	s_delay_alu instid0(VALU_DEP_3) | instskip(NEXT) | instid1(VALU_DEP_1)
	v_dual_cndmask_b32 v5, 0, v5 :: v_dual_cndmask_b32 v4, 3, v4
	v_cmp_ne_u64_e32 vcc_lo, 0, v[4:5]
	s_or_b32 s7, s7, vcc_lo
	s_delay_alu instid0(SALU_CYCLE_1) | instskip(NEXT) | instid1(SALU_CYCLE_1)
	s_and_saveexec_b32 s40, s7
	s_xor_b32 s7, exec_lo, s40
; %bb.14414:                            ;   in Loop: Header=BB6_14012 Depth=2
	v_min_i32_e32 v0, 31, v6
	s_delay_alu instid0(VALU_DEP_1) | instskip(NEXT) | instid1(VALU_DEP_1)
	v_lshl_or_b32 v0, v0, 2, v3
                                        ; implicit-def: $vgpr3
	v_and_or_b32 v78, v4, 3, v0
; %bb.14415:                            ;   in Loop: Header=BB6_14012 Depth=2
	s_and_not1_saveexec_b32 s7, s7
; %bb.14416:                            ;   in Loop: Header=BB6_14012 Depth=2
	v_mov_b32_e32 v78, v3
; %bb.14417:                            ;   in Loop: Header=BB6_14012 Depth=2
	s_or_b32 exec_lo, exec_lo, s7
.LBB6_14418:                            ;   in Loop: Header=BB6_14012 Depth=2
	s_delay_alu instid0(SALU_CYCLE_1)
	s_or_b32 exec_lo, exec_lo, s29
                                        ; implicit-def: $vgpr3
.LBB6_14419:                            ;   in Loop: Header=BB6_14012 Depth=2
	s_and_not1_saveexec_b32 s7, s11
; %bb.14420:                            ;   in Loop: Header=BB6_14012 Depth=2
	v_or_b32_e32 v78, 0x7b, v3
; %bb.14421:                            ;   in Loop: Header=BB6_14012 Depth=2
	s_or_b32 exec_lo, exec_lo, s7
                                        ; implicit-def: $vgpr4
.LBB6_14422:                            ;   in Loop: Header=BB6_14012 Depth=2
	s_and_not1_saveexec_b32 s7, s10
	s_cbranch_execz .LBB6_14428
; %bb.14423:                            ;   in Loop: Header=BB6_14012 Depth=2
	s_mov_b32 s10, exec_lo
                                        ; implicit-def: $vgpr78
	v_cmpx_ne_u64_e32 0, v[0:1]
	s_xor_b32 s10, exec_lo, s10
; %bb.14424:                            ;   in Loop: Header=BB6_14012 Depth=2
	v_lshrrev_b32_e32 v0, 24, v4
                                        ; implicit-def: $vgpr4
	s_delay_alu instid0(VALU_DEP_1)
	v_or_b32_e32 v78, 0x7f, v0
; %bb.14425:                            ;   in Loop: Header=BB6_14012 Depth=2
	s_and_not1_saveexec_b32 s10, s10
; %bb.14426:                            ;   in Loop: Header=BB6_14012 Depth=2
	v_cmp_lt_i32_e32 vcc_lo, -1, v4
	v_cndmask_b32_e64 v78, -4, 0x7c, vcc_lo
; %bb.14427:                            ;   in Loop: Header=BB6_14012 Depth=2
	s_or_b32 exec_lo, exec_lo, s10
.LBB6_14428:                            ;   in Loop: Header=BB6_14012 Depth=2
	s_delay_alu instid0(SALU_CYCLE_1)
	s_or_b32 exec_lo, exec_lo, s7
	flat_load_i8 v4, v[10:11] offset:384 th:TH_LOAD_NT
	v_mov_b32_e32 v3, 0
	s_mov_b32 s7, exec_lo
	s_wait_loadcnt_dscnt 0x0
	v_cmpx_ne_u16_e32 0, v4
	s_cbranch_execz .LBB6_14438
; %bb.14429:                            ;   in Loop: Header=BB6_14012 Depth=2
	v_bfrev_b32_e32 v3, 1
	s_mov_b32 s10, exec_lo
	v_cmpx_ne_u16_e32 0xff80, v4
	s_cbranch_execz .LBB6_14437
; %bb.14430:                            ;   in Loop: Header=BB6_14012 Depth=2
	v_and_b32_e32 v3, 0x7c, v4
	v_and_b32_e32 v0, 3, v4
	s_delay_alu instid0(VALU_DEP_2) | instskip(SKIP_1) | instid1(SALU_CYCLE_1)
	v_cmp_ne_u32_e32 vcc_lo, 0x7c, v3
                                        ; implicit-def: $vgpr3
	s_and_saveexec_b32 s11, vcc_lo
	s_xor_b32 s11, exec_lo, s11
	s_cbranch_execz .LBB6_14434
; %bb.14431:                            ;   in Loop: Header=BB6_14012 Depth=2
	v_and_b32_e32 v3, 0xff, v4
	s_mov_b32 s29, exec_lo
	s_delay_alu instid0(VALU_DEP_1) | instskip(NEXT) | instid1(VALU_DEP_1)
	v_bfe_u32 v3, v3, 2, 5
	v_cmpx_eq_u32_e32 0, v3
; %bb.14432:                            ;   in Loop: Header=BB6_14012 Depth=2
	v_clz_i32_u32_e32 v0, v0
	s_delay_alu instid0(VALU_DEP_1) | instskip(SKIP_1) | instid1(VALU_DEP_2)
	v_min_u32_e32 v0, 32, v0
	v_mov_b32_e32 v5, v1
	v_subrev_nc_u32_e32 v3, 29, v0
	s_delay_alu instid0(VALU_DEP_1) | instskip(NEXT) | instid1(VALU_DEP_1)
	v_lshlrev_b64_e32 v[6:7], v3, v[4:5]
	v_dual_sub_nc_u32 v3, 30, v0 :: v_dual_bitop2_b32 v0, 3, v6 bitop3:0x40
; %bb.14433:                            ;   in Loop: Header=BB6_14012 Depth=2
	s_or_b32 exec_lo, exec_lo, s29
	v_bfe_i32 v4, v4, 0, 16
	s_delay_alu instid0(VALU_DEP_1) | instskip(NEXT) | instid1(VALU_DEP_1)
	v_and_b32_e32 v4, 0x80000000, v4
	v_lshl_add_u32 v3, v3, 23, v4
                                        ; implicit-def: $vgpr4
	s_delay_alu instid0(VALU_DEP_1) | instskip(NEXT) | instid1(VALU_DEP_1)
	v_lshl_or_b32 v0, v0, 21, v3
	v_add_nc_u32_e32 v3, 0x38000000, v0
                                        ; implicit-def: $vgpr0
.LBB6_14434:                            ;   in Loop: Header=BB6_14012 Depth=2
	s_and_not1_saveexec_b32 s11, s11
; %bb.14435:                            ;   in Loop: Header=BB6_14012 Depth=2
	v_cmp_lt_i16_e32 vcc_lo, -1, v4
	v_mov_b32_e32 v3, 0x7f800000
	s_delay_alu instid0(VALU_DEP_1) | instskip(SKIP_1) | instid1(VALU_DEP_2)
	v_cndmask_b32_e32 v3, 0xff800000, v3, vcc_lo
	v_cmp_eq_u32_e32 vcc_lo, 0, v0
	v_cndmask_b32_e32 v3, 0x7f800001, v3, vcc_lo
; %bb.14436:                            ;   in Loop: Header=BB6_14012 Depth=2
	s_or_b32 exec_lo, exec_lo, s11
.LBB6_14437:                            ;   in Loop: Header=BB6_14012 Depth=2
	s_delay_alu instid0(SALU_CYCLE_1)
	s_or_b32 exec_lo, exec_lo, s10
.LBB6_14438:                            ;   in Loop: Header=BB6_14012 Depth=2
	s_delay_alu instid0(SALU_CYCLE_1) | instskip(NEXT) | instid1(VALU_DEP_1)
	s_or_b32 exec_lo, exec_lo, s7
	v_dual_mul_f32 v4, s28, v3 :: v_dual_mov_b32 v7, v1
                                        ; implicit-def: $vgpr74
	s_mov_b32 s7, exec_lo
	s_delay_alu instid0(VALU_DEP_1) | instskip(SKIP_1) | instid1(VALU_DEP_2)
	v_and_b32_e32 v6, 0x7f800000, v4
	v_and_b32_e32 v0, 0x7fffff, v4
	v_cmpx_ne_u64_e32 0x7f800000, v[6:7]
	s_xor_b32 s10, exec_lo, s7
	s_cbranch_execz .LBB6_14456
; %bb.14439:                            ;   in Loop: Header=BB6_14012 Depth=2
	v_dual_mov_b32 v7, v1 :: v_dual_lshrrev_b32 v3, 24, v4
	v_and_b32_e32 v6, 0x7fffffff, v4
                                        ; implicit-def: $vgpr74
	s_mov_b32 s7, exec_lo
	s_delay_alu instid0(VALU_DEP_2) | instskip(NEXT) | instid1(VALU_DEP_2)
	v_and_b32_e32 v3, 0x80, v3
	v_cmpx_gt_u64_e32 0x47600001, v[6:7]
	s_xor_b32 s11, exec_lo, s7
	s_cbranch_execz .LBB6_14453
; %bb.14440:                            ;   in Loop: Header=BB6_14012 Depth=2
	v_mov_b32_e32 v74, 0
	s_mov_b32 s29, exec_lo
	v_cmpx_ne_u32_e32 0, v4
	s_cbranch_execz .LBB6_14452
; %bb.14441:                            ;   in Loop: Header=BB6_14012 Depth=2
	v_bfe_u32 v8, v4, 23, 8
	v_or_b32_e32 v6, 0x800000, v0
	s_mov_b32 s40, exec_lo
	s_delay_alu instid0(VALU_DEP_2) | instskip(SKIP_1) | instid1(VALU_DEP_2)
	v_dual_mov_b32 v7, v1 :: v_dual_sub_nc_u32 v4, 0x71, v8
	v_cmp_gt_u32_e32 vcc_lo, 0x72, v8
	v_cndmask_b32_e32 v4, 0, v4, vcc_lo
	v_cmp_eq_u32_e32 vcc_lo, 0, v8
	s_delay_alu instid0(VALU_DEP_2) | instskip(NEXT) | instid1(VALU_DEP_1)
	v_cndmask_b32_e64 v9, v4, 0x70, vcc_lo
	v_dual_cndmask_b32 v6, v6, v0, vcc_lo :: v_dual_add_nc_u32 v4, 21, v9
	v_add_nc_u32_e32 v16, 20, v9
	s_delay_alu instid0(VALU_DEP_2) | instskip(NEXT) | instid1(VALU_DEP_2)
	v_lshlrev_b64_e64 v[4:5], v4, -1
	v_lshlrev_b64_e64 v[16:17], v16, 1
	s_delay_alu instid0(VALU_DEP_2) | instskip(NEXT) | instid1(VALU_DEP_3)
	v_bfi_b32 v19, v5, 0, 0
	v_bfi_b32 v18, v4, 0, v6
	v_lshrrev_b64 v[4:5], v9, v[6:7]
	s_delay_alu instid0(VALU_DEP_1) | instskip(NEXT) | instid1(VALU_DEP_3)
	v_mov_b64_e32 v[6:7], v[4:5]
	v_cmpx_eq_u64_e64 v[18:19], v[16:17]
; %bb.14442:                            ;   in Loop: Header=BB6_14012 Depth=2
	v_bfe_u32 v6, v4, 21, 1
	v_mov_b32_e32 v7, v1
	s_delay_alu instid0(VALU_DEP_1) | instskip(NEXT) | instid1(VALU_DEP_1)
	v_add_nc_u64_e32 v[6:7], v[4:5], v[6:7]
	v_add_nc_u64_e32 v[6:7], -1, v[6:7]
; %bb.14443:                            ;   in Loop: Header=BB6_14012 Depth=2
	s_or_b32 exec_lo, exec_lo, s40
	v_add_nc_u32_e32 v0, 0xffffff81, v8
	s_delay_alu instid0(VALU_DEP_2) | instskip(SKIP_2) | instid1(VALU_DEP_3)
	v_and_b32_e32 v6, 0x1fffff, v6
	v_lshrrev_b32_e32 v5, 23, v4
	s_mov_b32 s7, exec_lo
	v_cndmask_b32_e64 v0, v0, 0xffffff82, vcc_lo
	s_delay_alu instid0(VALU_DEP_1) | instskip(SKIP_1) | instid1(VALU_DEP_2)
	v_add3_u32 v7, v9, v0, v5
	v_add_nc_u32_e32 v0, v6, v4
                                        ; implicit-def: $vgpr4_vgpr5
                                        ; implicit-def: $vgpr6
	v_add_nc_u32_e32 v8, 14, v7
	s_delay_alu instid0(VALU_DEP_1)
	v_cmpx_ne_u32_e32 0, v8
	s_xor_b32 s7, exec_lo, s7
; %bb.14444:                            ;   in Loop: Header=BB6_14012 Depth=2
	s_delay_alu instid0(VALU_DEP_3) | instskip(SKIP_1) | instid1(VALU_DEP_1)
	v_cmp_lt_u64_e32 vcc_lo, 0xffffff, v[0:1]
	v_add_nc_u32_e32 v4, 15, v7
	v_cndmask_b32_e32 v6, v8, v4, vcc_lo
	v_cndmask_b32_e64 v4, 0, 1, vcc_lo
	s_delay_alu instid0(VALU_DEP_1)
	v_lshrrev_b64 v[4:5], v4, v[0:1]
; %bb.14445:                            ;   in Loop: Header=BB6_14012 Depth=2
	s_and_not1_saveexec_b32 s7, s7
; %bb.14446:                            ;   in Loop: Header=BB6_14012 Depth=2
	v_mov_b64_e32 v[4:5], v[0:1]
	v_bfe_u32 v6, v0, 23, 1
; %bb.14447:                            ;   in Loop: Header=BB6_14012 Depth=2
	s_or_b32 exec_lo, exec_lo, s7
	s_delay_alu instid0(VALU_DEP_2) | instskip(NEXT) | instid1(VALU_DEP_2)
	v_lshrrev_b64 v[4:5], 21, v[4:5]
	v_cmp_gt_i32_e32 vcc_lo, 32, v6
	v_cmp_ne_u32_e64 s7, 0, v6
                                        ; implicit-def: $vgpr74
	s_delay_alu instid0(VALU_DEP_3) | instskip(NEXT) | instid1(VALU_DEP_1)
	v_dual_cndmask_b32 v5, 0, v5 :: v_dual_cndmask_b32 v4, 3, v4
	v_cmp_ne_u64_e32 vcc_lo, 0, v[4:5]
	s_or_b32 s7, s7, vcc_lo
	s_delay_alu instid0(SALU_CYCLE_1) | instskip(NEXT) | instid1(SALU_CYCLE_1)
	s_and_saveexec_b32 s40, s7
	s_xor_b32 s7, exec_lo, s40
; %bb.14448:                            ;   in Loop: Header=BB6_14012 Depth=2
	v_min_i32_e32 v0, 31, v6
	s_delay_alu instid0(VALU_DEP_1) | instskip(NEXT) | instid1(VALU_DEP_1)
	v_lshl_or_b32 v0, v0, 2, v3
                                        ; implicit-def: $vgpr3
	v_and_or_b32 v74, v4, 3, v0
; %bb.14449:                            ;   in Loop: Header=BB6_14012 Depth=2
	s_and_not1_saveexec_b32 s7, s7
; %bb.14450:                            ;   in Loop: Header=BB6_14012 Depth=2
	v_mov_b32_e32 v74, v3
; %bb.14451:                            ;   in Loop: Header=BB6_14012 Depth=2
	s_or_b32 exec_lo, exec_lo, s7
.LBB6_14452:                            ;   in Loop: Header=BB6_14012 Depth=2
	s_delay_alu instid0(SALU_CYCLE_1)
	s_or_b32 exec_lo, exec_lo, s29
                                        ; implicit-def: $vgpr3
.LBB6_14453:                            ;   in Loop: Header=BB6_14012 Depth=2
	s_and_not1_saveexec_b32 s7, s11
; %bb.14454:                            ;   in Loop: Header=BB6_14012 Depth=2
	v_or_b32_e32 v74, 0x7b, v3
; %bb.14455:                            ;   in Loop: Header=BB6_14012 Depth=2
	s_or_b32 exec_lo, exec_lo, s7
                                        ; implicit-def: $vgpr4
.LBB6_14456:                            ;   in Loop: Header=BB6_14012 Depth=2
	s_and_not1_saveexec_b32 s7, s10
	s_cbranch_execz .LBB6_14462
; %bb.14457:                            ;   in Loop: Header=BB6_14012 Depth=2
	s_mov_b32 s10, exec_lo
                                        ; implicit-def: $vgpr74
	v_cmpx_ne_u64_e32 0, v[0:1]
	s_xor_b32 s10, exec_lo, s10
; %bb.14458:                            ;   in Loop: Header=BB6_14012 Depth=2
	v_lshrrev_b32_e32 v0, 24, v4
                                        ; implicit-def: $vgpr4
	s_delay_alu instid0(VALU_DEP_1)
	v_or_b32_e32 v74, 0x7f, v0
; %bb.14459:                            ;   in Loop: Header=BB6_14012 Depth=2
	s_and_not1_saveexec_b32 s10, s10
; %bb.14460:                            ;   in Loop: Header=BB6_14012 Depth=2
	v_cmp_lt_i32_e32 vcc_lo, -1, v4
	v_cndmask_b32_e64 v74, -4, 0x7c, vcc_lo
; %bb.14461:                            ;   in Loop: Header=BB6_14012 Depth=2
	s_or_b32 exec_lo, exec_lo, s10
.LBB6_14462:                            ;   in Loop: Header=BB6_14012 Depth=2
	s_delay_alu instid0(SALU_CYCLE_1)
	s_or_b32 exec_lo, exec_lo, s7
	flat_load_i8 v4, v[10:11] offset:416 th:TH_LOAD_NT
	v_mov_b32_e32 v3, 0
	s_mov_b32 s7, exec_lo
	s_wait_loadcnt_dscnt 0x0
	v_cmpx_ne_u16_e32 0, v4
	s_cbranch_execz .LBB6_14472
; %bb.14463:                            ;   in Loop: Header=BB6_14012 Depth=2
	v_bfrev_b32_e32 v3, 1
	s_mov_b32 s10, exec_lo
	v_cmpx_ne_u16_e32 0xff80, v4
	s_cbranch_execz .LBB6_14471
; %bb.14464:                            ;   in Loop: Header=BB6_14012 Depth=2
	v_and_b32_e32 v3, 0x7c, v4
	v_and_b32_e32 v0, 3, v4
	s_delay_alu instid0(VALU_DEP_2) | instskip(SKIP_1) | instid1(SALU_CYCLE_1)
	v_cmp_ne_u32_e32 vcc_lo, 0x7c, v3
                                        ; implicit-def: $vgpr3
	s_and_saveexec_b32 s11, vcc_lo
	s_xor_b32 s11, exec_lo, s11
	s_cbranch_execz .LBB6_14468
; %bb.14465:                            ;   in Loop: Header=BB6_14012 Depth=2
	v_and_b32_e32 v3, 0xff, v4
	s_mov_b32 s29, exec_lo
	s_delay_alu instid0(VALU_DEP_1) | instskip(NEXT) | instid1(VALU_DEP_1)
	v_bfe_u32 v3, v3, 2, 5
	v_cmpx_eq_u32_e32 0, v3
; %bb.14466:                            ;   in Loop: Header=BB6_14012 Depth=2
	v_clz_i32_u32_e32 v0, v0
	s_delay_alu instid0(VALU_DEP_1) | instskip(SKIP_1) | instid1(VALU_DEP_2)
	v_min_u32_e32 v0, 32, v0
	v_mov_b32_e32 v5, v1
	v_subrev_nc_u32_e32 v3, 29, v0
	s_delay_alu instid0(VALU_DEP_1) | instskip(NEXT) | instid1(VALU_DEP_1)
	v_lshlrev_b64_e32 v[6:7], v3, v[4:5]
	v_dual_sub_nc_u32 v3, 30, v0 :: v_dual_bitop2_b32 v0, 3, v6 bitop3:0x40
; %bb.14467:                            ;   in Loop: Header=BB6_14012 Depth=2
	s_or_b32 exec_lo, exec_lo, s29
	v_bfe_i32 v4, v4, 0, 16
	s_delay_alu instid0(VALU_DEP_1) | instskip(NEXT) | instid1(VALU_DEP_1)
	v_and_b32_e32 v4, 0x80000000, v4
	v_lshl_add_u32 v3, v3, 23, v4
                                        ; implicit-def: $vgpr4
	s_delay_alu instid0(VALU_DEP_1) | instskip(NEXT) | instid1(VALU_DEP_1)
	v_lshl_or_b32 v0, v0, 21, v3
	v_add_nc_u32_e32 v3, 0x38000000, v0
                                        ; implicit-def: $vgpr0
.LBB6_14468:                            ;   in Loop: Header=BB6_14012 Depth=2
	s_and_not1_saveexec_b32 s11, s11
; %bb.14469:                            ;   in Loop: Header=BB6_14012 Depth=2
	v_cmp_lt_i16_e32 vcc_lo, -1, v4
	v_mov_b32_e32 v3, 0x7f800000
	s_delay_alu instid0(VALU_DEP_1) | instskip(SKIP_1) | instid1(VALU_DEP_2)
	v_cndmask_b32_e32 v3, 0xff800000, v3, vcc_lo
	v_cmp_eq_u32_e32 vcc_lo, 0, v0
	v_cndmask_b32_e32 v3, 0x7f800001, v3, vcc_lo
; %bb.14470:                            ;   in Loop: Header=BB6_14012 Depth=2
	s_or_b32 exec_lo, exec_lo, s11
.LBB6_14471:                            ;   in Loop: Header=BB6_14012 Depth=2
	s_delay_alu instid0(SALU_CYCLE_1)
	s_or_b32 exec_lo, exec_lo, s10
.LBB6_14472:                            ;   in Loop: Header=BB6_14012 Depth=2
	s_delay_alu instid0(SALU_CYCLE_1) | instskip(NEXT) | instid1(VALU_DEP_1)
	s_or_b32 exec_lo, exec_lo, s7
	v_dual_mul_f32 v4, s28, v3 :: v_dual_mov_b32 v7, v1
                                        ; implicit-def: $vgpr72
	s_mov_b32 s7, exec_lo
	s_delay_alu instid0(VALU_DEP_1) | instskip(SKIP_1) | instid1(VALU_DEP_2)
	v_and_b32_e32 v6, 0x7f800000, v4
	v_and_b32_e32 v0, 0x7fffff, v4
	v_cmpx_ne_u64_e32 0x7f800000, v[6:7]
	s_xor_b32 s10, exec_lo, s7
	s_cbranch_execz .LBB6_14490
; %bb.14473:                            ;   in Loop: Header=BB6_14012 Depth=2
	v_dual_mov_b32 v7, v1 :: v_dual_lshrrev_b32 v3, 24, v4
	v_and_b32_e32 v6, 0x7fffffff, v4
                                        ; implicit-def: $vgpr72
	s_mov_b32 s7, exec_lo
	s_delay_alu instid0(VALU_DEP_2) | instskip(NEXT) | instid1(VALU_DEP_2)
	v_and_b32_e32 v3, 0x80, v3
	v_cmpx_gt_u64_e32 0x47600001, v[6:7]
	s_xor_b32 s11, exec_lo, s7
	s_cbranch_execz .LBB6_14487
; %bb.14474:                            ;   in Loop: Header=BB6_14012 Depth=2
	v_mov_b32_e32 v72, 0
	s_mov_b32 s29, exec_lo
	v_cmpx_ne_u32_e32 0, v4
	s_cbranch_execz .LBB6_14486
; %bb.14475:                            ;   in Loop: Header=BB6_14012 Depth=2
	v_bfe_u32 v8, v4, 23, 8
	v_or_b32_e32 v6, 0x800000, v0
	s_mov_b32 s40, exec_lo
	s_delay_alu instid0(VALU_DEP_2) | instskip(SKIP_1) | instid1(VALU_DEP_2)
	v_dual_mov_b32 v7, v1 :: v_dual_sub_nc_u32 v4, 0x71, v8
	v_cmp_gt_u32_e32 vcc_lo, 0x72, v8
	v_cndmask_b32_e32 v4, 0, v4, vcc_lo
	v_cmp_eq_u32_e32 vcc_lo, 0, v8
	s_delay_alu instid0(VALU_DEP_2) | instskip(NEXT) | instid1(VALU_DEP_1)
	v_cndmask_b32_e64 v9, v4, 0x70, vcc_lo
	v_dual_cndmask_b32 v6, v6, v0, vcc_lo :: v_dual_add_nc_u32 v4, 21, v9
	v_add_nc_u32_e32 v16, 20, v9
	s_delay_alu instid0(VALU_DEP_2) | instskip(NEXT) | instid1(VALU_DEP_2)
	v_lshlrev_b64_e64 v[4:5], v4, -1
	v_lshlrev_b64_e64 v[16:17], v16, 1
	s_delay_alu instid0(VALU_DEP_2) | instskip(NEXT) | instid1(VALU_DEP_3)
	v_bfi_b32 v19, v5, 0, 0
	v_bfi_b32 v18, v4, 0, v6
	v_lshrrev_b64 v[4:5], v9, v[6:7]
	s_delay_alu instid0(VALU_DEP_1) | instskip(NEXT) | instid1(VALU_DEP_3)
	v_mov_b64_e32 v[6:7], v[4:5]
	v_cmpx_eq_u64_e64 v[18:19], v[16:17]
; %bb.14476:                            ;   in Loop: Header=BB6_14012 Depth=2
	v_bfe_u32 v6, v4, 21, 1
	v_mov_b32_e32 v7, v1
	s_delay_alu instid0(VALU_DEP_1) | instskip(NEXT) | instid1(VALU_DEP_1)
	v_add_nc_u64_e32 v[6:7], v[4:5], v[6:7]
	v_add_nc_u64_e32 v[6:7], -1, v[6:7]
; %bb.14477:                            ;   in Loop: Header=BB6_14012 Depth=2
	s_or_b32 exec_lo, exec_lo, s40
	v_add_nc_u32_e32 v0, 0xffffff81, v8
	s_delay_alu instid0(VALU_DEP_2) | instskip(SKIP_2) | instid1(VALU_DEP_3)
	v_and_b32_e32 v6, 0x1fffff, v6
	v_lshrrev_b32_e32 v5, 23, v4
	s_mov_b32 s7, exec_lo
	v_cndmask_b32_e64 v0, v0, 0xffffff82, vcc_lo
	s_delay_alu instid0(VALU_DEP_1) | instskip(SKIP_1) | instid1(VALU_DEP_2)
	v_add3_u32 v7, v9, v0, v5
	v_add_nc_u32_e32 v0, v6, v4
                                        ; implicit-def: $vgpr4_vgpr5
                                        ; implicit-def: $vgpr6
	v_add_nc_u32_e32 v8, 14, v7
	s_delay_alu instid0(VALU_DEP_1)
	v_cmpx_ne_u32_e32 0, v8
	s_xor_b32 s7, exec_lo, s7
; %bb.14478:                            ;   in Loop: Header=BB6_14012 Depth=2
	s_delay_alu instid0(VALU_DEP_3) | instskip(SKIP_1) | instid1(VALU_DEP_1)
	v_cmp_lt_u64_e32 vcc_lo, 0xffffff, v[0:1]
	v_add_nc_u32_e32 v4, 15, v7
	v_cndmask_b32_e32 v6, v8, v4, vcc_lo
	v_cndmask_b32_e64 v4, 0, 1, vcc_lo
	s_delay_alu instid0(VALU_DEP_1)
	v_lshrrev_b64 v[4:5], v4, v[0:1]
; %bb.14479:                            ;   in Loop: Header=BB6_14012 Depth=2
	s_and_not1_saveexec_b32 s7, s7
; %bb.14480:                            ;   in Loop: Header=BB6_14012 Depth=2
	v_mov_b64_e32 v[4:5], v[0:1]
	v_bfe_u32 v6, v0, 23, 1
; %bb.14481:                            ;   in Loop: Header=BB6_14012 Depth=2
	s_or_b32 exec_lo, exec_lo, s7
	s_delay_alu instid0(VALU_DEP_2) | instskip(NEXT) | instid1(VALU_DEP_2)
	v_lshrrev_b64 v[4:5], 21, v[4:5]
	v_cmp_gt_i32_e32 vcc_lo, 32, v6
	v_cmp_ne_u32_e64 s7, 0, v6
                                        ; implicit-def: $vgpr72
	s_delay_alu instid0(VALU_DEP_3) | instskip(NEXT) | instid1(VALU_DEP_1)
	v_dual_cndmask_b32 v5, 0, v5 :: v_dual_cndmask_b32 v4, 3, v4
	v_cmp_ne_u64_e32 vcc_lo, 0, v[4:5]
	s_or_b32 s7, s7, vcc_lo
	s_delay_alu instid0(SALU_CYCLE_1) | instskip(NEXT) | instid1(SALU_CYCLE_1)
	s_and_saveexec_b32 s40, s7
	s_xor_b32 s7, exec_lo, s40
; %bb.14482:                            ;   in Loop: Header=BB6_14012 Depth=2
	v_min_i32_e32 v0, 31, v6
	s_delay_alu instid0(VALU_DEP_1) | instskip(NEXT) | instid1(VALU_DEP_1)
	v_lshl_or_b32 v0, v0, 2, v3
                                        ; implicit-def: $vgpr3
	v_and_or_b32 v72, v4, 3, v0
; %bb.14483:                            ;   in Loop: Header=BB6_14012 Depth=2
	s_and_not1_saveexec_b32 s7, s7
; %bb.14484:                            ;   in Loop: Header=BB6_14012 Depth=2
	v_mov_b32_e32 v72, v3
; %bb.14485:                            ;   in Loop: Header=BB6_14012 Depth=2
	s_or_b32 exec_lo, exec_lo, s7
.LBB6_14486:                            ;   in Loop: Header=BB6_14012 Depth=2
	s_delay_alu instid0(SALU_CYCLE_1)
	s_or_b32 exec_lo, exec_lo, s29
                                        ; implicit-def: $vgpr3
.LBB6_14487:                            ;   in Loop: Header=BB6_14012 Depth=2
	s_and_not1_saveexec_b32 s7, s11
; %bb.14488:                            ;   in Loop: Header=BB6_14012 Depth=2
	v_or_b32_e32 v72, 0x7b, v3
; %bb.14489:                            ;   in Loop: Header=BB6_14012 Depth=2
	s_or_b32 exec_lo, exec_lo, s7
                                        ; implicit-def: $vgpr4
.LBB6_14490:                            ;   in Loop: Header=BB6_14012 Depth=2
	s_and_not1_saveexec_b32 s7, s10
	s_cbranch_execz .LBB6_14496
; %bb.14491:                            ;   in Loop: Header=BB6_14012 Depth=2
	s_mov_b32 s10, exec_lo
                                        ; implicit-def: $vgpr72
	v_cmpx_ne_u64_e32 0, v[0:1]
	s_xor_b32 s10, exec_lo, s10
; %bb.14492:                            ;   in Loop: Header=BB6_14012 Depth=2
	v_lshrrev_b32_e32 v0, 24, v4
                                        ; implicit-def: $vgpr4
	s_delay_alu instid0(VALU_DEP_1)
	v_or_b32_e32 v72, 0x7f, v0
; %bb.14493:                            ;   in Loop: Header=BB6_14012 Depth=2
	s_and_not1_saveexec_b32 s10, s10
; %bb.14494:                            ;   in Loop: Header=BB6_14012 Depth=2
	v_cmp_lt_i32_e32 vcc_lo, -1, v4
	v_cndmask_b32_e64 v72, -4, 0x7c, vcc_lo
; %bb.14495:                            ;   in Loop: Header=BB6_14012 Depth=2
	s_or_b32 exec_lo, exec_lo, s10
.LBB6_14496:                            ;   in Loop: Header=BB6_14012 Depth=2
	s_delay_alu instid0(SALU_CYCLE_1)
	s_or_b32 exec_lo, exec_lo, s7
	flat_load_i8 v4, v[10:11] offset:448 th:TH_LOAD_NT
	v_mov_b32_e32 v3, 0
	s_mov_b32 s7, exec_lo
	s_wait_loadcnt_dscnt 0x0
	v_cmpx_ne_u16_e32 0, v4
	s_cbranch_execz .LBB6_14506
; %bb.14497:                            ;   in Loop: Header=BB6_14012 Depth=2
	v_bfrev_b32_e32 v3, 1
	s_mov_b32 s10, exec_lo
	v_cmpx_ne_u16_e32 0xff80, v4
	s_cbranch_execz .LBB6_14505
; %bb.14498:                            ;   in Loop: Header=BB6_14012 Depth=2
	v_and_b32_e32 v3, 0x7c, v4
	v_and_b32_e32 v0, 3, v4
	s_delay_alu instid0(VALU_DEP_2) | instskip(SKIP_1) | instid1(SALU_CYCLE_1)
	v_cmp_ne_u32_e32 vcc_lo, 0x7c, v3
                                        ; implicit-def: $vgpr3
	s_and_saveexec_b32 s11, vcc_lo
	s_xor_b32 s11, exec_lo, s11
	s_cbranch_execz .LBB6_14502
; %bb.14499:                            ;   in Loop: Header=BB6_14012 Depth=2
	v_and_b32_e32 v3, 0xff, v4
	s_mov_b32 s29, exec_lo
	s_delay_alu instid0(VALU_DEP_1) | instskip(NEXT) | instid1(VALU_DEP_1)
	v_bfe_u32 v3, v3, 2, 5
	v_cmpx_eq_u32_e32 0, v3
; %bb.14500:                            ;   in Loop: Header=BB6_14012 Depth=2
	v_clz_i32_u32_e32 v0, v0
	s_delay_alu instid0(VALU_DEP_1) | instskip(SKIP_1) | instid1(VALU_DEP_2)
	v_min_u32_e32 v0, 32, v0
	v_mov_b32_e32 v5, v1
	v_subrev_nc_u32_e32 v3, 29, v0
	s_delay_alu instid0(VALU_DEP_1) | instskip(NEXT) | instid1(VALU_DEP_1)
	v_lshlrev_b64_e32 v[6:7], v3, v[4:5]
	v_dual_sub_nc_u32 v3, 30, v0 :: v_dual_bitop2_b32 v0, 3, v6 bitop3:0x40
; %bb.14501:                            ;   in Loop: Header=BB6_14012 Depth=2
	s_or_b32 exec_lo, exec_lo, s29
	v_bfe_i32 v4, v4, 0, 16
	s_delay_alu instid0(VALU_DEP_1) | instskip(NEXT) | instid1(VALU_DEP_1)
	v_and_b32_e32 v4, 0x80000000, v4
	v_lshl_add_u32 v3, v3, 23, v4
                                        ; implicit-def: $vgpr4
	s_delay_alu instid0(VALU_DEP_1) | instskip(NEXT) | instid1(VALU_DEP_1)
	v_lshl_or_b32 v0, v0, 21, v3
	v_add_nc_u32_e32 v3, 0x38000000, v0
                                        ; implicit-def: $vgpr0
.LBB6_14502:                            ;   in Loop: Header=BB6_14012 Depth=2
	s_and_not1_saveexec_b32 s11, s11
; %bb.14503:                            ;   in Loop: Header=BB6_14012 Depth=2
	v_cmp_lt_i16_e32 vcc_lo, -1, v4
	v_mov_b32_e32 v3, 0x7f800000
	s_delay_alu instid0(VALU_DEP_1) | instskip(SKIP_1) | instid1(VALU_DEP_2)
	v_cndmask_b32_e32 v3, 0xff800000, v3, vcc_lo
	v_cmp_eq_u32_e32 vcc_lo, 0, v0
	v_cndmask_b32_e32 v3, 0x7f800001, v3, vcc_lo
; %bb.14504:                            ;   in Loop: Header=BB6_14012 Depth=2
	s_or_b32 exec_lo, exec_lo, s11
.LBB6_14505:                            ;   in Loop: Header=BB6_14012 Depth=2
	s_delay_alu instid0(SALU_CYCLE_1)
	s_or_b32 exec_lo, exec_lo, s10
.LBB6_14506:                            ;   in Loop: Header=BB6_14012 Depth=2
	s_delay_alu instid0(SALU_CYCLE_1) | instskip(NEXT) | instid1(VALU_DEP_1)
	s_or_b32 exec_lo, exec_lo, s7
	v_dual_mul_f32 v4, s28, v3 :: v_dual_mov_b32 v7, v1
                                        ; implicit-def: $vgpr62
	s_mov_b32 s7, exec_lo
	s_delay_alu instid0(VALU_DEP_1) | instskip(SKIP_1) | instid1(VALU_DEP_2)
	v_and_b32_e32 v6, 0x7f800000, v4
	v_and_b32_e32 v0, 0x7fffff, v4
	v_cmpx_ne_u64_e32 0x7f800000, v[6:7]
	s_xor_b32 s10, exec_lo, s7
	s_cbranch_execz .LBB6_14524
; %bb.14507:                            ;   in Loop: Header=BB6_14012 Depth=2
	v_dual_mov_b32 v7, v1 :: v_dual_lshrrev_b32 v3, 24, v4
	v_and_b32_e32 v6, 0x7fffffff, v4
                                        ; implicit-def: $vgpr62
	s_mov_b32 s7, exec_lo
	s_delay_alu instid0(VALU_DEP_2) | instskip(NEXT) | instid1(VALU_DEP_2)
	v_and_b32_e32 v3, 0x80, v3
	v_cmpx_gt_u64_e32 0x47600001, v[6:7]
	s_xor_b32 s11, exec_lo, s7
	s_cbranch_execz .LBB6_14521
; %bb.14508:                            ;   in Loop: Header=BB6_14012 Depth=2
	v_mov_b32_e32 v62, 0
	s_mov_b32 s29, exec_lo
	v_cmpx_ne_u32_e32 0, v4
	s_cbranch_execz .LBB6_14520
; %bb.14509:                            ;   in Loop: Header=BB6_14012 Depth=2
	v_bfe_u32 v8, v4, 23, 8
	v_or_b32_e32 v6, 0x800000, v0
	s_mov_b32 s40, exec_lo
	s_delay_alu instid0(VALU_DEP_2) | instskip(SKIP_1) | instid1(VALU_DEP_2)
	v_dual_mov_b32 v7, v1 :: v_dual_sub_nc_u32 v4, 0x71, v8
	v_cmp_gt_u32_e32 vcc_lo, 0x72, v8
	v_cndmask_b32_e32 v4, 0, v4, vcc_lo
	v_cmp_eq_u32_e32 vcc_lo, 0, v8
	s_delay_alu instid0(VALU_DEP_2) | instskip(NEXT) | instid1(VALU_DEP_1)
	v_cndmask_b32_e64 v9, v4, 0x70, vcc_lo
	v_dual_cndmask_b32 v6, v6, v0, vcc_lo :: v_dual_add_nc_u32 v4, 21, v9
	v_add_nc_u32_e32 v16, 20, v9
	s_delay_alu instid0(VALU_DEP_2) | instskip(NEXT) | instid1(VALU_DEP_2)
	v_lshlrev_b64_e64 v[4:5], v4, -1
	v_lshlrev_b64_e64 v[16:17], v16, 1
	s_delay_alu instid0(VALU_DEP_2) | instskip(NEXT) | instid1(VALU_DEP_3)
	v_bfi_b32 v19, v5, 0, 0
	v_bfi_b32 v18, v4, 0, v6
	v_lshrrev_b64 v[4:5], v9, v[6:7]
	s_delay_alu instid0(VALU_DEP_1) | instskip(NEXT) | instid1(VALU_DEP_3)
	v_mov_b64_e32 v[6:7], v[4:5]
	v_cmpx_eq_u64_e64 v[18:19], v[16:17]
; %bb.14510:                            ;   in Loop: Header=BB6_14012 Depth=2
	v_bfe_u32 v6, v4, 21, 1
	v_mov_b32_e32 v7, v1
	s_delay_alu instid0(VALU_DEP_1) | instskip(NEXT) | instid1(VALU_DEP_1)
	v_add_nc_u64_e32 v[6:7], v[4:5], v[6:7]
	v_add_nc_u64_e32 v[6:7], -1, v[6:7]
; %bb.14511:                            ;   in Loop: Header=BB6_14012 Depth=2
	s_or_b32 exec_lo, exec_lo, s40
	v_add_nc_u32_e32 v0, 0xffffff81, v8
	s_delay_alu instid0(VALU_DEP_2) | instskip(SKIP_2) | instid1(VALU_DEP_3)
	v_and_b32_e32 v6, 0x1fffff, v6
	v_lshrrev_b32_e32 v5, 23, v4
	s_mov_b32 s7, exec_lo
	v_cndmask_b32_e64 v0, v0, 0xffffff82, vcc_lo
	s_delay_alu instid0(VALU_DEP_1) | instskip(SKIP_1) | instid1(VALU_DEP_2)
	v_add3_u32 v7, v9, v0, v5
	v_add_nc_u32_e32 v0, v6, v4
                                        ; implicit-def: $vgpr4_vgpr5
                                        ; implicit-def: $vgpr6
	v_add_nc_u32_e32 v8, 14, v7
	s_delay_alu instid0(VALU_DEP_1)
	v_cmpx_ne_u32_e32 0, v8
	s_xor_b32 s7, exec_lo, s7
; %bb.14512:                            ;   in Loop: Header=BB6_14012 Depth=2
	s_delay_alu instid0(VALU_DEP_3) | instskip(SKIP_1) | instid1(VALU_DEP_1)
	v_cmp_lt_u64_e32 vcc_lo, 0xffffff, v[0:1]
	v_add_nc_u32_e32 v4, 15, v7
	v_cndmask_b32_e32 v6, v8, v4, vcc_lo
	v_cndmask_b32_e64 v4, 0, 1, vcc_lo
	s_delay_alu instid0(VALU_DEP_1)
	v_lshrrev_b64 v[4:5], v4, v[0:1]
; %bb.14513:                            ;   in Loop: Header=BB6_14012 Depth=2
	s_and_not1_saveexec_b32 s7, s7
; %bb.14514:                            ;   in Loop: Header=BB6_14012 Depth=2
	v_mov_b64_e32 v[4:5], v[0:1]
	v_bfe_u32 v6, v0, 23, 1
; %bb.14515:                            ;   in Loop: Header=BB6_14012 Depth=2
	s_or_b32 exec_lo, exec_lo, s7
	s_delay_alu instid0(VALU_DEP_2) | instskip(NEXT) | instid1(VALU_DEP_2)
	v_lshrrev_b64 v[4:5], 21, v[4:5]
	v_cmp_gt_i32_e32 vcc_lo, 32, v6
	v_cmp_ne_u32_e64 s7, 0, v6
                                        ; implicit-def: $vgpr62
	s_delay_alu instid0(VALU_DEP_3) | instskip(NEXT) | instid1(VALU_DEP_1)
	v_dual_cndmask_b32 v5, 0, v5 :: v_dual_cndmask_b32 v4, 3, v4
	v_cmp_ne_u64_e32 vcc_lo, 0, v[4:5]
	s_or_b32 s7, s7, vcc_lo
	s_delay_alu instid0(SALU_CYCLE_1) | instskip(NEXT) | instid1(SALU_CYCLE_1)
	s_and_saveexec_b32 s40, s7
	s_xor_b32 s7, exec_lo, s40
; %bb.14516:                            ;   in Loop: Header=BB6_14012 Depth=2
	v_min_i32_e32 v0, 31, v6
	s_delay_alu instid0(VALU_DEP_1) | instskip(NEXT) | instid1(VALU_DEP_1)
	v_lshl_or_b32 v0, v0, 2, v3
                                        ; implicit-def: $vgpr3
	v_and_or_b32 v62, v4, 3, v0
; %bb.14517:                            ;   in Loop: Header=BB6_14012 Depth=2
	s_and_not1_saveexec_b32 s7, s7
; %bb.14518:                            ;   in Loop: Header=BB6_14012 Depth=2
	v_mov_b32_e32 v62, v3
; %bb.14519:                            ;   in Loop: Header=BB6_14012 Depth=2
	s_or_b32 exec_lo, exec_lo, s7
.LBB6_14520:                            ;   in Loop: Header=BB6_14012 Depth=2
	s_delay_alu instid0(SALU_CYCLE_1)
	s_or_b32 exec_lo, exec_lo, s29
                                        ; implicit-def: $vgpr3
.LBB6_14521:                            ;   in Loop: Header=BB6_14012 Depth=2
	s_and_not1_saveexec_b32 s7, s11
; %bb.14522:                            ;   in Loop: Header=BB6_14012 Depth=2
	v_or_b32_e32 v62, 0x7b, v3
; %bb.14523:                            ;   in Loop: Header=BB6_14012 Depth=2
	s_or_b32 exec_lo, exec_lo, s7
                                        ; implicit-def: $vgpr4
.LBB6_14524:                            ;   in Loop: Header=BB6_14012 Depth=2
	s_and_not1_saveexec_b32 s7, s10
	s_cbranch_execz .LBB6_14530
; %bb.14525:                            ;   in Loop: Header=BB6_14012 Depth=2
	s_mov_b32 s10, exec_lo
                                        ; implicit-def: $vgpr62
	v_cmpx_ne_u64_e32 0, v[0:1]
	s_xor_b32 s10, exec_lo, s10
; %bb.14526:                            ;   in Loop: Header=BB6_14012 Depth=2
	v_lshrrev_b32_e32 v0, 24, v4
                                        ; implicit-def: $vgpr4
	s_delay_alu instid0(VALU_DEP_1)
	v_or_b32_e32 v62, 0x7f, v0
; %bb.14527:                            ;   in Loop: Header=BB6_14012 Depth=2
	s_and_not1_saveexec_b32 s10, s10
; %bb.14528:                            ;   in Loop: Header=BB6_14012 Depth=2
	v_cmp_lt_i32_e32 vcc_lo, -1, v4
	v_cndmask_b32_e64 v62, -4, 0x7c, vcc_lo
; %bb.14529:                            ;   in Loop: Header=BB6_14012 Depth=2
	s_or_b32 exec_lo, exec_lo, s10
.LBB6_14530:                            ;   in Loop: Header=BB6_14012 Depth=2
	s_delay_alu instid0(SALU_CYCLE_1)
	s_or_b32 exec_lo, exec_lo, s7
	flat_load_i8 v4, v[10:11] offset:480 th:TH_LOAD_NT
	v_mov_b32_e32 v3, 0
	s_mov_b32 s7, exec_lo
	s_wait_loadcnt_dscnt 0x0
	v_cmpx_ne_u16_e32 0, v4
	s_cbranch_execz .LBB6_14540
; %bb.14531:                            ;   in Loop: Header=BB6_14012 Depth=2
	v_bfrev_b32_e32 v3, 1
	s_mov_b32 s10, exec_lo
	v_cmpx_ne_u16_e32 0xff80, v4
	s_cbranch_execz .LBB6_14539
; %bb.14532:                            ;   in Loop: Header=BB6_14012 Depth=2
	v_and_b32_e32 v3, 0x7c, v4
	v_and_b32_e32 v0, 3, v4
	s_delay_alu instid0(VALU_DEP_2) | instskip(SKIP_1) | instid1(SALU_CYCLE_1)
	v_cmp_ne_u32_e32 vcc_lo, 0x7c, v3
                                        ; implicit-def: $vgpr3
	s_and_saveexec_b32 s11, vcc_lo
	s_xor_b32 s11, exec_lo, s11
	s_cbranch_execz .LBB6_14536
; %bb.14533:                            ;   in Loop: Header=BB6_14012 Depth=2
	v_and_b32_e32 v3, 0xff, v4
	s_mov_b32 s29, exec_lo
	s_delay_alu instid0(VALU_DEP_1) | instskip(NEXT) | instid1(VALU_DEP_1)
	v_bfe_u32 v3, v3, 2, 5
	v_cmpx_eq_u32_e32 0, v3
; %bb.14534:                            ;   in Loop: Header=BB6_14012 Depth=2
	v_clz_i32_u32_e32 v0, v0
	s_delay_alu instid0(VALU_DEP_1) | instskip(SKIP_1) | instid1(VALU_DEP_2)
	v_min_u32_e32 v0, 32, v0
	v_mov_b32_e32 v5, v1
	v_subrev_nc_u32_e32 v3, 29, v0
	s_delay_alu instid0(VALU_DEP_1) | instskip(NEXT) | instid1(VALU_DEP_1)
	v_lshlrev_b64_e32 v[6:7], v3, v[4:5]
	v_dual_sub_nc_u32 v3, 30, v0 :: v_dual_bitop2_b32 v0, 3, v6 bitop3:0x40
; %bb.14535:                            ;   in Loop: Header=BB6_14012 Depth=2
	s_or_b32 exec_lo, exec_lo, s29
	v_bfe_i32 v4, v4, 0, 16
	s_delay_alu instid0(VALU_DEP_1) | instskip(NEXT) | instid1(VALU_DEP_1)
	v_and_b32_e32 v4, 0x80000000, v4
	v_lshl_add_u32 v3, v3, 23, v4
                                        ; implicit-def: $vgpr4
	s_delay_alu instid0(VALU_DEP_1) | instskip(NEXT) | instid1(VALU_DEP_1)
	v_lshl_or_b32 v0, v0, 21, v3
	v_add_nc_u32_e32 v3, 0x38000000, v0
                                        ; implicit-def: $vgpr0
.LBB6_14536:                            ;   in Loop: Header=BB6_14012 Depth=2
	s_and_not1_saveexec_b32 s11, s11
; %bb.14537:                            ;   in Loop: Header=BB6_14012 Depth=2
	v_cmp_lt_i16_e32 vcc_lo, -1, v4
	v_mov_b32_e32 v3, 0x7f800000
	s_delay_alu instid0(VALU_DEP_1) | instskip(SKIP_1) | instid1(VALU_DEP_2)
	v_cndmask_b32_e32 v3, 0xff800000, v3, vcc_lo
	v_cmp_eq_u32_e32 vcc_lo, 0, v0
	v_cndmask_b32_e32 v3, 0x7f800001, v3, vcc_lo
; %bb.14538:                            ;   in Loop: Header=BB6_14012 Depth=2
	s_or_b32 exec_lo, exec_lo, s11
.LBB6_14539:                            ;   in Loop: Header=BB6_14012 Depth=2
	s_delay_alu instid0(SALU_CYCLE_1)
	s_or_b32 exec_lo, exec_lo, s10
.LBB6_14540:                            ;   in Loop: Header=BB6_14012 Depth=2
	s_delay_alu instid0(SALU_CYCLE_1) | instskip(NEXT) | instid1(VALU_DEP_1)
	s_or_b32 exec_lo, exec_lo, s7
	v_dual_mul_f32 v4, s28, v3 :: v_dual_mov_b32 v7, v1
                                        ; implicit-def: $vgpr60
	s_mov_b32 s7, exec_lo
	s_delay_alu instid0(VALU_DEP_1) | instskip(SKIP_1) | instid1(VALU_DEP_2)
	v_and_b32_e32 v6, 0x7f800000, v4
	v_and_b32_e32 v0, 0x7fffff, v4
	v_cmpx_ne_u64_e32 0x7f800000, v[6:7]
	s_xor_b32 s10, exec_lo, s7
	s_cbranch_execz .LBB6_14558
; %bb.14541:                            ;   in Loop: Header=BB6_14012 Depth=2
	v_dual_mov_b32 v7, v1 :: v_dual_lshrrev_b32 v3, 24, v4
	v_and_b32_e32 v6, 0x7fffffff, v4
                                        ; implicit-def: $vgpr60
	s_mov_b32 s7, exec_lo
	s_delay_alu instid0(VALU_DEP_2) | instskip(NEXT) | instid1(VALU_DEP_2)
	v_and_b32_e32 v3, 0x80, v3
	v_cmpx_gt_u64_e32 0x47600001, v[6:7]
	s_xor_b32 s11, exec_lo, s7
	s_cbranch_execz .LBB6_14555
; %bb.14542:                            ;   in Loop: Header=BB6_14012 Depth=2
	v_mov_b32_e32 v60, 0
	s_mov_b32 s29, exec_lo
	v_cmpx_ne_u32_e32 0, v4
	s_cbranch_execz .LBB6_14554
; %bb.14543:                            ;   in Loop: Header=BB6_14012 Depth=2
	v_bfe_u32 v8, v4, 23, 8
	v_or_b32_e32 v6, 0x800000, v0
	s_mov_b32 s40, exec_lo
	s_delay_alu instid0(VALU_DEP_2) | instskip(SKIP_1) | instid1(VALU_DEP_2)
	v_dual_mov_b32 v7, v1 :: v_dual_sub_nc_u32 v4, 0x71, v8
	v_cmp_gt_u32_e32 vcc_lo, 0x72, v8
	v_cndmask_b32_e32 v4, 0, v4, vcc_lo
	v_cmp_eq_u32_e32 vcc_lo, 0, v8
	s_delay_alu instid0(VALU_DEP_2) | instskip(NEXT) | instid1(VALU_DEP_1)
	v_cndmask_b32_e64 v9, v4, 0x70, vcc_lo
	v_dual_cndmask_b32 v6, v6, v0, vcc_lo :: v_dual_add_nc_u32 v4, 21, v9
	v_add_nc_u32_e32 v16, 20, v9
	s_delay_alu instid0(VALU_DEP_2) | instskip(NEXT) | instid1(VALU_DEP_2)
	v_lshlrev_b64_e64 v[4:5], v4, -1
	v_lshlrev_b64_e64 v[16:17], v16, 1
	s_delay_alu instid0(VALU_DEP_2) | instskip(NEXT) | instid1(VALU_DEP_3)
	v_bfi_b32 v19, v5, 0, 0
	v_bfi_b32 v18, v4, 0, v6
	v_lshrrev_b64 v[4:5], v9, v[6:7]
	s_delay_alu instid0(VALU_DEP_1) | instskip(NEXT) | instid1(VALU_DEP_3)
	v_mov_b64_e32 v[6:7], v[4:5]
	v_cmpx_eq_u64_e64 v[18:19], v[16:17]
; %bb.14544:                            ;   in Loop: Header=BB6_14012 Depth=2
	v_bfe_u32 v6, v4, 21, 1
	v_mov_b32_e32 v7, v1
	s_delay_alu instid0(VALU_DEP_1) | instskip(NEXT) | instid1(VALU_DEP_1)
	v_add_nc_u64_e32 v[6:7], v[4:5], v[6:7]
	v_add_nc_u64_e32 v[6:7], -1, v[6:7]
; %bb.14545:                            ;   in Loop: Header=BB6_14012 Depth=2
	s_or_b32 exec_lo, exec_lo, s40
	v_add_nc_u32_e32 v0, 0xffffff81, v8
	s_delay_alu instid0(VALU_DEP_2) | instskip(SKIP_2) | instid1(VALU_DEP_3)
	v_and_b32_e32 v6, 0x1fffff, v6
	v_lshrrev_b32_e32 v5, 23, v4
	s_mov_b32 s7, exec_lo
	v_cndmask_b32_e64 v0, v0, 0xffffff82, vcc_lo
	s_delay_alu instid0(VALU_DEP_1) | instskip(SKIP_1) | instid1(VALU_DEP_2)
	v_add3_u32 v7, v9, v0, v5
	v_add_nc_u32_e32 v0, v6, v4
                                        ; implicit-def: $vgpr4_vgpr5
                                        ; implicit-def: $vgpr6
	v_add_nc_u32_e32 v8, 14, v7
	s_delay_alu instid0(VALU_DEP_1)
	v_cmpx_ne_u32_e32 0, v8
	s_xor_b32 s7, exec_lo, s7
; %bb.14546:                            ;   in Loop: Header=BB6_14012 Depth=2
	s_delay_alu instid0(VALU_DEP_3) | instskip(SKIP_1) | instid1(VALU_DEP_1)
	v_cmp_lt_u64_e32 vcc_lo, 0xffffff, v[0:1]
	v_add_nc_u32_e32 v4, 15, v7
	v_cndmask_b32_e32 v6, v8, v4, vcc_lo
	v_cndmask_b32_e64 v4, 0, 1, vcc_lo
	s_delay_alu instid0(VALU_DEP_1)
	v_lshrrev_b64 v[4:5], v4, v[0:1]
; %bb.14547:                            ;   in Loop: Header=BB6_14012 Depth=2
	s_and_not1_saveexec_b32 s7, s7
; %bb.14548:                            ;   in Loop: Header=BB6_14012 Depth=2
	v_mov_b64_e32 v[4:5], v[0:1]
	v_bfe_u32 v6, v0, 23, 1
; %bb.14549:                            ;   in Loop: Header=BB6_14012 Depth=2
	s_or_b32 exec_lo, exec_lo, s7
	s_delay_alu instid0(VALU_DEP_2) | instskip(NEXT) | instid1(VALU_DEP_2)
	v_lshrrev_b64 v[4:5], 21, v[4:5]
	v_cmp_gt_i32_e32 vcc_lo, 32, v6
	v_cmp_ne_u32_e64 s7, 0, v6
                                        ; implicit-def: $vgpr60
	s_delay_alu instid0(VALU_DEP_3) | instskip(NEXT) | instid1(VALU_DEP_1)
	v_dual_cndmask_b32 v5, 0, v5 :: v_dual_cndmask_b32 v4, 3, v4
	v_cmp_ne_u64_e32 vcc_lo, 0, v[4:5]
	s_or_b32 s7, s7, vcc_lo
	s_delay_alu instid0(SALU_CYCLE_1) | instskip(NEXT) | instid1(SALU_CYCLE_1)
	s_and_saveexec_b32 s40, s7
	s_xor_b32 s7, exec_lo, s40
; %bb.14550:                            ;   in Loop: Header=BB6_14012 Depth=2
	v_min_i32_e32 v0, 31, v6
	s_delay_alu instid0(VALU_DEP_1) | instskip(NEXT) | instid1(VALU_DEP_1)
	v_lshl_or_b32 v0, v0, 2, v3
                                        ; implicit-def: $vgpr3
	v_and_or_b32 v60, v4, 3, v0
; %bb.14551:                            ;   in Loop: Header=BB6_14012 Depth=2
	s_and_not1_saveexec_b32 s7, s7
; %bb.14552:                            ;   in Loop: Header=BB6_14012 Depth=2
	v_mov_b32_e32 v60, v3
; %bb.14553:                            ;   in Loop: Header=BB6_14012 Depth=2
	s_or_b32 exec_lo, exec_lo, s7
.LBB6_14554:                            ;   in Loop: Header=BB6_14012 Depth=2
	s_delay_alu instid0(SALU_CYCLE_1)
	s_or_b32 exec_lo, exec_lo, s29
                                        ; implicit-def: $vgpr3
.LBB6_14555:                            ;   in Loop: Header=BB6_14012 Depth=2
	s_and_not1_saveexec_b32 s7, s11
; %bb.14556:                            ;   in Loop: Header=BB6_14012 Depth=2
	v_or_b32_e32 v60, 0x7b, v3
; %bb.14557:                            ;   in Loop: Header=BB6_14012 Depth=2
	s_or_b32 exec_lo, exec_lo, s7
                                        ; implicit-def: $vgpr4
.LBB6_14558:                            ;   in Loop: Header=BB6_14012 Depth=2
	s_and_not1_saveexec_b32 s7, s10
	s_cbranch_execz .LBB6_14564
; %bb.14559:                            ;   in Loop: Header=BB6_14012 Depth=2
	s_mov_b32 s10, exec_lo
                                        ; implicit-def: $vgpr60
	v_cmpx_ne_u64_e32 0, v[0:1]
	s_xor_b32 s10, exec_lo, s10
; %bb.14560:                            ;   in Loop: Header=BB6_14012 Depth=2
	v_lshrrev_b32_e32 v0, 24, v4
                                        ; implicit-def: $vgpr4
	s_delay_alu instid0(VALU_DEP_1)
	v_or_b32_e32 v60, 0x7f, v0
; %bb.14561:                            ;   in Loop: Header=BB6_14012 Depth=2
	s_and_not1_saveexec_b32 s10, s10
; %bb.14562:                            ;   in Loop: Header=BB6_14012 Depth=2
	v_cmp_lt_i32_e32 vcc_lo, -1, v4
	v_cndmask_b32_e64 v60, -4, 0x7c, vcc_lo
; %bb.14563:                            ;   in Loop: Header=BB6_14012 Depth=2
	s_or_b32 exec_lo, exec_lo, s10
.LBB6_14564:                            ;   in Loop: Header=BB6_14012 Depth=2
	s_delay_alu instid0(SALU_CYCLE_1)
	s_or_b32 exec_lo, exec_lo, s7
	flat_load_i8 v4, v[10:11] offset:512 th:TH_LOAD_NT
	v_mov_b32_e32 v3, 0
	s_mov_b32 s7, exec_lo
	s_wait_loadcnt_dscnt 0x0
	v_cmpx_ne_u16_e32 0, v4
	s_cbranch_execz .LBB6_14574
; %bb.14565:                            ;   in Loop: Header=BB6_14012 Depth=2
	v_bfrev_b32_e32 v3, 1
	s_mov_b32 s10, exec_lo
	v_cmpx_ne_u16_e32 0xff80, v4
	s_cbranch_execz .LBB6_14573
; %bb.14566:                            ;   in Loop: Header=BB6_14012 Depth=2
	v_and_b32_e32 v3, 0x7c, v4
	v_and_b32_e32 v0, 3, v4
	s_delay_alu instid0(VALU_DEP_2) | instskip(SKIP_1) | instid1(SALU_CYCLE_1)
	v_cmp_ne_u32_e32 vcc_lo, 0x7c, v3
                                        ; implicit-def: $vgpr3
	s_and_saveexec_b32 s11, vcc_lo
	s_xor_b32 s11, exec_lo, s11
	s_cbranch_execz .LBB6_14570
; %bb.14567:                            ;   in Loop: Header=BB6_14012 Depth=2
	v_and_b32_e32 v3, 0xff, v4
	s_mov_b32 s29, exec_lo
	s_delay_alu instid0(VALU_DEP_1) | instskip(NEXT) | instid1(VALU_DEP_1)
	v_bfe_u32 v3, v3, 2, 5
	v_cmpx_eq_u32_e32 0, v3
; %bb.14568:                            ;   in Loop: Header=BB6_14012 Depth=2
	v_clz_i32_u32_e32 v0, v0
	s_delay_alu instid0(VALU_DEP_1) | instskip(SKIP_1) | instid1(VALU_DEP_2)
	v_min_u32_e32 v0, 32, v0
	v_mov_b32_e32 v5, v1
	v_subrev_nc_u32_e32 v3, 29, v0
	s_delay_alu instid0(VALU_DEP_1) | instskip(NEXT) | instid1(VALU_DEP_1)
	v_lshlrev_b64_e32 v[6:7], v3, v[4:5]
	v_dual_sub_nc_u32 v3, 30, v0 :: v_dual_bitop2_b32 v0, 3, v6 bitop3:0x40
; %bb.14569:                            ;   in Loop: Header=BB6_14012 Depth=2
	s_or_b32 exec_lo, exec_lo, s29
	v_bfe_i32 v4, v4, 0, 16
	s_delay_alu instid0(VALU_DEP_1) | instskip(NEXT) | instid1(VALU_DEP_1)
	v_and_b32_e32 v4, 0x80000000, v4
	v_lshl_add_u32 v3, v3, 23, v4
                                        ; implicit-def: $vgpr4
	s_delay_alu instid0(VALU_DEP_1) | instskip(NEXT) | instid1(VALU_DEP_1)
	v_lshl_or_b32 v0, v0, 21, v3
	v_add_nc_u32_e32 v3, 0x38000000, v0
                                        ; implicit-def: $vgpr0
.LBB6_14570:                            ;   in Loop: Header=BB6_14012 Depth=2
	s_and_not1_saveexec_b32 s11, s11
; %bb.14571:                            ;   in Loop: Header=BB6_14012 Depth=2
	v_cmp_lt_i16_e32 vcc_lo, -1, v4
	v_mov_b32_e32 v3, 0x7f800000
	s_delay_alu instid0(VALU_DEP_1) | instskip(SKIP_1) | instid1(VALU_DEP_2)
	v_cndmask_b32_e32 v3, 0xff800000, v3, vcc_lo
	v_cmp_eq_u32_e32 vcc_lo, 0, v0
	v_cndmask_b32_e32 v3, 0x7f800001, v3, vcc_lo
; %bb.14572:                            ;   in Loop: Header=BB6_14012 Depth=2
	s_or_b32 exec_lo, exec_lo, s11
.LBB6_14573:                            ;   in Loop: Header=BB6_14012 Depth=2
	s_delay_alu instid0(SALU_CYCLE_1)
	s_or_b32 exec_lo, exec_lo, s10
.LBB6_14574:                            ;   in Loop: Header=BB6_14012 Depth=2
	s_delay_alu instid0(SALU_CYCLE_1) | instskip(NEXT) | instid1(VALU_DEP_1)
	s_or_b32 exec_lo, exec_lo, s7
	v_dual_mul_f32 v4, s28, v3 :: v_dual_mov_b32 v7, v1
                                        ; implicit-def: $vgpr58
	s_mov_b32 s7, exec_lo
	s_delay_alu instid0(VALU_DEP_1) | instskip(SKIP_1) | instid1(VALU_DEP_2)
	v_and_b32_e32 v6, 0x7f800000, v4
	v_and_b32_e32 v0, 0x7fffff, v4
	v_cmpx_ne_u64_e32 0x7f800000, v[6:7]
	s_xor_b32 s10, exec_lo, s7
	s_cbranch_execz .LBB6_14592
; %bb.14575:                            ;   in Loop: Header=BB6_14012 Depth=2
	v_dual_mov_b32 v7, v1 :: v_dual_lshrrev_b32 v3, 24, v4
	v_and_b32_e32 v6, 0x7fffffff, v4
                                        ; implicit-def: $vgpr58
	s_mov_b32 s7, exec_lo
	s_delay_alu instid0(VALU_DEP_2) | instskip(NEXT) | instid1(VALU_DEP_2)
	v_and_b32_e32 v3, 0x80, v3
	v_cmpx_gt_u64_e32 0x47600001, v[6:7]
	s_xor_b32 s11, exec_lo, s7
	s_cbranch_execz .LBB6_14589
; %bb.14576:                            ;   in Loop: Header=BB6_14012 Depth=2
	v_mov_b32_e32 v58, 0
	s_mov_b32 s29, exec_lo
	v_cmpx_ne_u32_e32 0, v4
	s_cbranch_execz .LBB6_14588
; %bb.14577:                            ;   in Loop: Header=BB6_14012 Depth=2
	v_bfe_u32 v8, v4, 23, 8
	v_or_b32_e32 v6, 0x800000, v0
	s_mov_b32 s40, exec_lo
	s_delay_alu instid0(VALU_DEP_2) | instskip(SKIP_1) | instid1(VALU_DEP_2)
	v_dual_mov_b32 v7, v1 :: v_dual_sub_nc_u32 v4, 0x71, v8
	v_cmp_gt_u32_e32 vcc_lo, 0x72, v8
	v_cndmask_b32_e32 v4, 0, v4, vcc_lo
	v_cmp_eq_u32_e32 vcc_lo, 0, v8
	s_delay_alu instid0(VALU_DEP_2) | instskip(NEXT) | instid1(VALU_DEP_1)
	v_cndmask_b32_e64 v9, v4, 0x70, vcc_lo
	v_dual_cndmask_b32 v6, v6, v0, vcc_lo :: v_dual_add_nc_u32 v4, 21, v9
	v_add_nc_u32_e32 v16, 20, v9
	s_delay_alu instid0(VALU_DEP_2) | instskip(NEXT) | instid1(VALU_DEP_2)
	v_lshlrev_b64_e64 v[4:5], v4, -1
	v_lshlrev_b64_e64 v[16:17], v16, 1
	s_delay_alu instid0(VALU_DEP_2) | instskip(NEXT) | instid1(VALU_DEP_3)
	v_bfi_b32 v19, v5, 0, 0
	v_bfi_b32 v18, v4, 0, v6
	v_lshrrev_b64 v[4:5], v9, v[6:7]
	s_delay_alu instid0(VALU_DEP_1) | instskip(NEXT) | instid1(VALU_DEP_3)
	v_mov_b64_e32 v[6:7], v[4:5]
	v_cmpx_eq_u64_e64 v[18:19], v[16:17]
; %bb.14578:                            ;   in Loop: Header=BB6_14012 Depth=2
	v_bfe_u32 v6, v4, 21, 1
	v_mov_b32_e32 v7, v1
	s_delay_alu instid0(VALU_DEP_1) | instskip(NEXT) | instid1(VALU_DEP_1)
	v_add_nc_u64_e32 v[6:7], v[4:5], v[6:7]
	v_add_nc_u64_e32 v[6:7], -1, v[6:7]
; %bb.14579:                            ;   in Loop: Header=BB6_14012 Depth=2
	s_or_b32 exec_lo, exec_lo, s40
	v_add_nc_u32_e32 v0, 0xffffff81, v8
	s_delay_alu instid0(VALU_DEP_2) | instskip(SKIP_2) | instid1(VALU_DEP_3)
	v_and_b32_e32 v6, 0x1fffff, v6
	v_lshrrev_b32_e32 v5, 23, v4
	s_mov_b32 s7, exec_lo
	v_cndmask_b32_e64 v0, v0, 0xffffff82, vcc_lo
	s_delay_alu instid0(VALU_DEP_1) | instskip(SKIP_1) | instid1(VALU_DEP_2)
	v_add3_u32 v7, v9, v0, v5
	v_add_nc_u32_e32 v0, v6, v4
                                        ; implicit-def: $vgpr4_vgpr5
                                        ; implicit-def: $vgpr6
	v_add_nc_u32_e32 v8, 14, v7
	s_delay_alu instid0(VALU_DEP_1)
	v_cmpx_ne_u32_e32 0, v8
	s_xor_b32 s7, exec_lo, s7
; %bb.14580:                            ;   in Loop: Header=BB6_14012 Depth=2
	s_delay_alu instid0(VALU_DEP_3) | instskip(SKIP_1) | instid1(VALU_DEP_1)
	v_cmp_lt_u64_e32 vcc_lo, 0xffffff, v[0:1]
	v_add_nc_u32_e32 v4, 15, v7
	v_cndmask_b32_e32 v6, v8, v4, vcc_lo
	v_cndmask_b32_e64 v4, 0, 1, vcc_lo
	s_delay_alu instid0(VALU_DEP_1)
	v_lshrrev_b64 v[4:5], v4, v[0:1]
; %bb.14581:                            ;   in Loop: Header=BB6_14012 Depth=2
	s_and_not1_saveexec_b32 s7, s7
; %bb.14582:                            ;   in Loop: Header=BB6_14012 Depth=2
	v_mov_b64_e32 v[4:5], v[0:1]
	v_bfe_u32 v6, v0, 23, 1
; %bb.14583:                            ;   in Loop: Header=BB6_14012 Depth=2
	s_or_b32 exec_lo, exec_lo, s7
	s_delay_alu instid0(VALU_DEP_2) | instskip(NEXT) | instid1(VALU_DEP_2)
	v_lshrrev_b64 v[4:5], 21, v[4:5]
	v_cmp_gt_i32_e32 vcc_lo, 32, v6
	v_cmp_ne_u32_e64 s7, 0, v6
                                        ; implicit-def: $vgpr58
	s_delay_alu instid0(VALU_DEP_3) | instskip(NEXT) | instid1(VALU_DEP_1)
	v_dual_cndmask_b32 v5, 0, v5 :: v_dual_cndmask_b32 v4, 3, v4
	v_cmp_ne_u64_e32 vcc_lo, 0, v[4:5]
	s_or_b32 s7, s7, vcc_lo
	s_delay_alu instid0(SALU_CYCLE_1) | instskip(NEXT) | instid1(SALU_CYCLE_1)
	s_and_saveexec_b32 s40, s7
	s_xor_b32 s7, exec_lo, s40
; %bb.14584:                            ;   in Loop: Header=BB6_14012 Depth=2
	v_min_i32_e32 v0, 31, v6
	s_delay_alu instid0(VALU_DEP_1) | instskip(NEXT) | instid1(VALU_DEP_1)
	v_lshl_or_b32 v0, v0, 2, v3
                                        ; implicit-def: $vgpr3
	v_and_or_b32 v58, v4, 3, v0
; %bb.14585:                            ;   in Loop: Header=BB6_14012 Depth=2
	s_and_not1_saveexec_b32 s7, s7
; %bb.14586:                            ;   in Loop: Header=BB6_14012 Depth=2
	v_mov_b32_e32 v58, v3
; %bb.14587:                            ;   in Loop: Header=BB6_14012 Depth=2
	s_or_b32 exec_lo, exec_lo, s7
.LBB6_14588:                            ;   in Loop: Header=BB6_14012 Depth=2
	s_delay_alu instid0(SALU_CYCLE_1)
	s_or_b32 exec_lo, exec_lo, s29
                                        ; implicit-def: $vgpr3
.LBB6_14589:                            ;   in Loop: Header=BB6_14012 Depth=2
	s_and_not1_saveexec_b32 s7, s11
; %bb.14590:                            ;   in Loop: Header=BB6_14012 Depth=2
	v_or_b32_e32 v58, 0x7b, v3
; %bb.14591:                            ;   in Loop: Header=BB6_14012 Depth=2
	s_or_b32 exec_lo, exec_lo, s7
                                        ; implicit-def: $vgpr4
.LBB6_14592:                            ;   in Loop: Header=BB6_14012 Depth=2
	s_and_not1_saveexec_b32 s7, s10
	s_cbranch_execz .LBB6_14598
; %bb.14593:                            ;   in Loop: Header=BB6_14012 Depth=2
	s_mov_b32 s10, exec_lo
                                        ; implicit-def: $vgpr58
	v_cmpx_ne_u64_e32 0, v[0:1]
	s_xor_b32 s10, exec_lo, s10
; %bb.14594:                            ;   in Loop: Header=BB6_14012 Depth=2
	v_lshrrev_b32_e32 v0, 24, v4
                                        ; implicit-def: $vgpr4
	s_delay_alu instid0(VALU_DEP_1)
	v_or_b32_e32 v58, 0x7f, v0
; %bb.14595:                            ;   in Loop: Header=BB6_14012 Depth=2
	s_and_not1_saveexec_b32 s10, s10
; %bb.14596:                            ;   in Loop: Header=BB6_14012 Depth=2
	v_cmp_lt_i32_e32 vcc_lo, -1, v4
	v_cndmask_b32_e64 v58, -4, 0x7c, vcc_lo
; %bb.14597:                            ;   in Loop: Header=BB6_14012 Depth=2
	s_or_b32 exec_lo, exec_lo, s10
.LBB6_14598:                            ;   in Loop: Header=BB6_14012 Depth=2
	s_delay_alu instid0(SALU_CYCLE_1)
	s_or_b32 exec_lo, exec_lo, s7
	flat_load_i8 v4, v[10:11] offset:544 th:TH_LOAD_NT
	v_mov_b32_e32 v3, 0
	s_mov_b32 s7, exec_lo
	s_wait_loadcnt_dscnt 0x0
	v_cmpx_ne_u16_e32 0, v4
	s_cbranch_execz .LBB6_14608
; %bb.14599:                            ;   in Loop: Header=BB6_14012 Depth=2
	v_bfrev_b32_e32 v3, 1
	s_mov_b32 s10, exec_lo
	v_cmpx_ne_u16_e32 0xff80, v4
	s_cbranch_execz .LBB6_14607
; %bb.14600:                            ;   in Loop: Header=BB6_14012 Depth=2
	v_and_b32_e32 v3, 0x7c, v4
	v_and_b32_e32 v0, 3, v4
	s_delay_alu instid0(VALU_DEP_2) | instskip(SKIP_1) | instid1(SALU_CYCLE_1)
	v_cmp_ne_u32_e32 vcc_lo, 0x7c, v3
                                        ; implicit-def: $vgpr3
	s_and_saveexec_b32 s11, vcc_lo
	s_xor_b32 s11, exec_lo, s11
	s_cbranch_execz .LBB6_14604
; %bb.14601:                            ;   in Loop: Header=BB6_14012 Depth=2
	v_and_b32_e32 v3, 0xff, v4
	s_mov_b32 s29, exec_lo
	s_delay_alu instid0(VALU_DEP_1) | instskip(NEXT) | instid1(VALU_DEP_1)
	v_bfe_u32 v3, v3, 2, 5
	v_cmpx_eq_u32_e32 0, v3
; %bb.14602:                            ;   in Loop: Header=BB6_14012 Depth=2
	v_clz_i32_u32_e32 v0, v0
	s_delay_alu instid0(VALU_DEP_1) | instskip(SKIP_1) | instid1(VALU_DEP_2)
	v_min_u32_e32 v0, 32, v0
	v_mov_b32_e32 v5, v1
	v_subrev_nc_u32_e32 v3, 29, v0
	s_delay_alu instid0(VALU_DEP_1) | instskip(NEXT) | instid1(VALU_DEP_1)
	v_lshlrev_b64_e32 v[6:7], v3, v[4:5]
	v_dual_sub_nc_u32 v3, 30, v0 :: v_dual_bitop2_b32 v0, 3, v6 bitop3:0x40
; %bb.14603:                            ;   in Loop: Header=BB6_14012 Depth=2
	s_or_b32 exec_lo, exec_lo, s29
	v_bfe_i32 v4, v4, 0, 16
	s_delay_alu instid0(VALU_DEP_1) | instskip(NEXT) | instid1(VALU_DEP_1)
	v_and_b32_e32 v4, 0x80000000, v4
	v_lshl_add_u32 v3, v3, 23, v4
                                        ; implicit-def: $vgpr4
	s_delay_alu instid0(VALU_DEP_1) | instskip(NEXT) | instid1(VALU_DEP_1)
	v_lshl_or_b32 v0, v0, 21, v3
	v_add_nc_u32_e32 v3, 0x38000000, v0
                                        ; implicit-def: $vgpr0
.LBB6_14604:                            ;   in Loop: Header=BB6_14012 Depth=2
	s_and_not1_saveexec_b32 s11, s11
; %bb.14605:                            ;   in Loop: Header=BB6_14012 Depth=2
	v_cmp_lt_i16_e32 vcc_lo, -1, v4
	v_mov_b32_e32 v3, 0x7f800000
	s_delay_alu instid0(VALU_DEP_1) | instskip(SKIP_1) | instid1(VALU_DEP_2)
	v_cndmask_b32_e32 v3, 0xff800000, v3, vcc_lo
	v_cmp_eq_u32_e32 vcc_lo, 0, v0
	v_cndmask_b32_e32 v3, 0x7f800001, v3, vcc_lo
; %bb.14606:                            ;   in Loop: Header=BB6_14012 Depth=2
	s_or_b32 exec_lo, exec_lo, s11
.LBB6_14607:                            ;   in Loop: Header=BB6_14012 Depth=2
	s_delay_alu instid0(SALU_CYCLE_1)
	s_or_b32 exec_lo, exec_lo, s10
.LBB6_14608:                            ;   in Loop: Header=BB6_14012 Depth=2
	s_delay_alu instid0(SALU_CYCLE_1) | instskip(NEXT) | instid1(VALU_DEP_1)
	s_or_b32 exec_lo, exec_lo, s7
	v_dual_mul_f32 v4, s28, v3 :: v_dual_mov_b32 v7, v1
                                        ; implicit-def: $vgpr46
	s_mov_b32 s7, exec_lo
	s_delay_alu instid0(VALU_DEP_1) | instskip(SKIP_1) | instid1(VALU_DEP_2)
	v_and_b32_e32 v6, 0x7f800000, v4
	v_and_b32_e32 v0, 0x7fffff, v4
	v_cmpx_ne_u64_e32 0x7f800000, v[6:7]
	s_xor_b32 s10, exec_lo, s7
	s_cbranch_execz .LBB6_14626
; %bb.14609:                            ;   in Loop: Header=BB6_14012 Depth=2
	v_dual_mov_b32 v7, v1 :: v_dual_lshrrev_b32 v3, 24, v4
	v_and_b32_e32 v6, 0x7fffffff, v4
                                        ; implicit-def: $vgpr46
	s_mov_b32 s7, exec_lo
	s_delay_alu instid0(VALU_DEP_2) | instskip(NEXT) | instid1(VALU_DEP_2)
	v_and_b32_e32 v3, 0x80, v3
	v_cmpx_gt_u64_e32 0x47600001, v[6:7]
	s_xor_b32 s11, exec_lo, s7
	s_cbranch_execz .LBB6_14623
; %bb.14610:                            ;   in Loop: Header=BB6_14012 Depth=2
	v_mov_b32_e32 v46, 0
	s_mov_b32 s29, exec_lo
	v_cmpx_ne_u32_e32 0, v4
	s_cbranch_execz .LBB6_14622
; %bb.14611:                            ;   in Loop: Header=BB6_14012 Depth=2
	v_bfe_u32 v8, v4, 23, 8
	v_or_b32_e32 v6, 0x800000, v0
	s_mov_b32 s40, exec_lo
	s_delay_alu instid0(VALU_DEP_2) | instskip(SKIP_1) | instid1(VALU_DEP_2)
	v_dual_mov_b32 v7, v1 :: v_dual_sub_nc_u32 v4, 0x71, v8
	v_cmp_gt_u32_e32 vcc_lo, 0x72, v8
	v_cndmask_b32_e32 v4, 0, v4, vcc_lo
	v_cmp_eq_u32_e32 vcc_lo, 0, v8
	s_delay_alu instid0(VALU_DEP_2) | instskip(NEXT) | instid1(VALU_DEP_1)
	v_cndmask_b32_e64 v9, v4, 0x70, vcc_lo
	v_dual_cndmask_b32 v6, v6, v0, vcc_lo :: v_dual_add_nc_u32 v4, 21, v9
	v_add_nc_u32_e32 v16, 20, v9
	s_delay_alu instid0(VALU_DEP_2) | instskip(NEXT) | instid1(VALU_DEP_2)
	v_lshlrev_b64_e64 v[4:5], v4, -1
	v_lshlrev_b64_e64 v[16:17], v16, 1
	s_delay_alu instid0(VALU_DEP_2) | instskip(NEXT) | instid1(VALU_DEP_3)
	v_bfi_b32 v19, v5, 0, 0
	v_bfi_b32 v18, v4, 0, v6
	v_lshrrev_b64 v[4:5], v9, v[6:7]
	s_delay_alu instid0(VALU_DEP_1) | instskip(NEXT) | instid1(VALU_DEP_3)
	v_mov_b64_e32 v[6:7], v[4:5]
	v_cmpx_eq_u64_e64 v[18:19], v[16:17]
; %bb.14612:                            ;   in Loop: Header=BB6_14012 Depth=2
	v_bfe_u32 v6, v4, 21, 1
	v_mov_b32_e32 v7, v1
	s_delay_alu instid0(VALU_DEP_1) | instskip(NEXT) | instid1(VALU_DEP_1)
	v_add_nc_u64_e32 v[6:7], v[4:5], v[6:7]
	v_add_nc_u64_e32 v[6:7], -1, v[6:7]
; %bb.14613:                            ;   in Loop: Header=BB6_14012 Depth=2
	s_or_b32 exec_lo, exec_lo, s40
	v_add_nc_u32_e32 v0, 0xffffff81, v8
	s_delay_alu instid0(VALU_DEP_2) | instskip(SKIP_2) | instid1(VALU_DEP_3)
	v_and_b32_e32 v6, 0x1fffff, v6
	v_lshrrev_b32_e32 v5, 23, v4
	s_mov_b32 s7, exec_lo
	v_cndmask_b32_e64 v0, v0, 0xffffff82, vcc_lo
	s_delay_alu instid0(VALU_DEP_1) | instskip(SKIP_1) | instid1(VALU_DEP_2)
	v_add3_u32 v7, v9, v0, v5
	v_add_nc_u32_e32 v0, v6, v4
                                        ; implicit-def: $vgpr4_vgpr5
                                        ; implicit-def: $vgpr6
	v_add_nc_u32_e32 v8, 14, v7
	s_delay_alu instid0(VALU_DEP_1)
	v_cmpx_ne_u32_e32 0, v8
	s_xor_b32 s7, exec_lo, s7
; %bb.14614:                            ;   in Loop: Header=BB6_14012 Depth=2
	s_delay_alu instid0(VALU_DEP_3) | instskip(SKIP_1) | instid1(VALU_DEP_1)
	v_cmp_lt_u64_e32 vcc_lo, 0xffffff, v[0:1]
	v_add_nc_u32_e32 v4, 15, v7
	v_cndmask_b32_e32 v6, v8, v4, vcc_lo
	v_cndmask_b32_e64 v4, 0, 1, vcc_lo
	s_delay_alu instid0(VALU_DEP_1)
	v_lshrrev_b64 v[4:5], v4, v[0:1]
; %bb.14615:                            ;   in Loop: Header=BB6_14012 Depth=2
	s_and_not1_saveexec_b32 s7, s7
; %bb.14616:                            ;   in Loop: Header=BB6_14012 Depth=2
	v_mov_b64_e32 v[4:5], v[0:1]
	v_bfe_u32 v6, v0, 23, 1
; %bb.14617:                            ;   in Loop: Header=BB6_14012 Depth=2
	s_or_b32 exec_lo, exec_lo, s7
	s_delay_alu instid0(VALU_DEP_2) | instskip(NEXT) | instid1(VALU_DEP_2)
	v_lshrrev_b64 v[4:5], 21, v[4:5]
	v_cmp_gt_i32_e32 vcc_lo, 32, v6
	v_cmp_ne_u32_e64 s7, 0, v6
                                        ; implicit-def: $vgpr46
	s_delay_alu instid0(VALU_DEP_3) | instskip(NEXT) | instid1(VALU_DEP_1)
	v_dual_cndmask_b32 v5, 0, v5 :: v_dual_cndmask_b32 v4, 3, v4
	v_cmp_ne_u64_e32 vcc_lo, 0, v[4:5]
	s_or_b32 s7, s7, vcc_lo
	s_delay_alu instid0(SALU_CYCLE_1) | instskip(NEXT) | instid1(SALU_CYCLE_1)
	s_and_saveexec_b32 s40, s7
	s_xor_b32 s7, exec_lo, s40
; %bb.14618:                            ;   in Loop: Header=BB6_14012 Depth=2
	v_min_i32_e32 v0, 31, v6
	s_delay_alu instid0(VALU_DEP_1) | instskip(NEXT) | instid1(VALU_DEP_1)
	v_lshl_or_b32 v0, v0, 2, v3
                                        ; implicit-def: $vgpr3
	v_and_or_b32 v46, v4, 3, v0
; %bb.14619:                            ;   in Loop: Header=BB6_14012 Depth=2
	s_and_not1_saveexec_b32 s7, s7
; %bb.14620:                            ;   in Loop: Header=BB6_14012 Depth=2
	v_mov_b32_e32 v46, v3
; %bb.14621:                            ;   in Loop: Header=BB6_14012 Depth=2
	s_or_b32 exec_lo, exec_lo, s7
.LBB6_14622:                            ;   in Loop: Header=BB6_14012 Depth=2
	s_delay_alu instid0(SALU_CYCLE_1)
	s_or_b32 exec_lo, exec_lo, s29
                                        ; implicit-def: $vgpr3
.LBB6_14623:                            ;   in Loop: Header=BB6_14012 Depth=2
	s_and_not1_saveexec_b32 s7, s11
; %bb.14624:                            ;   in Loop: Header=BB6_14012 Depth=2
	v_or_b32_e32 v46, 0x7b, v3
; %bb.14625:                            ;   in Loop: Header=BB6_14012 Depth=2
	s_or_b32 exec_lo, exec_lo, s7
                                        ; implicit-def: $vgpr4
.LBB6_14626:                            ;   in Loop: Header=BB6_14012 Depth=2
	s_and_not1_saveexec_b32 s7, s10
	s_cbranch_execz .LBB6_14632
; %bb.14627:                            ;   in Loop: Header=BB6_14012 Depth=2
	s_mov_b32 s10, exec_lo
                                        ; implicit-def: $vgpr46
	v_cmpx_ne_u64_e32 0, v[0:1]
	s_xor_b32 s10, exec_lo, s10
; %bb.14628:                            ;   in Loop: Header=BB6_14012 Depth=2
	v_lshrrev_b32_e32 v0, 24, v4
                                        ; implicit-def: $vgpr4
	s_delay_alu instid0(VALU_DEP_1)
	v_or_b32_e32 v46, 0x7f, v0
; %bb.14629:                            ;   in Loop: Header=BB6_14012 Depth=2
	s_and_not1_saveexec_b32 s10, s10
; %bb.14630:                            ;   in Loop: Header=BB6_14012 Depth=2
	v_cmp_lt_i32_e32 vcc_lo, -1, v4
	v_cndmask_b32_e64 v46, -4, 0x7c, vcc_lo
; %bb.14631:                            ;   in Loop: Header=BB6_14012 Depth=2
	s_or_b32 exec_lo, exec_lo, s10
.LBB6_14632:                            ;   in Loop: Header=BB6_14012 Depth=2
	s_delay_alu instid0(SALU_CYCLE_1)
	s_or_b32 exec_lo, exec_lo, s7
	flat_load_i8 v4, v[10:11] offset:576 th:TH_LOAD_NT
	v_mov_b32_e32 v3, 0
	s_mov_b32 s7, exec_lo
	s_wait_loadcnt_dscnt 0x0
	v_cmpx_ne_u16_e32 0, v4
	s_cbranch_execz .LBB6_14642
; %bb.14633:                            ;   in Loop: Header=BB6_14012 Depth=2
	v_bfrev_b32_e32 v3, 1
	s_mov_b32 s10, exec_lo
	v_cmpx_ne_u16_e32 0xff80, v4
	s_cbranch_execz .LBB6_14641
; %bb.14634:                            ;   in Loop: Header=BB6_14012 Depth=2
	v_and_b32_e32 v3, 0x7c, v4
	v_and_b32_e32 v0, 3, v4
	s_delay_alu instid0(VALU_DEP_2) | instskip(SKIP_1) | instid1(SALU_CYCLE_1)
	v_cmp_ne_u32_e32 vcc_lo, 0x7c, v3
                                        ; implicit-def: $vgpr3
	s_and_saveexec_b32 s11, vcc_lo
	s_xor_b32 s11, exec_lo, s11
	s_cbranch_execz .LBB6_14638
; %bb.14635:                            ;   in Loop: Header=BB6_14012 Depth=2
	v_and_b32_e32 v3, 0xff, v4
	s_mov_b32 s29, exec_lo
	s_delay_alu instid0(VALU_DEP_1) | instskip(NEXT) | instid1(VALU_DEP_1)
	v_bfe_u32 v3, v3, 2, 5
	v_cmpx_eq_u32_e32 0, v3
; %bb.14636:                            ;   in Loop: Header=BB6_14012 Depth=2
	v_clz_i32_u32_e32 v0, v0
	s_delay_alu instid0(VALU_DEP_1) | instskip(SKIP_1) | instid1(VALU_DEP_2)
	v_min_u32_e32 v0, 32, v0
	v_mov_b32_e32 v5, v1
	v_subrev_nc_u32_e32 v3, 29, v0
	s_delay_alu instid0(VALU_DEP_1) | instskip(NEXT) | instid1(VALU_DEP_1)
	v_lshlrev_b64_e32 v[6:7], v3, v[4:5]
	v_dual_sub_nc_u32 v3, 30, v0 :: v_dual_bitop2_b32 v0, 3, v6 bitop3:0x40
; %bb.14637:                            ;   in Loop: Header=BB6_14012 Depth=2
	s_or_b32 exec_lo, exec_lo, s29
	v_bfe_i32 v4, v4, 0, 16
	s_delay_alu instid0(VALU_DEP_1) | instskip(NEXT) | instid1(VALU_DEP_1)
	v_and_b32_e32 v4, 0x80000000, v4
	v_lshl_add_u32 v3, v3, 23, v4
                                        ; implicit-def: $vgpr4
	s_delay_alu instid0(VALU_DEP_1) | instskip(NEXT) | instid1(VALU_DEP_1)
	v_lshl_or_b32 v0, v0, 21, v3
	v_add_nc_u32_e32 v3, 0x38000000, v0
                                        ; implicit-def: $vgpr0
.LBB6_14638:                            ;   in Loop: Header=BB6_14012 Depth=2
	s_and_not1_saveexec_b32 s11, s11
; %bb.14639:                            ;   in Loop: Header=BB6_14012 Depth=2
	v_cmp_lt_i16_e32 vcc_lo, -1, v4
	v_mov_b32_e32 v3, 0x7f800000
	s_delay_alu instid0(VALU_DEP_1) | instskip(SKIP_1) | instid1(VALU_DEP_2)
	v_cndmask_b32_e32 v3, 0xff800000, v3, vcc_lo
	v_cmp_eq_u32_e32 vcc_lo, 0, v0
	v_cndmask_b32_e32 v3, 0x7f800001, v3, vcc_lo
; %bb.14640:                            ;   in Loop: Header=BB6_14012 Depth=2
	s_or_b32 exec_lo, exec_lo, s11
.LBB6_14641:                            ;   in Loop: Header=BB6_14012 Depth=2
	s_delay_alu instid0(SALU_CYCLE_1)
	s_or_b32 exec_lo, exec_lo, s10
.LBB6_14642:                            ;   in Loop: Header=BB6_14012 Depth=2
	s_delay_alu instid0(SALU_CYCLE_1) | instskip(NEXT) | instid1(VALU_DEP_1)
	s_or_b32 exec_lo, exec_lo, s7
	v_dual_mul_f32 v4, s28, v3 :: v_dual_mov_b32 v7, v1
                                        ; implicit-def: $vgpr44
	s_mov_b32 s7, exec_lo
	s_delay_alu instid0(VALU_DEP_1) | instskip(SKIP_1) | instid1(VALU_DEP_2)
	v_and_b32_e32 v6, 0x7f800000, v4
	v_and_b32_e32 v0, 0x7fffff, v4
	v_cmpx_ne_u64_e32 0x7f800000, v[6:7]
	s_xor_b32 s10, exec_lo, s7
	s_cbranch_execz .LBB6_14660
; %bb.14643:                            ;   in Loop: Header=BB6_14012 Depth=2
	v_dual_mov_b32 v7, v1 :: v_dual_lshrrev_b32 v3, 24, v4
	v_and_b32_e32 v6, 0x7fffffff, v4
                                        ; implicit-def: $vgpr44
	s_mov_b32 s7, exec_lo
	s_delay_alu instid0(VALU_DEP_2) | instskip(NEXT) | instid1(VALU_DEP_2)
	v_and_b32_e32 v3, 0x80, v3
	v_cmpx_gt_u64_e32 0x47600001, v[6:7]
	s_xor_b32 s11, exec_lo, s7
	s_cbranch_execz .LBB6_14657
; %bb.14644:                            ;   in Loop: Header=BB6_14012 Depth=2
	v_mov_b32_e32 v44, 0
	s_mov_b32 s29, exec_lo
	v_cmpx_ne_u32_e32 0, v4
	s_cbranch_execz .LBB6_14656
; %bb.14645:                            ;   in Loop: Header=BB6_14012 Depth=2
	v_bfe_u32 v8, v4, 23, 8
	v_or_b32_e32 v6, 0x800000, v0
	s_mov_b32 s40, exec_lo
	s_delay_alu instid0(VALU_DEP_2) | instskip(SKIP_1) | instid1(VALU_DEP_2)
	v_dual_mov_b32 v7, v1 :: v_dual_sub_nc_u32 v4, 0x71, v8
	v_cmp_gt_u32_e32 vcc_lo, 0x72, v8
	v_cndmask_b32_e32 v4, 0, v4, vcc_lo
	v_cmp_eq_u32_e32 vcc_lo, 0, v8
	s_delay_alu instid0(VALU_DEP_2) | instskip(NEXT) | instid1(VALU_DEP_1)
	v_cndmask_b32_e64 v9, v4, 0x70, vcc_lo
	v_dual_cndmask_b32 v6, v6, v0, vcc_lo :: v_dual_add_nc_u32 v4, 21, v9
	v_add_nc_u32_e32 v16, 20, v9
	s_delay_alu instid0(VALU_DEP_2) | instskip(NEXT) | instid1(VALU_DEP_2)
	v_lshlrev_b64_e64 v[4:5], v4, -1
	v_lshlrev_b64_e64 v[16:17], v16, 1
	s_delay_alu instid0(VALU_DEP_2) | instskip(NEXT) | instid1(VALU_DEP_3)
	v_bfi_b32 v19, v5, 0, 0
	v_bfi_b32 v18, v4, 0, v6
	v_lshrrev_b64 v[4:5], v9, v[6:7]
	s_delay_alu instid0(VALU_DEP_1) | instskip(NEXT) | instid1(VALU_DEP_3)
	v_mov_b64_e32 v[6:7], v[4:5]
	v_cmpx_eq_u64_e64 v[18:19], v[16:17]
; %bb.14646:                            ;   in Loop: Header=BB6_14012 Depth=2
	v_bfe_u32 v6, v4, 21, 1
	v_mov_b32_e32 v7, v1
	s_delay_alu instid0(VALU_DEP_1) | instskip(NEXT) | instid1(VALU_DEP_1)
	v_add_nc_u64_e32 v[6:7], v[4:5], v[6:7]
	v_add_nc_u64_e32 v[6:7], -1, v[6:7]
; %bb.14647:                            ;   in Loop: Header=BB6_14012 Depth=2
	s_or_b32 exec_lo, exec_lo, s40
	v_add_nc_u32_e32 v0, 0xffffff81, v8
	s_delay_alu instid0(VALU_DEP_2) | instskip(SKIP_2) | instid1(VALU_DEP_3)
	v_and_b32_e32 v6, 0x1fffff, v6
	v_lshrrev_b32_e32 v5, 23, v4
	s_mov_b32 s7, exec_lo
	v_cndmask_b32_e64 v0, v0, 0xffffff82, vcc_lo
	s_delay_alu instid0(VALU_DEP_1) | instskip(SKIP_1) | instid1(VALU_DEP_2)
	v_add3_u32 v7, v9, v0, v5
	v_add_nc_u32_e32 v0, v6, v4
                                        ; implicit-def: $vgpr4_vgpr5
                                        ; implicit-def: $vgpr6
	v_add_nc_u32_e32 v8, 14, v7
	s_delay_alu instid0(VALU_DEP_1)
	v_cmpx_ne_u32_e32 0, v8
	s_xor_b32 s7, exec_lo, s7
; %bb.14648:                            ;   in Loop: Header=BB6_14012 Depth=2
	s_delay_alu instid0(VALU_DEP_3) | instskip(SKIP_1) | instid1(VALU_DEP_1)
	v_cmp_lt_u64_e32 vcc_lo, 0xffffff, v[0:1]
	v_add_nc_u32_e32 v4, 15, v7
	v_cndmask_b32_e32 v6, v8, v4, vcc_lo
	v_cndmask_b32_e64 v4, 0, 1, vcc_lo
	s_delay_alu instid0(VALU_DEP_1)
	v_lshrrev_b64 v[4:5], v4, v[0:1]
; %bb.14649:                            ;   in Loop: Header=BB6_14012 Depth=2
	s_and_not1_saveexec_b32 s7, s7
; %bb.14650:                            ;   in Loop: Header=BB6_14012 Depth=2
	v_mov_b64_e32 v[4:5], v[0:1]
	v_bfe_u32 v6, v0, 23, 1
; %bb.14651:                            ;   in Loop: Header=BB6_14012 Depth=2
	s_or_b32 exec_lo, exec_lo, s7
	s_delay_alu instid0(VALU_DEP_2) | instskip(NEXT) | instid1(VALU_DEP_2)
	v_lshrrev_b64 v[4:5], 21, v[4:5]
	v_cmp_gt_i32_e32 vcc_lo, 32, v6
	v_cmp_ne_u32_e64 s7, 0, v6
                                        ; implicit-def: $vgpr44
	s_delay_alu instid0(VALU_DEP_3) | instskip(NEXT) | instid1(VALU_DEP_1)
	v_dual_cndmask_b32 v5, 0, v5 :: v_dual_cndmask_b32 v4, 3, v4
	v_cmp_ne_u64_e32 vcc_lo, 0, v[4:5]
	s_or_b32 s7, s7, vcc_lo
	s_delay_alu instid0(SALU_CYCLE_1) | instskip(NEXT) | instid1(SALU_CYCLE_1)
	s_and_saveexec_b32 s40, s7
	s_xor_b32 s7, exec_lo, s40
; %bb.14652:                            ;   in Loop: Header=BB6_14012 Depth=2
	v_min_i32_e32 v0, 31, v6
	s_delay_alu instid0(VALU_DEP_1) | instskip(NEXT) | instid1(VALU_DEP_1)
	v_lshl_or_b32 v0, v0, 2, v3
                                        ; implicit-def: $vgpr3
	v_and_or_b32 v44, v4, 3, v0
; %bb.14653:                            ;   in Loop: Header=BB6_14012 Depth=2
	s_and_not1_saveexec_b32 s7, s7
; %bb.14654:                            ;   in Loop: Header=BB6_14012 Depth=2
	v_mov_b32_e32 v44, v3
; %bb.14655:                            ;   in Loop: Header=BB6_14012 Depth=2
	s_or_b32 exec_lo, exec_lo, s7
.LBB6_14656:                            ;   in Loop: Header=BB6_14012 Depth=2
	s_delay_alu instid0(SALU_CYCLE_1)
	s_or_b32 exec_lo, exec_lo, s29
                                        ; implicit-def: $vgpr3
.LBB6_14657:                            ;   in Loop: Header=BB6_14012 Depth=2
	s_and_not1_saveexec_b32 s7, s11
; %bb.14658:                            ;   in Loop: Header=BB6_14012 Depth=2
	v_or_b32_e32 v44, 0x7b, v3
; %bb.14659:                            ;   in Loop: Header=BB6_14012 Depth=2
	s_or_b32 exec_lo, exec_lo, s7
                                        ; implicit-def: $vgpr4
.LBB6_14660:                            ;   in Loop: Header=BB6_14012 Depth=2
	s_and_not1_saveexec_b32 s7, s10
	s_cbranch_execz .LBB6_14666
; %bb.14661:                            ;   in Loop: Header=BB6_14012 Depth=2
	s_mov_b32 s10, exec_lo
                                        ; implicit-def: $vgpr44
	v_cmpx_ne_u64_e32 0, v[0:1]
	s_xor_b32 s10, exec_lo, s10
; %bb.14662:                            ;   in Loop: Header=BB6_14012 Depth=2
	v_lshrrev_b32_e32 v0, 24, v4
                                        ; implicit-def: $vgpr4
	s_delay_alu instid0(VALU_DEP_1)
	v_or_b32_e32 v44, 0x7f, v0
; %bb.14663:                            ;   in Loop: Header=BB6_14012 Depth=2
	s_and_not1_saveexec_b32 s10, s10
; %bb.14664:                            ;   in Loop: Header=BB6_14012 Depth=2
	v_cmp_lt_i32_e32 vcc_lo, -1, v4
	v_cndmask_b32_e64 v44, -4, 0x7c, vcc_lo
; %bb.14665:                            ;   in Loop: Header=BB6_14012 Depth=2
	s_or_b32 exec_lo, exec_lo, s10
.LBB6_14666:                            ;   in Loop: Header=BB6_14012 Depth=2
	s_delay_alu instid0(SALU_CYCLE_1)
	s_or_b32 exec_lo, exec_lo, s7
	flat_load_i8 v4, v[10:11] offset:608 th:TH_LOAD_NT
	v_mov_b32_e32 v3, 0
	s_mov_b32 s7, exec_lo
	s_wait_loadcnt_dscnt 0x0
	v_cmpx_ne_u16_e32 0, v4
	s_cbranch_execz .LBB6_14676
; %bb.14667:                            ;   in Loop: Header=BB6_14012 Depth=2
	v_bfrev_b32_e32 v3, 1
	s_mov_b32 s10, exec_lo
	v_cmpx_ne_u16_e32 0xff80, v4
	s_cbranch_execz .LBB6_14675
; %bb.14668:                            ;   in Loop: Header=BB6_14012 Depth=2
	v_and_b32_e32 v3, 0x7c, v4
	v_and_b32_e32 v0, 3, v4
	s_delay_alu instid0(VALU_DEP_2) | instskip(SKIP_1) | instid1(SALU_CYCLE_1)
	v_cmp_ne_u32_e32 vcc_lo, 0x7c, v3
                                        ; implicit-def: $vgpr3
	s_and_saveexec_b32 s11, vcc_lo
	s_xor_b32 s11, exec_lo, s11
	s_cbranch_execz .LBB6_14672
; %bb.14669:                            ;   in Loop: Header=BB6_14012 Depth=2
	v_and_b32_e32 v3, 0xff, v4
	s_mov_b32 s29, exec_lo
	s_delay_alu instid0(VALU_DEP_1) | instskip(NEXT) | instid1(VALU_DEP_1)
	v_bfe_u32 v3, v3, 2, 5
	v_cmpx_eq_u32_e32 0, v3
; %bb.14670:                            ;   in Loop: Header=BB6_14012 Depth=2
	v_clz_i32_u32_e32 v0, v0
	s_delay_alu instid0(VALU_DEP_1) | instskip(SKIP_1) | instid1(VALU_DEP_2)
	v_min_u32_e32 v0, 32, v0
	v_mov_b32_e32 v5, v1
	v_subrev_nc_u32_e32 v3, 29, v0
	s_delay_alu instid0(VALU_DEP_1) | instskip(NEXT) | instid1(VALU_DEP_1)
	v_lshlrev_b64_e32 v[6:7], v3, v[4:5]
	v_dual_sub_nc_u32 v3, 30, v0 :: v_dual_bitop2_b32 v0, 3, v6 bitop3:0x40
; %bb.14671:                            ;   in Loop: Header=BB6_14012 Depth=2
	s_or_b32 exec_lo, exec_lo, s29
	v_bfe_i32 v4, v4, 0, 16
	s_delay_alu instid0(VALU_DEP_1) | instskip(NEXT) | instid1(VALU_DEP_1)
	v_and_b32_e32 v4, 0x80000000, v4
	v_lshl_add_u32 v3, v3, 23, v4
                                        ; implicit-def: $vgpr4
	s_delay_alu instid0(VALU_DEP_1) | instskip(NEXT) | instid1(VALU_DEP_1)
	v_lshl_or_b32 v0, v0, 21, v3
	v_add_nc_u32_e32 v3, 0x38000000, v0
                                        ; implicit-def: $vgpr0
.LBB6_14672:                            ;   in Loop: Header=BB6_14012 Depth=2
	s_and_not1_saveexec_b32 s11, s11
; %bb.14673:                            ;   in Loop: Header=BB6_14012 Depth=2
	v_cmp_lt_i16_e32 vcc_lo, -1, v4
	v_mov_b32_e32 v3, 0x7f800000
	s_delay_alu instid0(VALU_DEP_1) | instskip(SKIP_1) | instid1(VALU_DEP_2)
	v_cndmask_b32_e32 v3, 0xff800000, v3, vcc_lo
	v_cmp_eq_u32_e32 vcc_lo, 0, v0
	v_cndmask_b32_e32 v3, 0x7f800001, v3, vcc_lo
; %bb.14674:                            ;   in Loop: Header=BB6_14012 Depth=2
	s_or_b32 exec_lo, exec_lo, s11
.LBB6_14675:                            ;   in Loop: Header=BB6_14012 Depth=2
	s_delay_alu instid0(SALU_CYCLE_1)
	s_or_b32 exec_lo, exec_lo, s10
.LBB6_14676:                            ;   in Loop: Header=BB6_14012 Depth=2
	s_delay_alu instid0(SALU_CYCLE_1) | instskip(NEXT) | instid1(VALU_DEP_1)
	s_or_b32 exec_lo, exec_lo, s7
	v_dual_mul_f32 v4, s28, v3 :: v_dual_mov_b32 v7, v1
                                        ; implicit-def: $vgpr42
	s_mov_b32 s7, exec_lo
	s_delay_alu instid0(VALU_DEP_1) | instskip(SKIP_1) | instid1(VALU_DEP_2)
	v_and_b32_e32 v6, 0x7f800000, v4
	v_and_b32_e32 v0, 0x7fffff, v4
	v_cmpx_ne_u64_e32 0x7f800000, v[6:7]
	s_xor_b32 s10, exec_lo, s7
	s_cbranch_execz .LBB6_14694
; %bb.14677:                            ;   in Loop: Header=BB6_14012 Depth=2
	v_dual_mov_b32 v7, v1 :: v_dual_lshrrev_b32 v3, 24, v4
	v_and_b32_e32 v6, 0x7fffffff, v4
                                        ; implicit-def: $vgpr42
	s_mov_b32 s7, exec_lo
	s_delay_alu instid0(VALU_DEP_2) | instskip(NEXT) | instid1(VALU_DEP_2)
	v_and_b32_e32 v3, 0x80, v3
	v_cmpx_gt_u64_e32 0x47600001, v[6:7]
	s_xor_b32 s11, exec_lo, s7
	s_cbranch_execz .LBB6_14691
; %bb.14678:                            ;   in Loop: Header=BB6_14012 Depth=2
	v_mov_b32_e32 v42, 0
	s_mov_b32 s29, exec_lo
	v_cmpx_ne_u32_e32 0, v4
	s_cbranch_execz .LBB6_14690
; %bb.14679:                            ;   in Loop: Header=BB6_14012 Depth=2
	v_bfe_u32 v8, v4, 23, 8
	v_or_b32_e32 v6, 0x800000, v0
	s_mov_b32 s40, exec_lo
	s_delay_alu instid0(VALU_DEP_2) | instskip(SKIP_1) | instid1(VALU_DEP_2)
	v_dual_mov_b32 v7, v1 :: v_dual_sub_nc_u32 v4, 0x71, v8
	v_cmp_gt_u32_e32 vcc_lo, 0x72, v8
	v_cndmask_b32_e32 v4, 0, v4, vcc_lo
	v_cmp_eq_u32_e32 vcc_lo, 0, v8
	s_delay_alu instid0(VALU_DEP_2) | instskip(NEXT) | instid1(VALU_DEP_1)
	v_cndmask_b32_e64 v9, v4, 0x70, vcc_lo
	v_dual_cndmask_b32 v6, v6, v0, vcc_lo :: v_dual_add_nc_u32 v4, 21, v9
	v_add_nc_u32_e32 v16, 20, v9
	s_delay_alu instid0(VALU_DEP_2) | instskip(NEXT) | instid1(VALU_DEP_2)
	v_lshlrev_b64_e64 v[4:5], v4, -1
	v_lshlrev_b64_e64 v[16:17], v16, 1
	s_delay_alu instid0(VALU_DEP_2) | instskip(NEXT) | instid1(VALU_DEP_3)
	v_bfi_b32 v19, v5, 0, 0
	v_bfi_b32 v18, v4, 0, v6
	v_lshrrev_b64 v[4:5], v9, v[6:7]
	s_delay_alu instid0(VALU_DEP_1) | instskip(NEXT) | instid1(VALU_DEP_3)
	v_mov_b64_e32 v[6:7], v[4:5]
	v_cmpx_eq_u64_e64 v[18:19], v[16:17]
; %bb.14680:                            ;   in Loop: Header=BB6_14012 Depth=2
	v_bfe_u32 v6, v4, 21, 1
	v_mov_b32_e32 v7, v1
	s_delay_alu instid0(VALU_DEP_1) | instskip(NEXT) | instid1(VALU_DEP_1)
	v_add_nc_u64_e32 v[6:7], v[4:5], v[6:7]
	v_add_nc_u64_e32 v[6:7], -1, v[6:7]
; %bb.14681:                            ;   in Loop: Header=BB6_14012 Depth=2
	s_or_b32 exec_lo, exec_lo, s40
	v_add_nc_u32_e32 v0, 0xffffff81, v8
	s_delay_alu instid0(VALU_DEP_2) | instskip(SKIP_2) | instid1(VALU_DEP_3)
	v_and_b32_e32 v6, 0x1fffff, v6
	v_lshrrev_b32_e32 v5, 23, v4
	s_mov_b32 s7, exec_lo
	v_cndmask_b32_e64 v0, v0, 0xffffff82, vcc_lo
	s_delay_alu instid0(VALU_DEP_1) | instskip(SKIP_1) | instid1(VALU_DEP_2)
	v_add3_u32 v7, v9, v0, v5
	v_add_nc_u32_e32 v0, v6, v4
                                        ; implicit-def: $vgpr4_vgpr5
                                        ; implicit-def: $vgpr6
	v_add_nc_u32_e32 v8, 14, v7
	s_delay_alu instid0(VALU_DEP_1)
	v_cmpx_ne_u32_e32 0, v8
	s_xor_b32 s7, exec_lo, s7
; %bb.14682:                            ;   in Loop: Header=BB6_14012 Depth=2
	s_delay_alu instid0(VALU_DEP_3) | instskip(SKIP_1) | instid1(VALU_DEP_1)
	v_cmp_lt_u64_e32 vcc_lo, 0xffffff, v[0:1]
	v_add_nc_u32_e32 v4, 15, v7
	v_cndmask_b32_e32 v6, v8, v4, vcc_lo
	v_cndmask_b32_e64 v4, 0, 1, vcc_lo
	s_delay_alu instid0(VALU_DEP_1)
	v_lshrrev_b64 v[4:5], v4, v[0:1]
; %bb.14683:                            ;   in Loop: Header=BB6_14012 Depth=2
	s_and_not1_saveexec_b32 s7, s7
; %bb.14684:                            ;   in Loop: Header=BB6_14012 Depth=2
	v_mov_b64_e32 v[4:5], v[0:1]
	v_bfe_u32 v6, v0, 23, 1
; %bb.14685:                            ;   in Loop: Header=BB6_14012 Depth=2
	s_or_b32 exec_lo, exec_lo, s7
	s_delay_alu instid0(VALU_DEP_2) | instskip(NEXT) | instid1(VALU_DEP_2)
	v_lshrrev_b64 v[4:5], 21, v[4:5]
	v_cmp_gt_i32_e32 vcc_lo, 32, v6
	v_cmp_ne_u32_e64 s7, 0, v6
                                        ; implicit-def: $vgpr42
	s_delay_alu instid0(VALU_DEP_3) | instskip(NEXT) | instid1(VALU_DEP_1)
	v_dual_cndmask_b32 v5, 0, v5 :: v_dual_cndmask_b32 v4, 3, v4
	v_cmp_ne_u64_e32 vcc_lo, 0, v[4:5]
	s_or_b32 s7, s7, vcc_lo
	s_delay_alu instid0(SALU_CYCLE_1) | instskip(NEXT) | instid1(SALU_CYCLE_1)
	s_and_saveexec_b32 s40, s7
	s_xor_b32 s7, exec_lo, s40
; %bb.14686:                            ;   in Loop: Header=BB6_14012 Depth=2
	v_min_i32_e32 v0, 31, v6
	s_delay_alu instid0(VALU_DEP_1) | instskip(NEXT) | instid1(VALU_DEP_1)
	v_lshl_or_b32 v0, v0, 2, v3
                                        ; implicit-def: $vgpr3
	v_and_or_b32 v42, v4, 3, v0
; %bb.14687:                            ;   in Loop: Header=BB6_14012 Depth=2
	s_and_not1_saveexec_b32 s7, s7
; %bb.14688:                            ;   in Loop: Header=BB6_14012 Depth=2
	v_mov_b32_e32 v42, v3
; %bb.14689:                            ;   in Loop: Header=BB6_14012 Depth=2
	s_or_b32 exec_lo, exec_lo, s7
.LBB6_14690:                            ;   in Loop: Header=BB6_14012 Depth=2
	s_delay_alu instid0(SALU_CYCLE_1)
	s_or_b32 exec_lo, exec_lo, s29
                                        ; implicit-def: $vgpr3
.LBB6_14691:                            ;   in Loop: Header=BB6_14012 Depth=2
	s_and_not1_saveexec_b32 s7, s11
; %bb.14692:                            ;   in Loop: Header=BB6_14012 Depth=2
	v_or_b32_e32 v42, 0x7b, v3
; %bb.14693:                            ;   in Loop: Header=BB6_14012 Depth=2
	s_or_b32 exec_lo, exec_lo, s7
                                        ; implicit-def: $vgpr4
.LBB6_14694:                            ;   in Loop: Header=BB6_14012 Depth=2
	s_and_not1_saveexec_b32 s7, s10
	s_cbranch_execz .LBB6_14700
; %bb.14695:                            ;   in Loop: Header=BB6_14012 Depth=2
	s_mov_b32 s10, exec_lo
                                        ; implicit-def: $vgpr42
	v_cmpx_ne_u64_e32 0, v[0:1]
	s_xor_b32 s10, exec_lo, s10
; %bb.14696:                            ;   in Loop: Header=BB6_14012 Depth=2
	v_lshrrev_b32_e32 v0, 24, v4
                                        ; implicit-def: $vgpr4
	s_delay_alu instid0(VALU_DEP_1)
	v_or_b32_e32 v42, 0x7f, v0
; %bb.14697:                            ;   in Loop: Header=BB6_14012 Depth=2
	s_and_not1_saveexec_b32 s10, s10
; %bb.14698:                            ;   in Loop: Header=BB6_14012 Depth=2
	v_cmp_lt_i32_e32 vcc_lo, -1, v4
	v_cndmask_b32_e64 v42, -4, 0x7c, vcc_lo
; %bb.14699:                            ;   in Loop: Header=BB6_14012 Depth=2
	s_or_b32 exec_lo, exec_lo, s10
.LBB6_14700:                            ;   in Loop: Header=BB6_14012 Depth=2
	s_delay_alu instid0(SALU_CYCLE_1)
	s_or_b32 exec_lo, exec_lo, s7
	flat_load_i8 v4, v[10:11] offset:640 th:TH_LOAD_NT
	v_mov_b32_e32 v3, 0
	s_mov_b32 s7, exec_lo
	s_wait_loadcnt_dscnt 0x0
	v_cmpx_ne_u16_e32 0, v4
	s_cbranch_execz .LBB6_14710
; %bb.14701:                            ;   in Loop: Header=BB6_14012 Depth=2
	v_bfrev_b32_e32 v3, 1
	s_mov_b32 s10, exec_lo
	v_cmpx_ne_u16_e32 0xff80, v4
	s_cbranch_execz .LBB6_14709
; %bb.14702:                            ;   in Loop: Header=BB6_14012 Depth=2
	v_and_b32_e32 v3, 0x7c, v4
	v_and_b32_e32 v0, 3, v4
	s_delay_alu instid0(VALU_DEP_2) | instskip(SKIP_1) | instid1(SALU_CYCLE_1)
	v_cmp_ne_u32_e32 vcc_lo, 0x7c, v3
                                        ; implicit-def: $vgpr3
	s_and_saveexec_b32 s11, vcc_lo
	s_xor_b32 s11, exec_lo, s11
	s_cbranch_execz .LBB6_14706
; %bb.14703:                            ;   in Loop: Header=BB6_14012 Depth=2
	v_and_b32_e32 v3, 0xff, v4
	s_mov_b32 s29, exec_lo
	s_delay_alu instid0(VALU_DEP_1) | instskip(NEXT) | instid1(VALU_DEP_1)
	v_bfe_u32 v3, v3, 2, 5
	v_cmpx_eq_u32_e32 0, v3
; %bb.14704:                            ;   in Loop: Header=BB6_14012 Depth=2
	v_clz_i32_u32_e32 v0, v0
	s_delay_alu instid0(VALU_DEP_1) | instskip(SKIP_1) | instid1(VALU_DEP_2)
	v_min_u32_e32 v0, 32, v0
	v_mov_b32_e32 v5, v1
	v_subrev_nc_u32_e32 v3, 29, v0
	s_delay_alu instid0(VALU_DEP_1) | instskip(NEXT) | instid1(VALU_DEP_1)
	v_lshlrev_b64_e32 v[6:7], v3, v[4:5]
	v_dual_sub_nc_u32 v3, 30, v0 :: v_dual_bitop2_b32 v0, 3, v6 bitop3:0x40
; %bb.14705:                            ;   in Loop: Header=BB6_14012 Depth=2
	s_or_b32 exec_lo, exec_lo, s29
	v_bfe_i32 v4, v4, 0, 16
	s_delay_alu instid0(VALU_DEP_1) | instskip(NEXT) | instid1(VALU_DEP_1)
	v_and_b32_e32 v4, 0x80000000, v4
	v_lshl_add_u32 v3, v3, 23, v4
                                        ; implicit-def: $vgpr4
	s_delay_alu instid0(VALU_DEP_1) | instskip(NEXT) | instid1(VALU_DEP_1)
	v_lshl_or_b32 v0, v0, 21, v3
	v_add_nc_u32_e32 v3, 0x38000000, v0
                                        ; implicit-def: $vgpr0
.LBB6_14706:                            ;   in Loop: Header=BB6_14012 Depth=2
	s_and_not1_saveexec_b32 s11, s11
; %bb.14707:                            ;   in Loop: Header=BB6_14012 Depth=2
	v_cmp_lt_i16_e32 vcc_lo, -1, v4
	v_mov_b32_e32 v3, 0x7f800000
	s_delay_alu instid0(VALU_DEP_1) | instskip(SKIP_1) | instid1(VALU_DEP_2)
	v_cndmask_b32_e32 v3, 0xff800000, v3, vcc_lo
	v_cmp_eq_u32_e32 vcc_lo, 0, v0
	v_cndmask_b32_e32 v3, 0x7f800001, v3, vcc_lo
; %bb.14708:                            ;   in Loop: Header=BB6_14012 Depth=2
	s_or_b32 exec_lo, exec_lo, s11
.LBB6_14709:                            ;   in Loop: Header=BB6_14012 Depth=2
	s_delay_alu instid0(SALU_CYCLE_1)
	s_or_b32 exec_lo, exec_lo, s10
.LBB6_14710:                            ;   in Loop: Header=BB6_14012 Depth=2
	s_delay_alu instid0(SALU_CYCLE_1) | instskip(NEXT) | instid1(VALU_DEP_1)
	s_or_b32 exec_lo, exec_lo, s7
	v_dual_mul_f32 v4, s28, v3 :: v_dual_mov_b32 v7, v1
                                        ; implicit-def: $vgpr40
	s_mov_b32 s7, exec_lo
	s_delay_alu instid0(VALU_DEP_1) | instskip(SKIP_1) | instid1(VALU_DEP_2)
	v_and_b32_e32 v6, 0x7f800000, v4
	v_and_b32_e32 v0, 0x7fffff, v4
	v_cmpx_ne_u64_e32 0x7f800000, v[6:7]
	s_xor_b32 s10, exec_lo, s7
	s_cbranch_execz .LBB6_14728
; %bb.14711:                            ;   in Loop: Header=BB6_14012 Depth=2
	v_dual_mov_b32 v7, v1 :: v_dual_lshrrev_b32 v3, 24, v4
	v_and_b32_e32 v6, 0x7fffffff, v4
                                        ; implicit-def: $vgpr40
	s_mov_b32 s7, exec_lo
	s_delay_alu instid0(VALU_DEP_2) | instskip(NEXT) | instid1(VALU_DEP_2)
	v_and_b32_e32 v3, 0x80, v3
	v_cmpx_gt_u64_e32 0x47600001, v[6:7]
	s_xor_b32 s11, exec_lo, s7
	s_cbranch_execz .LBB6_14725
; %bb.14712:                            ;   in Loop: Header=BB6_14012 Depth=2
	v_mov_b32_e32 v40, 0
	s_mov_b32 s29, exec_lo
	v_cmpx_ne_u32_e32 0, v4
	s_cbranch_execz .LBB6_14724
; %bb.14713:                            ;   in Loop: Header=BB6_14012 Depth=2
	v_bfe_u32 v8, v4, 23, 8
	v_or_b32_e32 v6, 0x800000, v0
	s_mov_b32 s40, exec_lo
	s_delay_alu instid0(VALU_DEP_2) | instskip(SKIP_1) | instid1(VALU_DEP_2)
	v_dual_mov_b32 v7, v1 :: v_dual_sub_nc_u32 v4, 0x71, v8
	v_cmp_gt_u32_e32 vcc_lo, 0x72, v8
	v_cndmask_b32_e32 v4, 0, v4, vcc_lo
	v_cmp_eq_u32_e32 vcc_lo, 0, v8
	s_delay_alu instid0(VALU_DEP_2) | instskip(NEXT) | instid1(VALU_DEP_1)
	v_cndmask_b32_e64 v9, v4, 0x70, vcc_lo
	v_dual_cndmask_b32 v6, v6, v0, vcc_lo :: v_dual_add_nc_u32 v4, 21, v9
	v_add_nc_u32_e32 v16, 20, v9
	s_delay_alu instid0(VALU_DEP_2) | instskip(NEXT) | instid1(VALU_DEP_2)
	v_lshlrev_b64_e64 v[4:5], v4, -1
	v_lshlrev_b64_e64 v[16:17], v16, 1
	s_delay_alu instid0(VALU_DEP_2) | instskip(NEXT) | instid1(VALU_DEP_3)
	v_bfi_b32 v19, v5, 0, 0
	v_bfi_b32 v18, v4, 0, v6
	v_lshrrev_b64 v[4:5], v9, v[6:7]
	s_delay_alu instid0(VALU_DEP_1) | instskip(NEXT) | instid1(VALU_DEP_3)
	v_mov_b64_e32 v[6:7], v[4:5]
	v_cmpx_eq_u64_e64 v[18:19], v[16:17]
; %bb.14714:                            ;   in Loop: Header=BB6_14012 Depth=2
	v_bfe_u32 v6, v4, 21, 1
	v_mov_b32_e32 v7, v1
	s_delay_alu instid0(VALU_DEP_1) | instskip(NEXT) | instid1(VALU_DEP_1)
	v_add_nc_u64_e32 v[6:7], v[4:5], v[6:7]
	v_add_nc_u64_e32 v[6:7], -1, v[6:7]
; %bb.14715:                            ;   in Loop: Header=BB6_14012 Depth=2
	s_or_b32 exec_lo, exec_lo, s40
	v_add_nc_u32_e32 v0, 0xffffff81, v8
	s_delay_alu instid0(VALU_DEP_2) | instskip(SKIP_2) | instid1(VALU_DEP_3)
	v_and_b32_e32 v6, 0x1fffff, v6
	v_lshrrev_b32_e32 v5, 23, v4
	s_mov_b32 s7, exec_lo
	v_cndmask_b32_e64 v0, v0, 0xffffff82, vcc_lo
	s_delay_alu instid0(VALU_DEP_1) | instskip(SKIP_1) | instid1(VALU_DEP_2)
	v_add3_u32 v7, v9, v0, v5
	v_add_nc_u32_e32 v0, v6, v4
                                        ; implicit-def: $vgpr4_vgpr5
                                        ; implicit-def: $vgpr6
	v_add_nc_u32_e32 v8, 14, v7
	s_delay_alu instid0(VALU_DEP_1)
	v_cmpx_ne_u32_e32 0, v8
	s_xor_b32 s7, exec_lo, s7
; %bb.14716:                            ;   in Loop: Header=BB6_14012 Depth=2
	s_delay_alu instid0(VALU_DEP_3) | instskip(SKIP_1) | instid1(VALU_DEP_1)
	v_cmp_lt_u64_e32 vcc_lo, 0xffffff, v[0:1]
	v_add_nc_u32_e32 v4, 15, v7
	v_cndmask_b32_e32 v6, v8, v4, vcc_lo
	v_cndmask_b32_e64 v4, 0, 1, vcc_lo
	s_delay_alu instid0(VALU_DEP_1)
	v_lshrrev_b64 v[4:5], v4, v[0:1]
; %bb.14717:                            ;   in Loop: Header=BB6_14012 Depth=2
	s_and_not1_saveexec_b32 s7, s7
; %bb.14718:                            ;   in Loop: Header=BB6_14012 Depth=2
	v_mov_b64_e32 v[4:5], v[0:1]
	v_bfe_u32 v6, v0, 23, 1
; %bb.14719:                            ;   in Loop: Header=BB6_14012 Depth=2
	s_or_b32 exec_lo, exec_lo, s7
	s_delay_alu instid0(VALU_DEP_2) | instskip(NEXT) | instid1(VALU_DEP_2)
	v_lshrrev_b64 v[4:5], 21, v[4:5]
	v_cmp_gt_i32_e32 vcc_lo, 32, v6
	v_cmp_ne_u32_e64 s7, 0, v6
                                        ; implicit-def: $vgpr40
	s_delay_alu instid0(VALU_DEP_3) | instskip(NEXT) | instid1(VALU_DEP_1)
	v_dual_cndmask_b32 v5, 0, v5 :: v_dual_cndmask_b32 v4, 3, v4
	v_cmp_ne_u64_e32 vcc_lo, 0, v[4:5]
	s_or_b32 s7, s7, vcc_lo
	s_delay_alu instid0(SALU_CYCLE_1) | instskip(NEXT) | instid1(SALU_CYCLE_1)
	s_and_saveexec_b32 s40, s7
	s_xor_b32 s7, exec_lo, s40
; %bb.14720:                            ;   in Loop: Header=BB6_14012 Depth=2
	v_min_i32_e32 v0, 31, v6
	s_delay_alu instid0(VALU_DEP_1) | instskip(NEXT) | instid1(VALU_DEP_1)
	v_lshl_or_b32 v0, v0, 2, v3
                                        ; implicit-def: $vgpr3
	v_and_or_b32 v40, v4, 3, v0
; %bb.14721:                            ;   in Loop: Header=BB6_14012 Depth=2
	s_and_not1_saveexec_b32 s7, s7
; %bb.14722:                            ;   in Loop: Header=BB6_14012 Depth=2
	v_mov_b32_e32 v40, v3
; %bb.14723:                            ;   in Loop: Header=BB6_14012 Depth=2
	s_or_b32 exec_lo, exec_lo, s7
.LBB6_14724:                            ;   in Loop: Header=BB6_14012 Depth=2
	s_delay_alu instid0(SALU_CYCLE_1)
	s_or_b32 exec_lo, exec_lo, s29
                                        ; implicit-def: $vgpr3
.LBB6_14725:                            ;   in Loop: Header=BB6_14012 Depth=2
	s_and_not1_saveexec_b32 s7, s11
; %bb.14726:                            ;   in Loop: Header=BB6_14012 Depth=2
	v_or_b32_e32 v40, 0x7b, v3
; %bb.14727:                            ;   in Loop: Header=BB6_14012 Depth=2
	s_or_b32 exec_lo, exec_lo, s7
                                        ; implicit-def: $vgpr4
.LBB6_14728:                            ;   in Loop: Header=BB6_14012 Depth=2
	s_and_not1_saveexec_b32 s7, s10
	s_cbranch_execz .LBB6_14734
; %bb.14729:                            ;   in Loop: Header=BB6_14012 Depth=2
	s_mov_b32 s10, exec_lo
                                        ; implicit-def: $vgpr40
	v_cmpx_ne_u64_e32 0, v[0:1]
	s_xor_b32 s10, exec_lo, s10
; %bb.14730:                            ;   in Loop: Header=BB6_14012 Depth=2
	v_lshrrev_b32_e32 v0, 24, v4
                                        ; implicit-def: $vgpr4
	s_delay_alu instid0(VALU_DEP_1)
	v_or_b32_e32 v40, 0x7f, v0
; %bb.14731:                            ;   in Loop: Header=BB6_14012 Depth=2
	s_and_not1_saveexec_b32 s10, s10
; %bb.14732:                            ;   in Loop: Header=BB6_14012 Depth=2
	v_cmp_lt_i32_e32 vcc_lo, -1, v4
	v_cndmask_b32_e64 v40, -4, 0x7c, vcc_lo
; %bb.14733:                            ;   in Loop: Header=BB6_14012 Depth=2
	s_or_b32 exec_lo, exec_lo, s10
.LBB6_14734:                            ;   in Loop: Header=BB6_14012 Depth=2
	s_delay_alu instid0(SALU_CYCLE_1)
	s_or_b32 exec_lo, exec_lo, s7
	flat_load_i8 v4, v[10:11] offset:672 th:TH_LOAD_NT
	v_mov_b32_e32 v3, 0
	s_mov_b32 s7, exec_lo
	s_wait_loadcnt_dscnt 0x0
	v_cmpx_ne_u16_e32 0, v4
	s_cbranch_execz .LBB6_14744
; %bb.14735:                            ;   in Loop: Header=BB6_14012 Depth=2
	v_bfrev_b32_e32 v3, 1
	s_mov_b32 s10, exec_lo
	v_cmpx_ne_u16_e32 0xff80, v4
	s_cbranch_execz .LBB6_14743
; %bb.14736:                            ;   in Loop: Header=BB6_14012 Depth=2
	v_and_b32_e32 v3, 0x7c, v4
	v_and_b32_e32 v0, 3, v4
	s_delay_alu instid0(VALU_DEP_2) | instskip(SKIP_1) | instid1(SALU_CYCLE_1)
	v_cmp_ne_u32_e32 vcc_lo, 0x7c, v3
                                        ; implicit-def: $vgpr3
	s_and_saveexec_b32 s11, vcc_lo
	s_xor_b32 s11, exec_lo, s11
	s_cbranch_execz .LBB6_14740
; %bb.14737:                            ;   in Loop: Header=BB6_14012 Depth=2
	v_and_b32_e32 v3, 0xff, v4
	s_mov_b32 s29, exec_lo
	s_delay_alu instid0(VALU_DEP_1) | instskip(NEXT) | instid1(VALU_DEP_1)
	v_bfe_u32 v3, v3, 2, 5
	v_cmpx_eq_u32_e32 0, v3
; %bb.14738:                            ;   in Loop: Header=BB6_14012 Depth=2
	v_clz_i32_u32_e32 v0, v0
	s_delay_alu instid0(VALU_DEP_1) | instskip(SKIP_1) | instid1(VALU_DEP_2)
	v_min_u32_e32 v0, 32, v0
	v_mov_b32_e32 v5, v1
	v_subrev_nc_u32_e32 v3, 29, v0
	s_delay_alu instid0(VALU_DEP_1) | instskip(NEXT) | instid1(VALU_DEP_1)
	v_lshlrev_b64_e32 v[6:7], v3, v[4:5]
	v_dual_sub_nc_u32 v3, 30, v0 :: v_dual_bitop2_b32 v0, 3, v6 bitop3:0x40
; %bb.14739:                            ;   in Loop: Header=BB6_14012 Depth=2
	s_or_b32 exec_lo, exec_lo, s29
	v_bfe_i32 v4, v4, 0, 16
	s_delay_alu instid0(VALU_DEP_1) | instskip(NEXT) | instid1(VALU_DEP_1)
	v_and_b32_e32 v4, 0x80000000, v4
	v_lshl_add_u32 v3, v3, 23, v4
                                        ; implicit-def: $vgpr4
	s_delay_alu instid0(VALU_DEP_1) | instskip(NEXT) | instid1(VALU_DEP_1)
	v_lshl_or_b32 v0, v0, 21, v3
	v_add_nc_u32_e32 v3, 0x38000000, v0
                                        ; implicit-def: $vgpr0
.LBB6_14740:                            ;   in Loop: Header=BB6_14012 Depth=2
	s_and_not1_saveexec_b32 s11, s11
; %bb.14741:                            ;   in Loop: Header=BB6_14012 Depth=2
	v_cmp_lt_i16_e32 vcc_lo, -1, v4
	v_mov_b32_e32 v3, 0x7f800000
	s_delay_alu instid0(VALU_DEP_1) | instskip(SKIP_1) | instid1(VALU_DEP_2)
	v_cndmask_b32_e32 v3, 0xff800000, v3, vcc_lo
	v_cmp_eq_u32_e32 vcc_lo, 0, v0
	v_cndmask_b32_e32 v3, 0x7f800001, v3, vcc_lo
; %bb.14742:                            ;   in Loop: Header=BB6_14012 Depth=2
	s_or_b32 exec_lo, exec_lo, s11
.LBB6_14743:                            ;   in Loop: Header=BB6_14012 Depth=2
	s_delay_alu instid0(SALU_CYCLE_1)
	s_or_b32 exec_lo, exec_lo, s10
.LBB6_14744:                            ;   in Loop: Header=BB6_14012 Depth=2
	s_delay_alu instid0(SALU_CYCLE_1) | instskip(NEXT) | instid1(VALU_DEP_1)
	s_or_b32 exec_lo, exec_lo, s7
	v_dual_mul_f32 v4, s28, v3 :: v_dual_mov_b32 v7, v1
                                        ; implicit-def: $vgpr118
	s_mov_b32 s7, exec_lo
	s_delay_alu instid0(VALU_DEP_1) | instskip(SKIP_1) | instid1(VALU_DEP_2)
	v_and_b32_e32 v6, 0x7f800000, v4
	v_and_b32_e32 v0, 0x7fffff, v4
	v_cmpx_ne_u64_e32 0x7f800000, v[6:7]
	s_xor_b32 s10, exec_lo, s7
	s_cbranch_execz .LBB6_14762
; %bb.14745:                            ;   in Loop: Header=BB6_14012 Depth=2
	v_dual_mov_b32 v7, v1 :: v_dual_lshrrev_b32 v3, 24, v4
	v_and_b32_e32 v6, 0x7fffffff, v4
                                        ; implicit-def: $vgpr118
	s_mov_b32 s7, exec_lo
	s_delay_alu instid0(VALU_DEP_2) | instskip(NEXT) | instid1(VALU_DEP_2)
	v_and_b32_e32 v3, 0x80, v3
	v_cmpx_gt_u64_e32 0x47600001, v[6:7]
	s_xor_b32 s11, exec_lo, s7
	s_cbranch_execz .LBB6_14759
; %bb.14746:                            ;   in Loop: Header=BB6_14012 Depth=2
	v_mov_b32_e32 v118, 0
	s_mov_b32 s29, exec_lo
	v_cmpx_ne_u32_e32 0, v4
	s_cbranch_execz .LBB6_14758
; %bb.14747:                            ;   in Loop: Header=BB6_14012 Depth=2
	v_bfe_u32 v8, v4, 23, 8
	v_or_b32_e32 v6, 0x800000, v0
	s_mov_b32 s40, exec_lo
	s_delay_alu instid0(VALU_DEP_2) | instskip(SKIP_1) | instid1(VALU_DEP_2)
	v_dual_mov_b32 v7, v1 :: v_dual_sub_nc_u32 v4, 0x71, v8
	v_cmp_gt_u32_e32 vcc_lo, 0x72, v8
	v_cndmask_b32_e32 v4, 0, v4, vcc_lo
	v_cmp_eq_u32_e32 vcc_lo, 0, v8
	s_delay_alu instid0(VALU_DEP_2) | instskip(NEXT) | instid1(VALU_DEP_1)
	v_cndmask_b32_e64 v9, v4, 0x70, vcc_lo
	v_dual_cndmask_b32 v6, v6, v0, vcc_lo :: v_dual_add_nc_u32 v4, 21, v9
	v_add_nc_u32_e32 v16, 20, v9
	s_delay_alu instid0(VALU_DEP_2) | instskip(NEXT) | instid1(VALU_DEP_2)
	v_lshlrev_b64_e64 v[4:5], v4, -1
	v_lshlrev_b64_e64 v[16:17], v16, 1
	s_delay_alu instid0(VALU_DEP_2) | instskip(NEXT) | instid1(VALU_DEP_3)
	v_bfi_b32 v19, v5, 0, 0
	v_bfi_b32 v18, v4, 0, v6
	v_lshrrev_b64 v[4:5], v9, v[6:7]
	s_delay_alu instid0(VALU_DEP_1) | instskip(NEXT) | instid1(VALU_DEP_3)
	v_mov_b64_e32 v[6:7], v[4:5]
	v_cmpx_eq_u64_e64 v[18:19], v[16:17]
; %bb.14748:                            ;   in Loop: Header=BB6_14012 Depth=2
	v_bfe_u32 v6, v4, 21, 1
	v_mov_b32_e32 v7, v1
	s_delay_alu instid0(VALU_DEP_1) | instskip(NEXT) | instid1(VALU_DEP_1)
	v_add_nc_u64_e32 v[6:7], v[4:5], v[6:7]
	v_add_nc_u64_e32 v[6:7], -1, v[6:7]
; %bb.14749:                            ;   in Loop: Header=BB6_14012 Depth=2
	s_or_b32 exec_lo, exec_lo, s40
	v_add_nc_u32_e32 v0, 0xffffff81, v8
	s_delay_alu instid0(VALU_DEP_2) | instskip(SKIP_2) | instid1(VALU_DEP_3)
	v_and_b32_e32 v6, 0x1fffff, v6
	v_lshrrev_b32_e32 v5, 23, v4
	s_mov_b32 s7, exec_lo
	v_cndmask_b32_e64 v0, v0, 0xffffff82, vcc_lo
	s_delay_alu instid0(VALU_DEP_1) | instskip(SKIP_1) | instid1(VALU_DEP_2)
	v_add3_u32 v7, v9, v0, v5
	v_add_nc_u32_e32 v0, v6, v4
                                        ; implicit-def: $vgpr4_vgpr5
                                        ; implicit-def: $vgpr6
	v_add_nc_u32_e32 v8, 14, v7
	s_delay_alu instid0(VALU_DEP_1)
	v_cmpx_ne_u32_e32 0, v8
	s_xor_b32 s7, exec_lo, s7
; %bb.14750:                            ;   in Loop: Header=BB6_14012 Depth=2
	s_delay_alu instid0(VALU_DEP_3) | instskip(SKIP_1) | instid1(VALU_DEP_1)
	v_cmp_lt_u64_e32 vcc_lo, 0xffffff, v[0:1]
	v_add_nc_u32_e32 v4, 15, v7
	v_cndmask_b32_e32 v6, v8, v4, vcc_lo
	v_cndmask_b32_e64 v4, 0, 1, vcc_lo
	s_delay_alu instid0(VALU_DEP_1)
	v_lshrrev_b64 v[4:5], v4, v[0:1]
; %bb.14751:                            ;   in Loop: Header=BB6_14012 Depth=2
	s_and_not1_saveexec_b32 s7, s7
; %bb.14752:                            ;   in Loop: Header=BB6_14012 Depth=2
	v_mov_b64_e32 v[4:5], v[0:1]
	v_bfe_u32 v6, v0, 23, 1
; %bb.14753:                            ;   in Loop: Header=BB6_14012 Depth=2
	s_or_b32 exec_lo, exec_lo, s7
	s_delay_alu instid0(VALU_DEP_2) | instskip(NEXT) | instid1(VALU_DEP_2)
	v_lshrrev_b64 v[4:5], 21, v[4:5]
	v_cmp_gt_i32_e32 vcc_lo, 32, v6
	v_cmp_ne_u32_e64 s7, 0, v6
                                        ; implicit-def: $vgpr118
	s_delay_alu instid0(VALU_DEP_3) | instskip(NEXT) | instid1(VALU_DEP_1)
	v_dual_cndmask_b32 v5, 0, v5 :: v_dual_cndmask_b32 v4, 3, v4
	v_cmp_ne_u64_e32 vcc_lo, 0, v[4:5]
	s_or_b32 s7, s7, vcc_lo
	s_delay_alu instid0(SALU_CYCLE_1) | instskip(NEXT) | instid1(SALU_CYCLE_1)
	s_and_saveexec_b32 s40, s7
	s_xor_b32 s7, exec_lo, s40
; %bb.14754:                            ;   in Loop: Header=BB6_14012 Depth=2
	v_min_i32_e32 v0, 31, v6
	s_delay_alu instid0(VALU_DEP_1) | instskip(NEXT) | instid1(VALU_DEP_1)
	v_lshl_or_b32 v0, v0, 2, v3
                                        ; implicit-def: $vgpr3
	v_and_or_b32 v118, v4, 3, v0
; %bb.14755:                            ;   in Loop: Header=BB6_14012 Depth=2
	s_and_not1_saveexec_b32 s7, s7
; %bb.14756:                            ;   in Loop: Header=BB6_14012 Depth=2
	v_mov_b32_e32 v118, v3
; %bb.14757:                            ;   in Loop: Header=BB6_14012 Depth=2
	s_or_b32 exec_lo, exec_lo, s7
.LBB6_14758:                            ;   in Loop: Header=BB6_14012 Depth=2
	s_delay_alu instid0(SALU_CYCLE_1)
	s_or_b32 exec_lo, exec_lo, s29
                                        ; implicit-def: $vgpr3
.LBB6_14759:                            ;   in Loop: Header=BB6_14012 Depth=2
	s_and_not1_saveexec_b32 s7, s11
; %bb.14760:                            ;   in Loop: Header=BB6_14012 Depth=2
	v_or_b32_e32 v118, 0x7b, v3
; %bb.14761:                            ;   in Loop: Header=BB6_14012 Depth=2
	s_or_b32 exec_lo, exec_lo, s7
                                        ; implicit-def: $vgpr4
.LBB6_14762:                            ;   in Loop: Header=BB6_14012 Depth=2
	s_and_not1_saveexec_b32 s7, s10
	s_cbranch_execz .LBB6_14768
; %bb.14763:                            ;   in Loop: Header=BB6_14012 Depth=2
	s_mov_b32 s10, exec_lo
                                        ; implicit-def: $vgpr118
	v_cmpx_ne_u64_e32 0, v[0:1]
	s_xor_b32 s10, exec_lo, s10
; %bb.14764:                            ;   in Loop: Header=BB6_14012 Depth=2
	v_lshrrev_b32_e32 v0, 24, v4
                                        ; implicit-def: $vgpr4
	s_delay_alu instid0(VALU_DEP_1)
	v_or_b32_e32 v118, 0x7f, v0
; %bb.14765:                            ;   in Loop: Header=BB6_14012 Depth=2
	s_and_not1_saveexec_b32 s10, s10
; %bb.14766:                            ;   in Loop: Header=BB6_14012 Depth=2
	v_cmp_lt_i32_e32 vcc_lo, -1, v4
	v_cndmask_b32_e64 v118, -4, 0x7c, vcc_lo
; %bb.14767:                            ;   in Loop: Header=BB6_14012 Depth=2
	s_or_b32 exec_lo, exec_lo, s10
.LBB6_14768:                            ;   in Loop: Header=BB6_14012 Depth=2
	s_delay_alu instid0(SALU_CYCLE_1)
	s_or_b32 exec_lo, exec_lo, s7
	flat_load_i8 v4, v[10:11] offset:704 th:TH_LOAD_NT
	v_mov_b32_e32 v3, 0
	s_mov_b32 s7, exec_lo
	s_wait_loadcnt_dscnt 0x0
	v_cmpx_ne_u16_e32 0, v4
	s_cbranch_execz .LBB6_14778
; %bb.14769:                            ;   in Loop: Header=BB6_14012 Depth=2
	v_bfrev_b32_e32 v3, 1
	s_mov_b32 s10, exec_lo
	v_cmpx_ne_u16_e32 0xff80, v4
	s_cbranch_execz .LBB6_14777
; %bb.14770:                            ;   in Loop: Header=BB6_14012 Depth=2
	v_and_b32_e32 v3, 0x7c, v4
	v_and_b32_e32 v0, 3, v4
	s_delay_alu instid0(VALU_DEP_2) | instskip(SKIP_1) | instid1(SALU_CYCLE_1)
	v_cmp_ne_u32_e32 vcc_lo, 0x7c, v3
                                        ; implicit-def: $vgpr3
	s_and_saveexec_b32 s11, vcc_lo
	s_xor_b32 s11, exec_lo, s11
	s_cbranch_execz .LBB6_14774
; %bb.14771:                            ;   in Loop: Header=BB6_14012 Depth=2
	v_and_b32_e32 v3, 0xff, v4
	s_mov_b32 s29, exec_lo
	s_delay_alu instid0(VALU_DEP_1) | instskip(NEXT) | instid1(VALU_DEP_1)
	v_bfe_u32 v3, v3, 2, 5
	v_cmpx_eq_u32_e32 0, v3
; %bb.14772:                            ;   in Loop: Header=BB6_14012 Depth=2
	v_clz_i32_u32_e32 v0, v0
	s_delay_alu instid0(VALU_DEP_1) | instskip(SKIP_1) | instid1(VALU_DEP_2)
	v_min_u32_e32 v0, 32, v0
	v_mov_b32_e32 v5, v1
	v_subrev_nc_u32_e32 v3, 29, v0
	s_delay_alu instid0(VALU_DEP_1) | instskip(NEXT) | instid1(VALU_DEP_1)
	v_lshlrev_b64_e32 v[6:7], v3, v[4:5]
	v_dual_sub_nc_u32 v3, 30, v0 :: v_dual_bitop2_b32 v0, 3, v6 bitop3:0x40
; %bb.14773:                            ;   in Loop: Header=BB6_14012 Depth=2
	s_or_b32 exec_lo, exec_lo, s29
	v_bfe_i32 v4, v4, 0, 16
	s_delay_alu instid0(VALU_DEP_1) | instskip(NEXT) | instid1(VALU_DEP_1)
	v_and_b32_e32 v4, 0x80000000, v4
	v_lshl_add_u32 v3, v3, 23, v4
                                        ; implicit-def: $vgpr4
	s_delay_alu instid0(VALU_DEP_1) | instskip(NEXT) | instid1(VALU_DEP_1)
	v_lshl_or_b32 v0, v0, 21, v3
	v_add_nc_u32_e32 v3, 0x38000000, v0
                                        ; implicit-def: $vgpr0
.LBB6_14774:                            ;   in Loop: Header=BB6_14012 Depth=2
	s_and_not1_saveexec_b32 s11, s11
; %bb.14775:                            ;   in Loop: Header=BB6_14012 Depth=2
	v_cmp_lt_i16_e32 vcc_lo, -1, v4
	v_mov_b32_e32 v3, 0x7f800000
	s_delay_alu instid0(VALU_DEP_1) | instskip(SKIP_1) | instid1(VALU_DEP_2)
	v_cndmask_b32_e32 v3, 0xff800000, v3, vcc_lo
	v_cmp_eq_u32_e32 vcc_lo, 0, v0
	v_cndmask_b32_e32 v3, 0x7f800001, v3, vcc_lo
; %bb.14776:                            ;   in Loop: Header=BB6_14012 Depth=2
	s_or_b32 exec_lo, exec_lo, s11
.LBB6_14777:                            ;   in Loop: Header=BB6_14012 Depth=2
	s_delay_alu instid0(SALU_CYCLE_1)
	s_or_b32 exec_lo, exec_lo, s10
.LBB6_14778:                            ;   in Loop: Header=BB6_14012 Depth=2
	s_delay_alu instid0(SALU_CYCLE_1) | instskip(NEXT) | instid1(VALU_DEP_1)
	s_or_b32 exec_lo, exec_lo, s7
	v_dual_mul_f32 v4, s28, v3 :: v_dual_mov_b32 v7, v1
                                        ; implicit-def: $vgpr114
	s_mov_b32 s7, exec_lo
	s_delay_alu instid0(VALU_DEP_1) | instskip(SKIP_1) | instid1(VALU_DEP_2)
	v_and_b32_e32 v6, 0x7f800000, v4
	v_and_b32_e32 v0, 0x7fffff, v4
	v_cmpx_ne_u64_e32 0x7f800000, v[6:7]
	s_xor_b32 s10, exec_lo, s7
	s_cbranch_execz .LBB6_14796
; %bb.14779:                            ;   in Loop: Header=BB6_14012 Depth=2
	v_dual_mov_b32 v7, v1 :: v_dual_lshrrev_b32 v3, 24, v4
	v_and_b32_e32 v6, 0x7fffffff, v4
                                        ; implicit-def: $vgpr114
	s_mov_b32 s7, exec_lo
	s_delay_alu instid0(VALU_DEP_2) | instskip(NEXT) | instid1(VALU_DEP_2)
	v_and_b32_e32 v3, 0x80, v3
	v_cmpx_gt_u64_e32 0x47600001, v[6:7]
	s_xor_b32 s11, exec_lo, s7
	s_cbranch_execz .LBB6_14793
; %bb.14780:                            ;   in Loop: Header=BB6_14012 Depth=2
	v_mov_b32_e32 v114, 0
	s_mov_b32 s29, exec_lo
	v_cmpx_ne_u32_e32 0, v4
	s_cbranch_execz .LBB6_14792
; %bb.14781:                            ;   in Loop: Header=BB6_14012 Depth=2
	v_bfe_u32 v8, v4, 23, 8
	v_or_b32_e32 v6, 0x800000, v0
	s_mov_b32 s40, exec_lo
	s_delay_alu instid0(VALU_DEP_2) | instskip(SKIP_1) | instid1(VALU_DEP_2)
	v_dual_mov_b32 v7, v1 :: v_dual_sub_nc_u32 v4, 0x71, v8
	v_cmp_gt_u32_e32 vcc_lo, 0x72, v8
	v_cndmask_b32_e32 v4, 0, v4, vcc_lo
	v_cmp_eq_u32_e32 vcc_lo, 0, v8
	s_delay_alu instid0(VALU_DEP_2) | instskip(NEXT) | instid1(VALU_DEP_1)
	v_cndmask_b32_e64 v9, v4, 0x70, vcc_lo
	v_dual_cndmask_b32 v6, v6, v0, vcc_lo :: v_dual_add_nc_u32 v4, 21, v9
	v_add_nc_u32_e32 v16, 20, v9
	s_delay_alu instid0(VALU_DEP_2) | instskip(NEXT) | instid1(VALU_DEP_2)
	v_lshlrev_b64_e64 v[4:5], v4, -1
	v_lshlrev_b64_e64 v[16:17], v16, 1
	s_delay_alu instid0(VALU_DEP_2) | instskip(NEXT) | instid1(VALU_DEP_3)
	v_bfi_b32 v19, v5, 0, 0
	v_bfi_b32 v18, v4, 0, v6
	v_lshrrev_b64 v[4:5], v9, v[6:7]
	s_delay_alu instid0(VALU_DEP_1) | instskip(NEXT) | instid1(VALU_DEP_3)
	v_mov_b64_e32 v[6:7], v[4:5]
	v_cmpx_eq_u64_e64 v[18:19], v[16:17]
; %bb.14782:                            ;   in Loop: Header=BB6_14012 Depth=2
	v_bfe_u32 v6, v4, 21, 1
	v_mov_b32_e32 v7, v1
	s_delay_alu instid0(VALU_DEP_1) | instskip(NEXT) | instid1(VALU_DEP_1)
	v_add_nc_u64_e32 v[6:7], v[4:5], v[6:7]
	v_add_nc_u64_e32 v[6:7], -1, v[6:7]
; %bb.14783:                            ;   in Loop: Header=BB6_14012 Depth=2
	s_or_b32 exec_lo, exec_lo, s40
	v_add_nc_u32_e32 v0, 0xffffff81, v8
	s_delay_alu instid0(VALU_DEP_2) | instskip(SKIP_2) | instid1(VALU_DEP_3)
	v_and_b32_e32 v6, 0x1fffff, v6
	v_lshrrev_b32_e32 v5, 23, v4
	s_mov_b32 s7, exec_lo
	v_cndmask_b32_e64 v0, v0, 0xffffff82, vcc_lo
	s_delay_alu instid0(VALU_DEP_1) | instskip(SKIP_1) | instid1(VALU_DEP_2)
	v_add3_u32 v7, v9, v0, v5
	v_add_nc_u32_e32 v0, v6, v4
                                        ; implicit-def: $vgpr4_vgpr5
                                        ; implicit-def: $vgpr6
	v_add_nc_u32_e32 v8, 14, v7
	s_delay_alu instid0(VALU_DEP_1)
	v_cmpx_ne_u32_e32 0, v8
	s_xor_b32 s7, exec_lo, s7
; %bb.14784:                            ;   in Loop: Header=BB6_14012 Depth=2
	s_delay_alu instid0(VALU_DEP_3) | instskip(SKIP_1) | instid1(VALU_DEP_1)
	v_cmp_lt_u64_e32 vcc_lo, 0xffffff, v[0:1]
	v_add_nc_u32_e32 v4, 15, v7
	v_cndmask_b32_e32 v6, v8, v4, vcc_lo
	v_cndmask_b32_e64 v4, 0, 1, vcc_lo
	s_delay_alu instid0(VALU_DEP_1)
	v_lshrrev_b64 v[4:5], v4, v[0:1]
; %bb.14785:                            ;   in Loop: Header=BB6_14012 Depth=2
	s_and_not1_saveexec_b32 s7, s7
; %bb.14786:                            ;   in Loop: Header=BB6_14012 Depth=2
	v_mov_b64_e32 v[4:5], v[0:1]
	v_bfe_u32 v6, v0, 23, 1
; %bb.14787:                            ;   in Loop: Header=BB6_14012 Depth=2
	s_or_b32 exec_lo, exec_lo, s7
	s_delay_alu instid0(VALU_DEP_2) | instskip(NEXT) | instid1(VALU_DEP_2)
	v_lshrrev_b64 v[4:5], 21, v[4:5]
	v_cmp_gt_i32_e32 vcc_lo, 32, v6
	v_cmp_ne_u32_e64 s7, 0, v6
                                        ; implicit-def: $vgpr114
	s_delay_alu instid0(VALU_DEP_3) | instskip(NEXT) | instid1(VALU_DEP_1)
	v_dual_cndmask_b32 v5, 0, v5 :: v_dual_cndmask_b32 v4, 3, v4
	v_cmp_ne_u64_e32 vcc_lo, 0, v[4:5]
	s_or_b32 s7, s7, vcc_lo
	s_delay_alu instid0(SALU_CYCLE_1) | instskip(NEXT) | instid1(SALU_CYCLE_1)
	s_and_saveexec_b32 s40, s7
	s_xor_b32 s7, exec_lo, s40
; %bb.14788:                            ;   in Loop: Header=BB6_14012 Depth=2
	v_min_i32_e32 v0, 31, v6
	s_delay_alu instid0(VALU_DEP_1) | instskip(NEXT) | instid1(VALU_DEP_1)
	v_lshl_or_b32 v0, v0, 2, v3
                                        ; implicit-def: $vgpr3
	v_and_or_b32 v114, v4, 3, v0
; %bb.14789:                            ;   in Loop: Header=BB6_14012 Depth=2
	s_and_not1_saveexec_b32 s7, s7
; %bb.14790:                            ;   in Loop: Header=BB6_14012 Depth=2
	v_mov_b32_e32 v114, v3
; %bb.14791:                            ;   in Loop: Header=BB6_14012 Depth=2
	s_or_b32 exec_lo, exec_lo, s7
.LBB6_14792:                            ;   in Loop: Header=BB6_14012 Depth=2
	s_delay_alu instid0(SALU_CYCLE_1)
	s_or_b32 exec_lo, exec_lo, s29
                                        ; implicit-def: $vgpr3
.LBB6_14793:                            ;   in Loop: Header=BB6_14012 Depth=2
	s_and_not1_saveexec_b32 s7, s11
; %bb.14794:                            ;   in Loop: Header=BB6_14012 Depth=2
	v_or_b32_e32 v114, 0x7b, v3
; %bb.14795:                            ;   in Loop: Header=BB6_14012 Depth=2
	s_or_b32 exec_lo, exec_lo, s7
                                        ; implicit-def: $vgpr4
.LBB6_14796:                            ;   in Loop: Header=BB6_14012 Depth=2
	s_and_not1_saveexec_b32 s7, s10
	s_cbranch_execz .LBB6_14802
; %bb.14797:                            ;   in Loop: Header=BB6_14012 Depth=2
	s_mov_b32 s10, exec_lo
                                        ; implicit-def: $vgpr114
	v_cmpx_ne_u64_e32 0, v[0:1]
	s_xor_b32 s10, exec_lo, s10
; %bb.14798:                            ;   in Loop: Header=BB6_14012 Depth=2
	v_lshrrev_b32_e32 v0, 24, v4
                                        ; implicit-def: $vgpr4
	s_delay_alu instid0(VALU_DEP_1)
	v_or_b32_e32 v114, 0x7f, v0
; %bb.14799:                            ;   in Loop: Header=BB6_14012 Depth=2
	s_and_not1_saveexec_b32 s10, s10
; %bb.14800:                            ;   in Loop: Header=BB6_14012 Depth=2
	v_cmp_lt_i32_e32 vcc_lo, -1, v4
	v_cndmask_b32_e64 v114, -4, 0x7c, vcc_lo
; %bb.14801:                            ;   in Loop: Header=BB6_14012 Depth=2
	s_or_b32 exec_lo, exec_lo, s10
.LBB6_14802:                            ;   in Loop: Header=BB6_14012 Depth=2
	s_delay_alu instid0(SALU_CYCLE_1)
	s_or_b32 exec_lo, exec_lo, s7
	flat_load_i8 v4, v[10:11] offset:736 th:TH_LOAD_NT
	v_mov_b32_e32 v3, 0
	s_mov_b32 s7, exec_lo
	s_wait_loadcnt_dscnt 0x0
	v_cmpx_ne_u16_e32 0, v4
	s_cbranch_execz .LBB6_14812
; %bb.14803:                            ;   in Loop: Header=BB6_14012 Depth=2
	v_bfrev_b32_e32 v3, 1
	s_mov_b32 s10, exec_lo
	v_cmpx_ne_u16_e32 0xff80, v4
	s_cbranch_execz .LBB6_14811
; %bb.14804:                            ;   in Loop: Header=BB6_14012 Depth=2
	v_and_b32_e32 v3, 0x7c, v4
	v_and_b32_e32 v0, 3, v4
	s_delay_alu instid0(VALU_DEP_2) | instskip(SKIP_1) | instid1(SALU_CYCLE_1)
	v_cmp_ne_u32_e32 vcc_lo, 0x7c, v3
                                        ; implicit-def: $vgpr3
	s_and_saveexec_b32 s11, vcc_lo
	s_xor_b32 s11, exec_lo, s11
	s_cbranch_execz .LBB6_14808
; %bb.14805:                            ;   in Loop: Header=BB6_14012 Depth=2
	v_and_b32_e32 v3, 0xff, v4
	s_mov_b32 s29, exec_lo
	s_delay_alu instid0(VALU_DEP_1) | instskip(NEXT) | instid1(VALU_DEP_1)
	v_bfe_u32 v3, v3, 2, 5
	v_cmpx_eq_u32_e32 0, v3
; %bb.14806:                            ;   in Loop: Header=BB6_14012 Depth=2
	v_clz_i32_u32_e32 v0, v0
	s_delay_alu instid0(VALU_DEP_1) | instskip(SKIP_1) | instid1(VALU_DEP_2)
	v_min_u32_e32 v0, 32, v0
	v_mov_b32_e32 v5, v1
	v_subrev_nc_u32_e32 v3, 29, v0
	s_delay_alu instid0(VALU_DEP_1) | instskip(NEXT) | instid1(VALU_DEP_1)
	v_lshlrev_b64_e32 v[6:7], v3, v[4:5]
	v_dual_sub_nc_u32 v3, 30, v0 :: v_dual_bitop2_b32 v0, 3, v6 bitop3:0x40
; %bb.14807:                            ;   in Loop: Header=BB6_14012 Depth=2
	s_or_b32 exec_lo, exec_lo, s29
	v_bfe_i32 v4, v4, 0, 16
	s_delay_alu instid0(VALU_DEP_1) | instskip(NEXT) | instid1(VALU_DEP_1)
	v_and_b32_e32 v4, 0x80000000, v4
	v_lshl_add_u32 v3, v3, 23, v4
                                        ; implicit-def: $vgpr4
	s_delay_alu instid0(VALU_DEP_1) | instskip(NEXT) | instid1(VALU_DEP_1)
	v_lshl_or_b32 v0, v0, 21, v3
	v_add_nc_u32_e32 v3, 0x38000000, v0
                                        ; implicit-def: $vgpr0
.LBB6_14808:                            ;   in Loop: Header=BB6_14012 Depth=2
	s_and_not1_saveexec_b32 s11, s11
; %bb.14809:                            ;   in Loop: Header=BB6_14012 Depth=2
	v_cmp_lt_i16_e32 vcc_lo, -1, v4
	v_mov_b32_e32 v3, 0x7f800000
	s_delay_alu instid0(VALU_DEP_1) | instskip(SKIP_1) | instid1(VALU_DEP_2)
	v_cndmask_b32_e32 v3, 0xff800000, v3, vcc_lo
	v_cmp_eq_u32_e32 vcc_lo, 0, v0
	v_cndmask_b32_e32 v3, 0x7f800001, v3, vcc_lo
; %bb.14810:                            ;   in Loop: Header=BB6_14012 Depth=2
	s_or_b32 exec_lo, exec_lo, s11
.LBB6_14811:                            ;   in Loop: Header=BB6_14012 Depth=2
	s_delay_alu instid0(SALU_CYCLE_1)
	s_or_b32 exec_lo, exec_lo, s10
.LBB6_14812:                            ;   in Loop: Header=BB6_14012 Depth=2
	s_delay_alu instid0(SALU_CYCLE_1) | instskip(NEXT) | instid1(VALU_DEP_1)
	s_or_b32 exec_lo, exec_lo, s7
	v_dual_mul_f32 v4, s28, v3 :: v_dual_mov_b32 v7, v1
                                        ; implicit-def: $vgpr112
	s_mov_b32 s7, exec_lo
	s_delay_alu instid0(VALU_DEP_1) | instskip(SKIP_1) | instid1(VALU_DEP_2)
	v_and_b32_e32 v6, 0x7f800000, v4
	v_and_b32_e32 v0, 0x7fffff, v4
	v_cmpx_ne_u64_e32 0x7f800000, v[6:7]
	s_xor_b32 s10, exec_lo, s7
	s_cbranch_execz .LBB6_14830
; %bb.14813:                            ;   in Loop: Header=BB6_14012 Depth=2
	v_dual_mov_b32 v7, v1 :: v_dual_lshrrev_b32 v3, 24, v4
	v_and_b32_e32 v6, 0x7fffffff, v4
                                        ; implicit-def: $vgpr112
	s_mov_b32 s7, exec_lo
	s_delay_alu instid0(VALU_DEP_2) | instskip(NEXT) | instid1(VALU_DEP_2)
	v_and_b32_e32 v3, 0x80, v3
	v_cmpx_gt_u64_e32 0x47600001, v[6:7]
	s_xor_b32 s11, exec_lo, s7
	s_cbranch_execz .LBB6_14827
; %bb.14814:                            ;   in Loop: Header=BB6_14012 Depth=2
	v_mov_b32_e32 v112, 0
	s_mov_b32 s29, exec_lo
	v_cmpx_ne_u32_e32 0, v4
	s_cbranch_execz .LBB6_14826
; %bb.14815:                            ;   in Loop: Header=BB6_14012 Depth=2
	v_bfe_u32 v8, v4, 23, 8
	v_or_b32_e32 v6, 0x800000, v0
	s_mov_b32 s40, exec_lo
	s_delay_alu instid0(VALU_DEP_2) | instskip(SKIP_1) | instid1(VALU_DEP_2)
	v_dual_mov_b32 v7, v1 :: v_dual_sub_nc_u32 v4, 0x71, v8
	v_cmp_gt_u32_e32 vcc_lo, 0x72, v8
	v_cndmask_b32_e32 v4, 0, v4, vcc_lo
	v_cmp_eq_u32_e32 vcc_lo, 0, v8
	s_delay_alu instid0(VALU_DEP_2) | instskip(NEXT) | instid1(VALU_DEP_1)
	v_cndmask_b32_e64 v9, v4, 0x70, vcc_lo
	v_dual_cndmask_b32 v6, v6, v0, vcc_lo :: v_dual_add_nc_u32 v4, 21, v9
	v_add_nc_u32_e32 v16, 20, v9
	s_delay_alu instid0(VALU_DEP_2) | instskip(NEXT) | instid1(VALU_DEP_2)
	v_lshlrev_b64_e64 v[4:5], v4, -1
	v_lshlrev_b64_e64 v[16:17], v16, 1
	s_delay_alu instid0(VALU_DEP_2) | instskip(NEXT) | instid1(VALU_DEP_3)
	v_bfi_b32 v19, v5, 0, 0
	v_bfi_b32 v18, v4, 0, v6
	v_lshrrev_b64 v[4:5], v9, v[6:7]
	s_delay_alu instid0(VALU_DEP_1) | instskip(NEXT) | instid1(VALU_DEP_3)
	v_mov_b64_e32 v[6:7], v[4:5]
	v_cmpx_eq_u64_e64 v[18:19], v[16:17]
; %bb.14816:                            ;   in Loop: Header=BB6_14012 Depth=2
	v_bfe_u32 v6, v4, 21, 1
	v_mov_b32_e32 v7, v1
	s_delay_alu instid0(VALU_DEP_1) | instskip(NEXT) | instid1(VALU_DEP_1)
	v_add_nc_u64_e32 v[6:7], v[4:5], v[6:7]
	v_add_nc_u64_e32 v[6:7], -1, v[6:7]
; %bb.14817:                            ;   in Loop: Header=BB6_14012 Depth=2
	s_or_b32 exec_lo, exec_lo, s40
	v_add_nc_u32_e32 v0, 0xffffff81, v8
	s_delay_alu instid0(VALU_DEP_2) | instskip(SKIP_2) | instid1(VALU_DEP_3)
	v_and_b32_e32 v6, 0x1fffff, v6
	v_lshrrev_b32_e32 v5, 23, v4
	s_mov_b32 s7, exec_lo
	v_cndmask_b32_e64 v0, v0, 0xffffff82, vcc_lo
	s_delay_alu instid0(VALU_DEP_1) | instskip(SKIP_1) | instid1(VALU_DEP_2)
	v_add3_u32 v7, v9, v0, v5
	v_add_nc_u32_e32 v0, v6, v4
                                        ; implicit-def: $vgpr4_vgpr5
                                        ; implicit-def: $vgpr6
	v_add_nc_u32_e32 v8, 14, v7
	s_delay_alu instid0(VALU_DEP_1)
	v_cmpx_ne_u32_e32 0, v8
	s_xor_b32 s7, exec_lo, s7
; %bb.14818:                            ;   in Loop: Header=BB6_14012 Depth=2
	s_delay_alu instid0(VALU_DEP_3) | instskip(SKIP_1) | instid1(VALU_DEP_1)
	v_cmp_lt_u64_e32 vcc_lo, 0xffffff, v[0:1]
	v_add_nc_u32_e32 v4, 15, v7
	v_cndmask_b32_e32 v6, v8, v4, vcc_lo
	v_cndmask_b32_e64 v4, 0, 1, vcc_lo
	s_delay_alu instid0(VALU_DEP_1)
	v_lshrrev_b64 v[4:5], v4, v[0:1]
; %bb.14819:                            ;   in Loop: Header=BB6_14012 Depth=2
	s_and_not1_saveexec_b32 s7, s7
; %bb.14820:                            ;   in Loop: Header=BB6_14012 Depth=2
	v_mov_b64_e32 v[4:5], v[0:1]
	v_bfe_u32 v6, v0, 23, 1
; %bb.14821:                            ;   in Loop: Header=BB6_14012 Depth=2
	s_or_b32 exec_lo, exec_lo, s7
	s_delay_alu instid0(VALU_DEP_2) | instskip(NEXT) | instid1(VALU_DEP_2)
	v_lshrrev_b64 v[4:5], 21, v[4:5]
	v_cmp_gt_i32_e32 vcc_lo, 32, v6
	v_cmp_ne_u32_e64 s7, 0, v6
                                        ; implicit-def: $vgpr112
	s_delay_alu instid0(VALU_DEP_3) | instskip(NEXT) | instid1(VALU_DEP_1)
	v_dual_cndmask_b32 v5, 0, v5 :: v_dual_cndmask_b32 v4, 3, v4
	v_cmp_ne_u64_e32 vcc_lo, 0, v[4:5]
	s_or_b32 s7, s7, vcc_lo
	s_delay_alu instid0(SALU_CYCLE_1) | instskip(NEXT) | instid1(SALU_CYCLE_1)
	s_and_saveexec_b32 s40, s7
	s_xor_b32 s7, exec_lo, s40
; %bb.14822:                            ;   in Loop: Header=BB6_14012 Depth=2
	v_min_i32_e32 v0, 31, v6
	s_delay_alu instid0(VALU_DEP_1) | instskip(NEXT) | instid1(VALU_DEP_1)
	v_lshl_or_b32 v0, v0, 2, v3
                                        ; implicit-def: $vgpr3
	v_and_or_b32 v112, v4, 3, v0
; %bb.14823:                            ;   in Loop: Header=BB6_14012 Depth=2
	s_and_not1_saveexec_b32 s7, s7
; %bb.14824:                            ;   in Loop: Header=BB6_14012 Depth=2
	v_mov_b32_e32 v112, v3
; %bb.14825:                            ;   in Loop: Header=BB6_14012 Depth=2
	s_or_b32 exec_lo, exec_lo, s7
.LBB6_14826:                            ;   in Loop: Header=BB6_14012 Depth=2
	s_delay_alu instid0(SALU_CYCLE_1)
	s_or_b32 exec_lo, exec_lo, s29
                                        ; implicit-def: $vgpr3
.LBB6_14827:                            ;   in Loop: Header=BB6_14012 Depth=2
	s_and_not1_saveexec_b32 s7, s11
; %bb.14828:                            ;   in Loop: Header=BB6_14012 Depth=2
	v_or_b32_e32 v112, 0x7b, v3
; %bb.14829:                            ;   in Loop: Header=BB6_14012 Depth=2
	s_or_b32 exec_lo, exec_lo, s7
                                        ; implicit-def: $vgpr4
.LBB6_14830:                            ;   in Loop: Header=BB6_14012 Depth=2
	s_and_not1_saveexec_b32 s7, s10
	s_cbranch_execz .LBB6_14836
; %bb.14831:                            ;   in Loop: Header=BB6_14012 Depth=2
	s_mov_b32 s10, exec_lo
                                        ; implicit-def: $vgpr112
	v_cmpx_ne_u64_e32 0, v[0:1]
	s_xor_b32 s10, exec_lo, s10
; %bb.14832:                            ;   in Loop: Header=BB6_14012 Depth=2
	v_lshrrev_b32_e32 v0, 24, v4
                                        ; implicit-def: $vgpr4
	s_delay_alu instid0(VALU_DEP_1)
	v_or_b32_e32 v112, 0x7f, v0
; %bb.14833:                            ;   in Loop: Header=BB6_14012 Depth=2
	s_and_not1_saveexec_b32 s10, s10
; %bb.14834:                            ;   in Loop: Header=BB6_14012 Depth=2
	v_cmp_lt_i32_e32 vcc_lo, -1, v4
	v_cndmask_b32_e64 v112, -4, 0x7c, vcc_lo
; %bb.14835:                            ;   in Loop: Header=BB6_14012 Depth=2
	s_or_b32 exec_lo, exec_lo, s10
.LBB6_14836:                            ;   in Loop: Header=BB6_14012 Depth=2
	s_delay_alu instid0(SALU_CYCLE_1)
	s_or_b32 exec_lo, exec_lo, s7
	flat_load_i8 v4, v[10:11] offset:768 th:TH_LOAD_NT
	v_mov_b32_e32 v3, 0
	s_mov_b32 s7, exec_lo
	s_wait_loadcnt_dscnt 0x0
	v_cmpx_ne_u16_e32 0, v4
	s_cbranch_execz .LBB6_14846
; %bb.14837:                            ;   in Loop: Header=BB6_14012 Depth=2
	v_bfrev_b32_e32 v3, 1
	s_mov_b32 s10, exec_lo
	v_cmpx_ne_u16_e32 0xff80, v4
	s_cbranch_execz .LBB6_14845
; %bb.14838:                            ;   in Loop: Header=BB6_14012 Depth=2
	v_and_b32_e32 v3, 0x7c, v4
	v_and_b32_e32 v0, 3, v4
	s_delay_alu instid0(VALU_DEP_2) | instskip(SKIP_1) | instid1(SALU_CYCLE_1)
	v_cmp_ne_u32_e32 vcc_lo, 0x7c, v3
                                        ; implicit-def: $vgpr3
	s_and_saveexec_b32 s11, vcc_lo
	s_xor_b32 s11, exec_lo, s11
	s_cbranch_execz .LBB6_14842
; %bb.14839:                            ;   in Loop: Header=BB6_14012 Depth=2
	v_and_b32_e32 v3, 0xff, v4
	s_mov_b32 s29, exec_lo
	s_delay_alu instid0(VALU_DEP_1) | instskip(NEXT) | instid1(VALU_DEP_1)
	v_bfe_u32 v3, v3, 2, 5
	v_cmpx_eq_u32_e32 0, v3
; %bb.14840:                            ;   in Loop: Header=BB6_14012 Depth=2
	v_clz_i32_u32_e32 v0, v0
	s_delay_alu instid0(VALU_DEP_1) | instskip(SKIP_1) | instid1(VALU_DEP_2)
	v_min_u32_e32 v0, 32, v0
	v_mov_b32_e32 v5, v1
	v_subrev_nc_u32_e32 v3, 29, v0
	s_delay_alu instid0(VALU_DEP_1) | instskip(NEXT) | instid1(VALU_DEP_1)
	v_lshlrev_b64_e32 v[6:7], v3, v[4:5]
	v_dual_sub_nc_u32 v3, 30, v0 :: v_dual_bitop2_b32 v0, 3, v6 bitop3:0x40
; %bb.14841:                            ;   in Loop: Header=BB6_14012 Depth=2
	s_or_b32 exec_lo, exec_lo, s29
	v_bfe_i32 v4, v4, 0, 16
	s_delay_alu instid0(VALU_DEP_1) | instskip(NEXT) | instid1(VALU_DEP_1)
	v_and_b32_e32 v4, 0x80000000, v4
	v_lshl_add_u32 v3, v3, 23, v4
                                        ; implicit-def: $vgpr4
	s_delay_alu instid0(VALU_DEP_1) | instskip(NEXT) | instid1(VALU_DEP_1)
	v_lshl_or_b32 v0, v0, 21, v3
	v_add_nc_u32_e32 v3, 0x38000000, v0
                                        ; implicit-def: $vgpr0
.LBB6_14842:                            ;   in Loop: Header=BB6_14012 Depth=2
	s_and_not1_saveexec_b32 s11, s11
; %bb.14843:                            ;   in Loop: Header=BB6_14012 Depth=2
	v_cmp_lt_i16_e32 vcc_lo, -1, v4
	v_mov_b32_e32 v3, 0x7f800000
	s_delay_alu instid0(VALU_DEP_1) | instskip(SKIP_1) | instid1(VALU_DEP_2)
	v_cndmask_b32_e32 v3, 0xff800000, v3, vcc_lo
	v_cmp_eq_u32_e32 vcc_lo, 0, v0
	v_cndmask_b32_e32 v3, 0x7f800001, v3, vcc_lo
; %bb.14844:                            ;   in Loop: Header=BB6_14012 Depth=2
	s_or_b32 exec_lo, exec_lo, s11
.LBB6_14845:                            ;   in Loop: Header=BB6_14012 Depth=2
	s_delay_alu instid0(SALU_CYCLE_1)
	s_or_b32 exec_lo, exec_lo, s10
.LBB6_14846:                            ;   in Loop: Header=BB6_14012 Depth=2
	s_delay_alu instid0(SALU_CYCLE_1) | instskip(NEXT) | instid1(VALU_DEP_1)
	s_or_b32 exec_lo, exec_lo, s7
	v_dual_mul_f32 v4, s28, v3 :: v_dual_mov_b32 v7, v1
	s_delay_alu instid0(VALU_DEP_1) | instskip(SKIP_1) | instid1(VALU_DEP_2)
	v_and_b32_e32 v6, 0x7f800000, v4
	v_and_b32_e32 v0, 0x7fffff, v4
	v_cmp_ne_u64_e32 vcc_lo, 0x7f800000, v[6:7]
                                        ; implicit-def: $vgpr6
	scratch_store_b64 off, v[6:7], s33 offset:268 ; 8-byte Folded Spill
	s_wait_xcnt 0x0
	s_and_saveexec_b32 s7, vcc_lo
	s_delay_alu instid0(SALU_CYCLE_1)
	s_xor_b32 s10, exec_lo, s7
	s_cbranch_execz .LBB6_14864
; %bb.14847:                            ;   in Loop: Header=BB6_14012 Depth=2
	v_and_b32_e32 v6, 0x7fffffff, v4
	v_dual_mov_b32 v7, v1 :: v_dual_lshrrev_b32 v3, 24, v4
	s_delay_alu instid0(VALU_DEP_1) | instskip(NEXT) | instid1(VALU_DEP_2)
	v_cmp_gt_u64_e32 vcc_lo, 0x47600001, v[6:7]
	v_and_b32_e32 v3, 0x80, v3
                                        ; implicit-def: $vgpr6
	scratch_store_b64 off, v[6:7], s33 offset:268 ; 8-byte Folded Spill
	s_wait_xcnt 0x0
	s_and_saveexec_b32 s7, vcc_lo
	s_delay_alu instid0(SALU_CYCLE_1)
	s_xor_b32 s11, exec_lo, s7
	s_cbranch_execz .LBB6_14861
; %bb.14848:                            ;   in Loop: Header=BB6_14012 Depth=2
	v_mov_b32_e32 v6, 0
	s_mov_b32 s29, exec_lo
	scratch_store_b64 off, v[6:7], s33 offset:268 ; 8-byte Folded Spill
	s_wait_xcnt 0x0
	v_cmpx_ne_u32_e32 0, v4
	s_cbranch_execz .LBB6_14860
; %bb.14849:                            ;   in Loop: Header=BB6_14012 Depth=2
	v_bfe_u32 v8, v4, 23, 8
	v_or_b32_e32 v6, 0x800000, v0
	s_mov_b32 s40, exec_lo
	s_delay_alu instid0(VALU_DEP_2) | instskip(SKIP_1) | instid1(VALU_DEP_2)
	v_dual_mov_b32 v7, v1 :: v_dual_sub_nc_u32 v4, 0x71, v8
	v_cmp_gt_u32_e32 vcc_lo, 0x72, v8
	v_cndmask_b32_e32 v4, 0, v4, vcc_lo
	v_cmp_eq_u32_e32 vcc_lo, 0, v8
	s_delay_alu instid0(VALU_DEP_2) | instskip(NEXT) | instid1(VALU_DEP_1)
	v_cndmask_b32_e64 v9, v4, 0x70, vcc_lo
	v_dual_cndmask_b32 v6, v6, v0, vcc_lo :: v_dual_add_nc_u32 v4, 21, v9
	v_add_nc_u32_e32 v16, 20, v9
	s_delay_alu instid0(VALU_DEP_2) | instskip(NEXT) | instid1(VALU_DEP_2)
	v_lshlrev_b64_e64 v[4:5], v4, -1
	v_lshlrev_b64_e64 v[16:17], v16, 1
	s_delay_alu instid0(VALU_DEP_2) | instskip(NEXT) | instid1(VALU_DEP_3)
	v_bfi_b32 v19, v5, 0, 0
	v_bfi_b32 v18, v4, 0, v6
	v_lshrrev_b64 v[4:5], v9, v[6:7]
	s_delay_alu instid0(VALU_DEP_1) | instskip(NEXT) | instid1(VALU_DEP_3)
	v_mov_b64_e32 v[6:7], v[4:5]
	v_cmpx_eq_u64_e64 v[18:19], v[16:17]
; %bb.14850:                            ;   in Loop: Header=BB6_14012 Depth=2
	v_bfe_u32 v6, v4, 21, 1
	v_mov_b32_e32 v7, v1
	s_delay_alu instid0(VALU_DEP_1) | instskip(NEXT) | instid1(VALU_DEP_1)
	v_add_nc_u64_e32 v[6:7], v[4:5], v[6:7]
	v_add_nc_u64_e32 v[6:7], -1, v[6:7]
; %bb.14851:                            ;   in Loop: Header=BB6_14012 Depth=2
	s_or_b32 exec_lo, exec_lo, s40
	v_add_nc_u32_e32 v0, 0xffffff81, v8
	s_delay_alu instid0(VALU_DEP_2) | instskip(SKIP_2) | instid1(VALU_DEP_3)
	v_and_b32_e32 v6, 0x1fffff, v6
	v_lshrrev_b32_e32 v5, 23, v4
	s_mov_b32 s7, exec_lo
	v_cndmask_b32_e64 v0, v0, 0xffffff82, vcc_lo
	s_delay_alu instid0(VALU_DEP_1) | instskip(SKIP_1) | instid1(VALU_DEP_2)
	v_add3_u32 v7, v9, v0, v5
	v_add_nc_u32_e32 v0, v6, v4
                                        ; implicit-def: $vgpr4_vgpr5
                                        ; implicit-def: $vgpr6
	v_add_nc_u32_e32 v8, 14, v7
	s_delay_alu instid0(VALU_DEP_1)
	v_cmpx_ne_u32_e32 0, v8
	s_xor_b32 s7, exec_lo, s7
; %bb.14852:                            ;   in Loop: Header=BB6_14012 Depth=2
	s_delay_alu instid0(VALU_DEP_3) | instskip(SKIP_1) | instid1(VALU_DEP_1)
	v_cmp_lt_u64_e32 vcc_lo, 0xffffff, v[0:1]
	v_add_nc_u32_e32 v4, 15, v7
	v_cndmask_b32_e32 v6, v8, v4, vcc_lo
	v_cndmask_b32_e64 v4, 0, 1, vcc_lo
	s_delay_alu instid0(VALU_DEP_1)
	v_lshrrev_b64 v[4:5], v4, v[0:1]
; %bb.14853:                            ;   in Loop: Header=BB6_14012 Depth=2
	s_and_not1_saveexec_b32 s7, s7
; %bb.14854:                            ;   in Loop: Header=BB6_14012 Depth=2
	v_mov_b64_e32 v[4:5], v[0:1]
	v_bfe_u32 v6, v0, 23, 1
; %bb.14855:                            ;   in Loop: Header=BB6_14012 Depth=2
	s_or_b32 exec_lo, exec_lo, s7
	s_delay_alu instid0(VALU_DEP_2) | instskip(NEXT) | instid1(VALU_DEP_2)
	v_lshrrev_b64 v[4:5], 21, v[4:5]
	v_cmp_gt_i32_e32 vcc_lo, 32, v6
	v_cmp_ne_u32_e64 s7, 0, v6
                                        ; implicit-def: $vgpr0
	scratch_store_b64 off, v[0:1], s33 offset:268 ; 8-byte Folded Spill
	v_dual_cndmask_b32 v5, 0, v5 :: v_dual_cndmask_b32 v4, 3, v4
	s_delay_alu instid0(VALU_DEP_1) | instskip(SKIP_3) | instid1(SALU_CYCLE_1)
	v_cmp_ne_u64_e32 vcc_lo, 0, v[4:5]
	s_or_b32 s7, s7, vcc_lo
	s_wait_xcnt 0x0
	s_and_saveexec_b32 s40, s7
	s_xor_b32 s7, exec_lo, s40
	s_cbranch_execz .LBB6_14857
; %bb.14856:                            ;   in Loop: Header=BB6_14012 Depth=2
	v_min_i32_e32 v0, 31, v6
	s_delay_alu instid0(VALU_DEP_1) | instskip(NEXT) | instid1(VALU_DEP_1)
	v_lshl_or_b32 v0, v0, 2, v3
                                        ; implicit-def: $vgpr3
	v_and_or_b32 v0, v4, 3, v0
	scratch_store_b64 off, v[0:1], s33 offset:268 ; 8-byte Folded Spill
.LBB6_14857:                            ;   in Loop: Header=BB6_14012 Depth=2
	s_wait_xcnt 0x0
	s_and_not1_saveexec_b32 s7, s7
	s_cbranch_execz .LBB6_14859
; %bb.14858:                            ;   in Loop: Header=BB6_14012 Depth=2
	v_mov_b32_e32 v0, v3
	scratch_store_b64 off, v[0:1], s33 offset:268 ; 8-byte Folded Spill
.LBB6_14859:                            ;   in Loop: Header=BB6_14012 Depth=2
	s_wait_xcnt 0x0
	s_or_b32 exec_lo, exec_lo, s7
.LBB6_14860:                            ;   in Loop: Header=BB6_14012 Depth=2
	s_delay_alu instid0(SALU_CYCLE_1)
	s_or_b32 exec_lo, exec_lo, s29
                                        ; implicit-def: $vgpr3
.LBB6_14861:                            ;   in Loop: Header=BB6_14012 Depth=2
	s_and_not1_saveexec_b32 s7, s11
	s_cbranch_execz .LBB6_14863
; %bb.14862:                            ;   in Loop: Header=BB6_14012 Depth=2
	v_or_b32_e32 v0, 0x7b, v3
	scratch_store_b64 off, v[0:1], s33 offset:268 ; 8-byte Folded Spill
.LBB6_14863:                            ;   in Loop: Header=BB6_14012 Depth=2
	s_wait_xcnt 0x0
	s_or_b32 exec_lo, exec_lo, s7
                                        ; implicit-def: $vgpr4
.LBB6_14864:                            ;   in Loop: Header=BB6_14012 Depth=2
	s_and_not1_saveexec_b32 s7, s10
	s_cbranch_execz .LBB6_14870
; %bb.14865:                            ;   in Loop: Header=BB6_14012 Depth=2
	v_cmp_ne_u64_e32 vcc_lo, 0, v[0:1]
                                        ; implicit-def: $vgpr0
	scratch_store_b64 off, v[0:1], s33 offset:268 ; 8-byte Folded Spill
	s_wait_xcnt 0x0
	s_and_saveexec_b32 s10, vcc_lo
	s_delay_alu instid0(SALU_CYCLE_1)
	s_xor_b32 s10, exec_lo, s10
	s_cbranch_execz .LBB6_14867
; %bb.14866:                            ;   in Loop: Header=BB6_14012 Depth=2
	v_lshrrev_b32_e32 v0, 24, v4
                                        ; implicit-def: $vgpr4
	s_delay_alu instid0(VALU_DEP_1)
	v_or_b32_e32 v0, 0x7f, v0
	scratch_store_b64 off, v[0:1], s33 offset:268 ; 8-byte Folded Spill
.LBB6_14867:                            ;   in Loop: Header=BB6_14012 Depth=2
	s_wait_xcnt 0x0
	s_and_not1_saveexec_b32 s10, s10
	s_cbranch_execz .LBB6_14869
; %bb.14868:                            ;   in Loop: Header=BB6_14012 Depth=2
	v_cmp_lt_i32_e32 vcc_lo, -1, v4
	v_cndmask_b32_e64 v0, -4, 0x7c, vcc_lo
	scratch_store_b64 off, v[0:1], s33 offset:268 ; 8-byte Folded Spill
.LBB6_14869:                            ;   in Loop: Header=BB6_14012 Depth=2
	s_wait_xcnt 0x0
	s_or_b32 exec_lo, exec_lo, s10
.LBB6_14870:                            ;   in Loop: Header=BB6_14012 Depth=2
	s_delay_alu instid0(SALU_CYCLE_1)
	s_or_b32 exec_lo, exec_lo, s7
	flat_load_i8 v4, v[10:11] offset:800 th:TH_LOAD_NT
	v_mov_b32_e32 v3, 0
	s_mov_b32 s7, exec_lo
	s_wait_loadcnt_dscnt 0x0
	v_cmpx_ne_u16_e32 0, v4
	s_cbranch_execz .LBB6_14880
; %bb.14871:                            ;   in Loop: Header=BB6_14012 Depth=2
	v_bfrev_b32_e32 v3, 1
	s_mov_b32 s10, exec_lo
	v_cmpx_ne_u16_e32 0xff80, v4
	s_cbranch_execz .LBB6_14879
; %bb.14872:                            ;   in Loop: Header=BB6_14012 Depth=2
	v_and_b32_e32 v3, 0x7c, v4
	v_and_b32_e32 v0, 3, v4
	s_delay_alu instid0(VALU_DEP_2) | instskip(SKIP_1) | instid1(SALU_CYCLE_1)
	v_cmp_ne_u32_e32 vcc_lo, 0x7c, v3
                                        ; implicit-def: $vgpr3
	s_and_saveexec_b32 s11, vcc_lo
	s_xor_b32 s11, exec_lo, s11
	s_cbranch_execz .LBB6_14876
; %bb.14873:                            ;   in Loop: Header=BB6_14012 Depth=2
	v_and_b32_e32 v3, 0xff, v4
	s_mov_b32 s29, exec_lo
	s_delay_alu instid0(VALU_DEP_1) | instskip(NEXT) | instid1(VALU_DEP_1)
	v_bfe_u32 v3, v3, 2, 5
	v_cmpx_eq_u32_e32 0, v3
; %bb.14874:                            ;   in Loop: Header=BB6_14012 Depth=2
	v_clz_i32_u32_e32 v0, v0
	s_delay_alu instid0(VALU_DEP_1) | instskip(SKIP_1) | instid1(VALU_DEP_2)
	v_min_u32_e32 v0, 32, v0
	v_mov_b32_e32 v5, v1
	v_subrev_nc_u32_e32 v3, 29, v0
	s_delay_alu instid0(VALU_DEP_1) | instskip(NEXT) | instid1(VALU_DEP_1)
	v_lshlrev_b64_e32 v[6:7], v3, v[4:5]
	v_dual_sub_nc_u32 v3, 30, v0 :: v_dual_bitop2_b32 v0, 3, v6 bitop3:0x40
; %bb.14875:                            ;   in Loop: Header=BB6_14012 Depth=2
	s_or_b32 exec_lo, exec_lo, s29
	v_bfe_i32 v4, v4, 0, 16
	s_delay_alu instid0(VALU_DEP_1) | instskip(NEXT) | instid1(VALU_DEP_1)
	v_and_b32_e32 v4, 0x80000000, v4
	v_lshl_add_u32 v3, v3, 23, v4
                                        ; implicit-def: $vgpr4
	s_delay_alu instid0(VALU_DEP_1) | instskip(NEXT) | instid1(VALU_DEP_1)
	v_lshl_or_b32 v0, v0, 21, v3
	v_add_nc_u32_e32 v3, 0x38000000, v0
                                        ; implicit-def: $vgpr0
.LBB6_14876:                            ;   in Loop: Header=BB6_14012 Depth=2
	s_and_not1_saveexec_b32 s11, s11
; %bb.14877:                            ;   in Loop: Header=BB6_14012 Depth=2
	v_cmp_lt_i16_e32 vcc_lo, -1, v4
	v_mov_b32_e32 v3, 0x7f800000
	s_delay_alu instid0(VALU_DEP_1) | instskip(SKIP_1) | instid1(VALU_DEP_2)
	v_cndmask_b32_e32 v3, 0xff800000, v3, vcc_lo
	v_cmp_eq_u32_e32 vcc_lo, 0, v0
	v_cndmask_b32_e32 v3, 0x7f800001, v3, vcc_lo
; %bb.14878:                            ;   in Loop: Header=BB6_14012 Depth=2
	s_or_b32 exec_lo, exec_lo, s11
.LBB6_14879:                            ;   in Loop: Header=BB6_14012 Depth=2
	s_delay_alu instid0(SALU_CYCLE_1)
	s_or_b32 exec_lo, exec_lo, s10
.LBB6_14880:                            ;   in Loop: Header=BB6_14012 Depth=2
	s_delay_alu instid0(SALU_CYCLE_1) | instskip(NEXT) | instid1(VALU_DEP_1)
	s_or_b32 exec_lo, exec_lo, s7
	v_dual_mul_f32 v4, s28, v3 :: v_dual_mov_b32 v7, v1
                                        ; implicit-def: $vgpr100
	s_mov_b32 s7, exec_lo
	s_delay_alu instid0(VALU_DEP_1) | instskip(SKIP_1) | instid1(VALU_DEP_2)
	v_and_b32_e32 v6, 0x7f800000, v4
	v_and_b32_e32 v0, 0x7fffff, v4
	v_cmpx_ne_u64_e32 0x7f800000, v[6:7]
	s_xor_b32 s10, exec_lo, s7
	s_cbranch_execz .LBB6_14898
; %bb.14881:                            ;   in Loop: Header=BB6_14012 Depth=2
	v_dual_mov_b32 v7, v1 :: v_dual_lshrrev_b32 v3, 24, v4
	v_and_b32_e32 v6, 0x7fffffff, v4
                                        ; implicit-def: $vgpr100
	s_mov_b32 s7, exec_lo
	s_delay_alu instid0(VALU_DEP_2) | instskip(NEXT) | instid1(VALU_DEP_2)
	v_and_b32_e32 v3, 0x80, v3
	v_cmpx_gt_u64_e32 0x47600001, v[6:7]
	s_xor_b32 s11, exec_lo, s7
	s_cbranch_execz .LBB6_14895
; %bb.14882:                            ;   in Loop: Header=BB6_14012 Depth=2
	v_mov_b32_e32 v100, 0
	s_mov_b32 s29, exec_lo
	v_cmpx_ne_u32_e32 0, v4
	s_cbranch_execz .LBB6_14894
; %bb.14883:                            ;   in Loop: Header=BB6_14012 Depth=2
	v_bfe_u32 v8, v4, 23, 8
	v_or_b32_e32 v6, 0x800000, v0
	s_mov_b32 s40, exec_lo
	s_delay_alu instid0(VALU_DEP_2) | instskip(SKIP_1) | instid1(VALU_DEP_2)
	v_dual_mov_b32 v7, v1 :: v_dual_sub_nc_u32 v4, 0x71, v8
	v_cmp_gt_u32_e32 vcc_lo, 0x72, v8
	v_cndmask_b32_e32 v4, 0, v4, vcc_lo
	v_cmp_eq_u32_e32 vcc_lo, 0, v8
	s_delay_alu instid0(VALU_DEP_2) | instskip(NEXT) | instid1(VALU_DEP_1)
	v_cndmask_b32_e64 v9, v4, 0x70, vcc_lo
	v_dual_cndmask_b32 v6, v6, v0, vcc_lo :: v_dual_add_nc_u32 v4, 21, v9
	v_add_nc_u32_e32 v16, 20, v9
	s_delay_alu instid0(VALU_DEP_2) | instskip(NEXT) | instid1(VALU_DEP_2)
	v_lshlrev_b64_e64 v[4:5], v4, -1
	v_lshlrev_b64_e64 v[16:17], v16, 1
	s_delay_alu instid0(VALU_DEP_2) | instskip(NEXT) | instid1(VALU_DEP_3)
	v_bfi_b32 v19, v5, 0, 0
	v_bfi_b32 v18, v4, 0, v6
	v_lshrrev_b64 v[4:5], v9, v[6:7]
	s_delay_alu instid0(VALU_DEP_1) | instskip(NEXT) | instid1(VALU_DEP_3)
	v_mov_b64_e32 v[6:7], v[4:5]
	v_cmpx_eq_u64_e64 v[18:19], v[16:17]
; %bb.14884:                            ;   in Loop: Header=BB6_14012 Depth=2
	v_bfe_u32 v6, v4, 21, 1
	v_mov_b32_e32 v7, v1
	s_delay_alu instid0(VALU_DEP_1) | instskip(NEXT) | instid1(VALU_DEP_1)
	v_add_nc_u64_e32 v[6:7], v[4:5], v[6:7]
	v_add_nc_u64_e32 v[6:7], -1, v[6:7]
; %bb.14885:                            ;   in Loop: Header=BB6_14012 Depth=2
	s_or_b32 exec_lo, exec_lo, s40
	v_add_nc_u32_e32 v0, 0xffffff81, v8
	s_delay_alu instid0(VALU_DEP_2) | instskip(SKIP_2) | instid1(VALU_DEP_3)
	v_and_b32_e32 v6, 0x1fffff, v6
	v_lshrrev_b32_e32 v5, 23, v4
	s_mov_b32 s7, exec_lo
	v_cndmask_b32_e64 v0, v0, 0xffffff82, vcc_lo
	s_delay_alu instid0(VALU_DEP_1) | instskip(SKIP_1) | instid1(VALU_DEP_2)
	v_add3_u32 v7, v9, v0, v5
	v_add_nc_u32_e32 v0, v6, v4
                                        ; implicit-def: $vgpr4_vgpr5
                                        ; implicit-def: $vgpr6
	v_add_nc_u32_e32 v8, 14, v7
	s_delay_alu instid0(VALU_DEP_1)
	v_cmpx_ne_u32_e32 0, v8
	s_xor_b32 s7, exec_lo, s7
; %bb.14886:                            ;   in Loop: Header=BB6_14012 Depth=2
	s_delay_alu instid0(VALU_DEP_3) | instskip(SKIP_1) | instid1(VALU_DEP_1)
	v_cmp_lt_u64_e32 vcc_lo, 0xffffff, v[0:1]
	v_add_nc_u32_e32 v4, 15, v7
	v_cndmask_b32_e32 v6, v8, v4, vcc_lo
	v_cndmask_b32_e64 v4, 0, 1, vcc_lo
	s_delay_alu instid0(VALU_DEP_1)
	v_lshrrev_b64 v[4:5], v4, v[0:1]
; %bb.14887:                            ;   in Loop: Header=BB6_14012 Depth=2
	s_and_not1_saveexec_b32 s7, s7
; %bb.14888:                            ;   in Loop: Header=BB6_14012 Depth=2
	v_mov_b64_e32 v[4:5], v[0:1]
	v_bfe_u32 v6, v0, 23, 1
; %bb.14889:                            ;   in Loop: Header=BB6_14012 Depth=2
	s_or_b32 exec_lo, exec_lo, s7
	s_delay_alu instid0(VALU_DEP_2) | instskip(NEXT) | instid1(VALU_DEP_2)
	v_lshrrev_b64 v[4:5], 21, v[4:5]
	v_cmp_gt_i32_e32 vcc_lo, 32, v6
	v_cmp_ne_u32_e64 s7, 0, v6
                                        ; implicit-def: $vgpr100
	s_delay_alu instid0(VALU_DEP_3) | instskip(NEXT) | instid1(VALU_DEP_1)
	v_dual_cndmask_b32 v5, 0, v5 :: v_dual_cndmask_b32 v4, 3, v4
	v_cmp_ne_u64_e32 vcc_lo, 0, v[4:5]
	s_or_b32 s7, s7, vcc_lo
	s_delay_alu instid0(SALU_CYCLE_1) | instskip(NEXT) | instid1(SALU_CYCLE_1)
	s_and_saveexec_b32 s40, s7
	s_xor_b32 s7, exec_lo, s40
; %bb.14890:                            ;   in Loop: Header=BB6_14012 Depth=2
	v_min_i32_e32 v0, 31, v6
	s_delay_alu instid0(VALU_DEP_1) | instskip(NEXT) | instid1(VALU_DEP_1)
	v_lshl_or_b32 v0, v0, 2, v3
                                        ; implicit-def: $vgpr3
	v_and_or_b32 v100, v4, 3, v0
; %bb.14891:                            ;   in Loop: Header=BB6_14012 Depth=2
	s_and_not1_saveexec_b32 s7, s7
; %bb.14892:                            ;   in Loop: Header=BB6_14012 Depth=2
	v_mov_b32_e32 v100, v3
; %bb.14893:                            ;   in Loop: Header=BB6_14012 Depth=2
	s_or_b32 exec_lo, exec_lo, s7
.LBB6_14894:                            ;   in Loop: Header=BB6_14012 Depth=2
	s_delay_alu instid0(SALU_CYCLE_1)
	s_or_b32 exec_lo, exec_lo, s29
                                        ; implicit-def: $vgpr3
.LBB6_14895:                            ;   in Loop: Header=BB6_14012 Depth=2
	s_and_not1_saveexec_b32 s7, s11
; %bb.14896:                            ;   in Loop: Header=BB6_14012 Depth=2
	v_or_b32_e32 v100, 0x7b, v3
; %bb.14897:                            ;   in Loop: Header=BB6_14012 Depth=2
	s_or_b32 exec_lo, exec_lo, s7
                                        ; implicit-def: $vgpr4
.LBB6_14898:                            ;   in Loop: Header=BB6_14012 Depth=2
	s_and_not1_saveexec_b32 s7, s10
	s_cbranch_execz .LBB6_14904
; %bb.14899:                            ;   in Loop: Header=BB6_14012 Depth=2
	s_mov_b32 s10, exec_lo
                                        ; implicit-def: $vgpr100
	v_cmpx_ne_u64_e32 0, v[0:1]
	s_xor_b32 s10, exec_lo, s10
; %bb.14900:                            ;   in Loop: Header=BB6_14012 Depth=2
	v_lshrrev_b32_e32 v0, 24, v4
                                        ; implicit-def: $vgpr4
	s_delay_alu instid0(VALU_DEP_1)
	v_or_b32_e32 v100, 0x7f, v0
; %bb.14901:                            ;   in Loop: Header=BB6_14012 Depth=2
	s_and_not1_saveexec_b32 s10, s10
; %bb.14902:                            ;   in Loop: Header=BB6_14012 Depth=2
	v_cmp_lt_i32_e32 vcc_lo, -1, v4
	v_cndmask_b32_e64 v100, -4, 0x7c, vcc_lo
; %bb.14903:                            ;   in Loop: Header=BB6_14012 Depth=2
	s_or_b32 exec_lo, exec_lo, s10
.LBB6_14904:                            ;   in Loop: Header=BB6_14012 Depth=2
	s_delay_alu instid0(SALU_CYCLE_1)
	s_or_b32 exec_lo, exec_lo, s7
	flat_load_i8 v4, v[10:11] offset:832 th:TH_LOAD_NT
	v_mov_b32_e32 v3, 0
	s_mov_b32 s7, exec_lo
	s_wait_loadcnt_dscnt 0x0
	v_cmpx_ne_u16_e32 0, v4
	s_cbranch_execz .LBB6_14914
; %bb.14905:                            ;   in Loop: Header=BB6_14012 Depth=2
	v_bfrev_b32_e32 v3, 1
	s_mov_b32 s10, exec_lo
	v_cmpx_ne_u16_e32 0xff80, v4
	s_cbranch_execz .LBB6_14913
; %bb.14906:                            ;   in Loop: Header=BB6_14012 Depth=2
	v_and_b32_e32 v3, 0x7c, v4
	v_and_b32_e32 v0, 3, v4
	s_delay_alu instid0(VALU_DEP_2) | instskip(SKIP_1) | instid1(SALU_CYCLE_1)
	v_cmp_ne_u32_e32 vcc_lo, 0x7c, v3
                                        ; implicit-def: $vgpr3
	s_and_saveexec_b32 s11, vcc_lo
	s_xor_b32 s11, exec_lo, s11
	s_cbranch_execz .LBB6_14910
; %bb.14907:                            ;   in Loop: Header=BB6_14012 Depth=2
	v_and_b32_e32 v3, 0xff, v4
	s_mov_b32 s29, exec_lo
	s_delay_alu instid0(VALU_DEP_1) | instskip(NEXT) | instid1(VALU_DEP_1)
	v_bfe_u32 v3, v3, 2, 5
	v_cmpx_eq_u32_e32 0, v3
; %bb.14908:                            ;   in Loop: Header=BB6_14012 Depth=2
	v_clz_i32_u32_e32 v0, v0
	s_delay_alu instid0(VALU_DEP_1) | instskip(SKIP_1) | instid1(VALU_DEP_2)
	v_min_u32_e32 v0, 32, v0
	v_mov_b32_e32 v5, v1
	v_subrev_nc_u32_e32 v3, 29, v0
	s_delay_alu instid0(VALU_DEP_1) | instskip(NEXT) | instid1(VALU_DEP_1)
	v_lshlrev_b64_e32 v[6:7], v3, v[4:5]
	v_dual_sub_nc_u32 v3, 30, v0 :: v_dual_bitop2_b32 v0, 3, v6 bitop3:0x40
; %bb.14909:                            ;   in Loop: Header=BB6_14012 Depth=2
	s_or_b32 exec_lo, exec_lo, s29
	v_bfe_i32 v4, v4, 0, 16
	s_delay_alu instid0(VALU_DEP_1) | instskip(NEXT) | instid1(VALU_DEP_1)
	v_and_b32_e32 v4, 0x80000000, v4
	v_lshl_add_u32 v3, v3, 23, v4
                                        ; implicit-def: $vgpr4
	s_delay_alu instid0(VALU_DEP_1) | instskip(NEXT) | instid1(VALU_DEP_1)
	v_lshl_or_b32 v0, v0, 21, v3
	v_add_nc_u32_e32 v3, 0x38000000, v0
                                        ; implicit-def: $vgpr0
.LBB6_14910:                            ;   in Loop: Header=BB6_14012 Depth=2
	s_and_not1_saveexec_b32 s11, s11
; %bb.14911:                            ;   in Loop: Header=BB6_14012 Depth=2
	v_cmp_lt_i16_e32 vcc_lo, -1, v4
	v_mov_b32_e32 v3, 0x7f800000
	s_delay_alu instid0(VALU_DEP_1) | instskip(SKIP_1) | instid1(VALU_DEP_2)
	v_cndmask_b32_e32 v3, 0xff800000, v3, vcc_lo
	v_cmp_eq_u32_e32 vcc_lo, 0, v0
	v_cndmask_b32_e32 v3, 0x7f800001, v3, vcc_lo
; %bb.14912:                            ;   in Loop: Header=BB6_14012 Depth=2
	s_or_b32 exec_lo, exec_lo, s11
.LBB6_14913:                            ;   in Loop: Header=BB6_14012 Depth=2
	s_delay_alu instid0(SALU_CYCLE_1)
	s_or_b32 exec_lo, exec_lo, s10
.LBB6_14914:                            ;   in Loop: Header=BB6_14012 Depth=2
	s_delay_alu instid0(SALU_CYCLE_1) | instskip(NEXT) | instid1(VALU_DEP_1)
	s_or_b32 exec_lo, exec_lo, s7
	v_dual_mul_f32 v4, s28, v3 :: v_dual_mov_b32 v7, v1
	s_delay_alu instid0(VALU_DEP_1) | instskip(SKIP_1) | instid1(VALU_DEP_2)
	v_and_b32_e32 v6, 0x7f800000, v4
	v_and_b32_e32 v0, 0x7fffff, v4
	v_cmp_ne_u64_e32 vcc_lo, 0x7f800000, v[6:7]
                                        ; implicit-def: $vgpr6
	scratch_store_b64 off, v[6:7], s33 offset:260 ; 8-byte Folded Spill
	s_wait_xcnt 0x0
	s_and_saveexec_b32 s7, vcc_lo
	s_delay_alu instid0(SALU_CYCLE_1)
	s_xor_b32 s10, exec_lo, s7
	s_cbranch_execz .LBB6_14932
; %bb.14915:                            ;   in Loop: Header=BB6_14012 Depth=2
	v_and_b32_e32 v6, 0x7fffffff, v4
	v_dual_mov_b32 v7, v1 :: v_dual_lshrrev_b32 v3, 24, v4
	s_delay_alu instid0(VALU_DEP_1) | instskip(NEXT) | instid1(VALU_DEP_2)
	v_cmp_gt_u64_e32 vcc_lo, 0x47600001, v[6:7]
	v_and_b32_e32 v3, 0x80, v3
                                        ; implicit-def: $vgpr6
	scratch_store_b64 off, v[6:7], s33 offset:260 ; 8-byte Folded Spill
	s_wait_xcnt 0x0
	s_and_saveexec_b32 s7, vcc_lo
	s_delay_alu instid0(SALU_CYCLE_1)
	s_xor_b32 s11, exec_lo, s7
	s_cbranch_execz .LBB6_14929
; %bb.14916:                            ;   in Loop: Header=BB6_14012 Depth=2
	v_mov_b32_e32 v6, 0
	s_mov_b32 s29, exec_lo
	scratch_store_b64 off, v[6:7], s33 offset:260 ; 8-byte Folded Spill
	s_wait_xcnt 0x0
	v_cmpx_ne_u32_e32 0, v4
	s_cbranch_execz .LBB6_14928
; %bb.14917:                            ;   in Loop: Header=BB6_14012 Depth=2
	v_bfe_u32 v8, v4, 23, 8
	v_or_b32_e32 v6, 0x800000, v0
	s_mov_b32 s40, exec_lo
	s_delay_alu instid0(VALU_DEP_2) | instskip(SKIP_1) | instid1(VALU_DEP_2)
	v_dual_mov_b32 v7, v1 :: v_dual_sub_nc_u32 v4, 0x71, v8
	v_cmp_gt_u32_e32 vcc_lo, 0x72, v8
	v_cndmask_b32_e32 v4, 0, v4, vcc_lo
	v_cmp_eq_u32_e32 vcc_lo, 0, v8
	s_delay_alu instid0(VALU_DEP_2) | instskip(NEXT) | instid1(VALU_DEP_1)
	v_cndmask_b32_e64 v9, v4, 0x70, vcc_lo
	v_dual_cndmask_b32 v6, v6, v0, vcc_lo :: v_dual_add_nc_u32 v4, 21, v9
	v_add_nc_u32_e32 v16, 20, v9
	s_delay_alu instid0(VALU_DEP_2) | instskip(NEXT) | instid1(VALU_DEP_2)
	v_lshlrev_b64_e64 v[4:5], v4, -1
	v_lshlrev_b64_e64 v[16:17], v16, 1
	s_delay_alu instid0(VALU_DEP_2) | instskip(NEXT) | instid1(VALU_DEP_3)
	v_bfi_b32 v19, v5, 0, 0
	v_bfi_b32 v18, v4, 0, v6
	v_lshrrev_b64 v[4:5], v9, v[6:7]
	s_delay_alu instid0(VALU_DEP_1) | instskip(NEXT) | instid1(VALU_DEP_3)
	v_mov_b64_e32 v[6:7], v[4:5]
	v_cmpx_eq_u64_e64 v[18:19], v[16:17]
; %bb.14918:                            ;   in Loop: Header=BB6_14012 Depth=2
	v_bfe_u32 v6, v4, 21, 1
	v_mov_b32_e32 v7, v1
	s_delay_alu instid0(VALU_DEP_1) | instskip(NEXT) | instid1(VALU_DEP_1)
	v_add_nc_u64_e32 v[6:7], v[4:5], v[6:7]
	v_add_nc_u64_e32 v[6:7], -1, v[6:7]
; %bb.14919:                            ;   in Loop: Header=BB6_14012 Depth=2
	s_or_b32 exec_lo, exec_lo, s40
	v_add_nc_u32_e32 v0, 0xffffff81, v8
	s_delay_alu instid0(VALU_DEP_2) | instskip(SKIP_2) | instid1(VALU_DEP_3)
	v_and_b32_e32 v6, 0x1fffff, v6
	v_lshrrev_b32_e32 v5, 23, v4
	s_mov_b32 s7, exec_lo
	v_cndmask_b32_e64 v0, v0, 0xffffff82, vcc_lo
	s_delay_alu instid0(VALU_DEP_1) | instskip(SKIP_1) | instid1(VALU_DEP_2)
	v_add3_u32 v7, v9, v0, v5
	v_add_nc_u32_e32 v0, v6, v4
                                        ; implicit-def: $vgpr4_vgpr5
                                        ; implicit-def: $vgpr6
	v_add_nc_u32_e32 v8, 14, v7
	s_delay_alu instid0(VALU_DEP_1)
	v_cmpx_ne_u32_e32 0, v8
	s_xor_b32 s7, exec_lo, s7
; %bb.14920:                            ;   in Loop: Header=BB6_14012 Depth=2
	s_delay_alu instid0(VALU_DEP_3) | instskip(SKIP_1) | instid1(VALU_DEP_1)
	v_cmp_lt_u64_e32 vcc_lo, 0xffffff, v[0:1]
	v_add_nc_u32_e32 v4, 15, v7
	v_cndmask_b32_e32 v6, v8, v4, vcc_lo
	v_cndmask_b32_e64 v4, 0, 1, vcc_lo
	s_delay_alu instid0(VALU_DEP_1)
	v_lshrrev_b64 v[4:5], v4, v[0:1]
; %bb.14921:                            ;   in Loop: Header=BB6_14012 Depth=2
	s_and_not1_saveexec_b32 s7, s7
; %bb.14922:                            ;   in Loop: Header=BB6_14012 Depth=2
	v_mov_b64_e32 v[4:5], v[0:1]
	v_bfe_u32 v6, v0, 23, 1
; %bb.14923:                            ;   in Loop: Header=BB6_14012 Depth=2
	s_or_b32 exec_lo, exec_lo, s7
	s_delay_alu instid0(VALU_DEP_2) | instskip(NEXT) | instid1(VALU_DEP_2)
	v_lshrrev_b64 v[4:5], 21, v[4:5]
	v_cmp_gt_i32_e32 vcc_lo, 32, v6
	v_cmp_ne_u32_e64 s7, 0, v6
                                        ; implicit-def: $vgpr0
	scratch_store_b64 off, v[0:1], s33 offset:260 ; 8-byte Folded Spill
	v_dual_cndmask_b32 v5, 0, v5 :: v_dual_cndmask_b32 v4, 3, v4
	s_delay_alu instid0(VALU_DEP_1) | instskip(SKIP_3) | instid1(SALU_CYCLE_1)
	v_cmp_ne_u64_e32 vcc_lo, 0, v[4:5]
	s_or_b32 s7, s7, vcc_lo
	s_wait_xcnt 0x0
	s_and_saveexec_b32 s40, s7
	s_xor_b32 s7, exec_lo, s40
	s_cbranch_execz .LBB6_14925
; %bb.14924:                            ;   in Loop: Header=BB6_14012 Depth=2
	v_min_i32_e32 v0, 31, v6
	s_delay_alu instid0(VALU_DEP_1) | instskip(NEXT) | instid1(VALU_DEP_1)
	v_lshl_or_b32 v0, v0, 2, v3
                                        ; implicit-def: $vgpr3
	v_and_or_b32 v0, v4, 3, v0
	scratch_store_b64 off, v[0:1], s33 offset:260 ; 8-byte Folded Spill
.LBB6_14925:                            ;   in Loop: Header=BB6_14012 Depth=2
	s_wait_xcnt 0x0
	s_and_not1_saveexec_b32 s7, s7
	s_cbranch_execz .LBB6_14927
; %bb.14926:                            ;   in Loop: Header=BB6_14012 Depth=2
	v_mov_b32_e32 v0, v3
	scratch_store_b64 off, v[0:1], s33 offset:260 ; 8-byte Folded Spill
.LBB6_14927:                            ;   in Loop: Header=BB6_14012 Depth=2
	s_wait_xcnt 0x0
	s_or_b32 exec_lo, exec_lo, s7
.LBB6_14928:                            ;   in Loop: Header=BB6_14012 Depth=2
	s_delay_alu instid0(SALU_CYCLE_1)
	s_or_b32 exec_lo, exec_lo, s29
                                        ; implicit-def: $vgpr3
.LBB6_14929:                            ;   in Loop: Header=BB6_14012 Depth=2
	s_and_not1_saveexec_b32 s7, s11
	s_cbranch_execz .LBB6_14931
; %bb.14930:                            ;   in Loop: Header=BB6_14012 Depth=2
	v_or_b32_e32 v0, 0x7b, v3
	scratch_store_b64 off, v[0:1], s33 offset:260 ; 8-byte Folded Spill
.LBB6_14931:                            ;   in Loop: Header=BB6_14012 Depth=2
	s_wait_xcnt 0x0
	s_or_b32 exec_lo, exec_lo, s7
                                        ; implicit-def: $vgpr4
.LBB6_14932:                            ;   in Loop: Header=BB6_14012 Depth=2
	s_and_not1_saveexec_b32 s7, s10
	s_cbranch_execz .LBB6_14938
; %bb.14933:                            ;   in Loop: Header=BB6_14012 Depth=2
	v_cmp_ne_u64_e32 vcc_lo, 0, v[0:1]
                                        ; implicit-def: $vgpr0
	scratch_store_b64 off, v[0:1], s33 offset:260 ; 8-byte Folded Spill
	s_wait_xcnt 0x0
	s_and_saveexec_b32 s10, vcc_lo
	s_delay_alu instid0(SALU_CYCLE_1)
	s_xor_b32 s10, exec_lo, s10
	s_cbranch_execz .LBB6_14935
; %bb.14934:                            ;   in Loop: Header=BB6_14012 Depth=2
	v_lshrrev_b32_e32 v0, 24, v4
                                        ; implicit-def: $vgpr4
	s_delay_alu instid0(VALU_DEP_1)
	v_or_b32_e32 v0, 0x7f, v0
	scratch_store_b64 off, v[0:1], s33 offset:260 ; 8-byte Folded Spill
.LBB6_14935:                            ;   in Loop: Header=BB6_14012 Depth=2
	s_wait_xcnt 0x0
	s_and_not1_saveexec_b32 s10, s10
	s_cbranch_execz .LBB6_14937
; %bb.14936:                            ;   in Loop: Header=BB6_14012 Depth=2
	v_cmp_lt_i32_e32 vcc_lo, -1, v4
	v_cndmask_b32_e64 v0, -4, 0x7c, vcc_lo
	scratch_store_b64 off, v[0:1], s33 offset:260 ; 8-byte Folded Spill
.LBB6_14937:                            ;   in Loop: Header=BB6_14012 Depth=2
	s_wait_xcnt 0x0
	s_or_b32 exec_lo, exec_lo, s10
.LBB6_14938:                            ;   in Loop: Header=BB6_14012 Depth=2
	s_delay_alu instid0(SALU_CYCLE_1)
	s_or_b32 exec_lo, exec_lo, s7
	flat_load_i8 v4, v[10:11] offset:864 th:TH_LOAD_NT
	v_mov_b32_e32 v3, 0
	s_mov_b32 s7, exec_lo
	s_wait_loadcnt_dscnt 0x0
	v_cmpx_ne_u16_e32 0, v4
	s_cbranch_execz .LBB6_14948
; %bb.14939:                            ;   in Loop: Header=BB6_14012 Depth=2
	v_bfrev_b32_e32 v3, 1
	s_mov_b32 s10, exec_lo
	v_cmpx_ne_u16_e32 0xff80, v4
	s_cbranch_execz .LBB6_14947
; %bb.14940:                            ;   in Loop: Header=BB6_14012 Depth=2
	v_and_b32_e32 v3, 0x7c, v4
	v_and_b32_e32 v0, 3, v4
	s_delay_alu instid0(VALU_DEP_2) | instskip(SKIP_1) | instid1(SALU_CYCLE_1)
	v_cmp_ne_u32_e32 vcc_lo, 0x7c, v3
                                        ; implicit-def: $vgpr3
	s_and_saveexec_b32 s11, vcc_lo
	s_xor_b32 s11, exec_lo, s11
	s_cbranch_execz .LBB6_14944
; %bb.14941:                            ;   in Loop: Header=BB6_14012 Depth=2
	v_and_b32_e32 v3, 0xff, v4
	s_mov_b32 s29, exec_lo
	s_delay_alu instid0(VALU_DEP_1) | instskip(NEXT) | instid1(VALU_DEP_1)
	v_bfe_u32 v3, v3, 2, 5
	v_cmpx_eq_u32_e32 0, v3
; %bb.14942:                            ;   in Loop: Header=BB6_14012 Depth=2
	v_clz_i32_u32_e32 v0, v0
	s_delay_alu instid0(VALU_DEP_1) | instskip(SKIP_1) | instid1(VALU_DEP_2)
	v_min_u32_e32 v0, 32, v0
	v_mov_b32_e32 v5, v1
	v_subrev_nc_u32_e32 v3, 29, v0
	s_delay_alu instid0(VALU_DEP_1) | instskip(NEXT) | instid1(VALU_DEP_1)
	v_lshlrev_b64_e32 v[6:7], v3, v[4:5]
	v_dual_sub_nc_u32 v3, 30, v0 :: v_dual_bitop2_b32 v0, 3, v6 bitop3:0x40
; %bb.14943:                            ;   in Loop: Header=BB6_14012 Depth=2
	s_or_b32 exec_lo, exec_lo, s29
	v_bfe_i32 v4, v4, 0, 16
	s_delay_alu instid0(VALU_DEP_1) | instskip(NEXT) | instid1(VALU_DEP_1)
	v_and_b32_e32 v4, 0x80000000, v4
	v_lshl_add_u32 v3, v3, 23, v4
                                        ; implicit-def: $vgpr4
	s_delay_alu instid0(VALU_DEP_1) | instskip(NEXT) | instid1(VALU_DEP_1)
	v_lshl_or_b32 v0, v0, 21, v3
	v_add_nc_u32_e32 v3, 0x38000000, v0
                                        ; implicit-def: $vgpr0
.LBB6_14944:                            ;   in Loop: Header=BB6_14012 Depth=2
	s_and_not1_saveexec_b32 s11, s11
; %bb.14945:                            ;   in Loop: Header=BB6_14012 Depth=2
	v_cmp_lt_i16_e32 vcc_lo, -1, v4
	v_mov_b32_e32 v3, 0x7f800000
	s_delay_alu instid0(VALU_DEP_1) | instskip(SKIP_1) | instid1(VALU_DEP_2)
	v_cndmask_b32_e32 v3, 0xff800000, v3, vcc_lo
	v_cmp_eq_u32_e32 vcc_lo, 0, v0
	v_cndmask_b32_e32 v3, 0x7f800001, v3, vcc_lo
; %bb.14946:                            ;   in Loop: Header=BB6_14012 Depth=2
	s_or_b32 exec_lo, exec_lo, s11
.LBB6_14947:                            ;   in Loop: Header=BB6_14012 Depth=2
	s_delay_alu instid0(SALU_CYCLE_1)
	s_or_b32 exec_lo, exec_lo, s10
.LBB6_14948:                            ;   in Loop: Header=BB6_14012 Depth=2
	s_delay_alu instid0(SALU_CYCLE_1) | instskip(NEXT) | instid1(VALU_DEP_1)
	s_or_b32 exec_lo, exec_lo, s7
	v_dual_mul_f32 v4, s28, v3 :: v_dual_mov_b32 v7, v1
	s_delay_alu instid0(VALU_DEP_1) | instskip(SKIP_1) | instid1(VALU_DEP_2)
	v_and_b32_e32 v6, 0x7f800000, v4
	v_and_b32_e32 v0, 0x7fffff, v4
	v_cmp_ne_u64_e32 vcc_lo, 0x7f800000, v[6:7]
                                        ; implicit-def: $vgpr6
	scratch_store_b64 off, v[6:7], s33 offset:252 ; 8-byte Folded Spill
	s_wait_xcnt 0x0
	s_and_saveexec_b32 s7, vcc_lo
	s_delay_alu instid0(SALU_CYCLE_1)
	s_xor_b32 s10, exec_lo, s7
	s_cbranch_execz .LBB6_14966
; %bb.14949:                            ;   in Loop: Header=BB6_14012 Depth=2
	v_and_b32_e32 v6, 0x7fffffff, v4
	v_dual_mov_b32 v7, v1 :: v_dual_lshrrev_b32 v3, 24, v4
	s_delay_alu instid0(VALU_DEP_1) | instskip(NEXT) | instid1(VALU_DEP_2)
	v_cmp_gt_u64_e32 vcc_lo, 0x47600001, v[6:7]
	v_and_b32_e32 v3, 0x80, v3
                                        ; implicit-def: $vgpr6
	scratch_store_b64 off, v[6:7], s33 offset:252 ; 8-byte Folded Spill
	s_wait_xcnt 0x0
	s_and_saveexec_b32 s7, vcc_lo
	s_delay_alu instid0(SALU_CYCLE_1)
	s_xor_b32 s11, exec_lo, s7
	s_cbranch_execz .LBB6_14963
; %bb.14950:                            ;   in Loop: Header=BB6_14012 Depth=2
	v_mov_b32_e32 v6, 0
	s_mov_b32 s29, exec_lo
	scratch_store_b64 off, v[6:7], s33 offset:252 ; 8-byte Folded Spill
	s_wait_xcnt 0x0
	v_cmpx_ne_u32_e32 0, v4
	s_cbranch_execz .LBB6_14962
; %bb.14951:                            ;   in Loop: Header=BB6_14012 Depth=2
	v_bfe_u32 v8, v4, 23, 8
	v_or_b32_e32 v6, 0x800000, v0
	s_mov_b32 s40, exec_lo
	s_delay_alu instid0(VALU_DEP_2) | instskip(SKIP_1) | instid1(VALU_DEP_2)
	v_dual_mov_b32 v7, v1 :: v_dual_sub_nc_u32 v4, 0x71, v8
	v_cmp_gt_u32_e32 vcc_lo, 0x72, v8
	v_cndmask_b32_e32 v4, 0, v4, vcc_lo
	v_cmp_eq_u32_e32 vcc_lo, 0, v8
	s_delay_alu instid0(VALU_DEP_2) | instskip(NEXT) | instid1(VALU_DEP_1)
	v_cndmask_b32_e64 v9, v4, 0x70, vcc_lo
	v_dual_cndmask_b32 v6, v6, v0, vcc_lo :: v_dual_add_nc_u32 v4, 21, v9
	v_add_nc_u32_e32 v16, 20, v9
	s_delay_alu instid0(VALU_DEP_2) | instskip(NEXT) | instid1(VALU_DEP_2)
	v_lshlrev_b64_e64 v[4:5], v4, -1
	v_lshlrev_b64_e64 v[16:17], v16, 1
	s_delay_alu instid0(VALU_DEP_2) | instskip(NEXT) | instid1(VALU_DEP_3)
	v_bfi_b32 v19, v5, 0, 0
	v_bfi_b32 v18, v4, 0, v6
	v_lshrrev_b64 v[4:5], v9, v[6:7]
	s_delay_alu instid0(VALU_DEP_1) | instskip(NEXT) | instid1(VALU_DEP_3)
	v_mov_b64_e32 v[6:7], v[4:5]
	v_cmpx_eq_u64_e64 v[18:19], v[16:17]
; %bb.14952:                            ;   in Loop: Header=BB6_14012 Depth=2
	v_bfe_u32 v6, v4, 21, 1
	v_mov_b32_e32 v7, v1
	s_delay_alu instid0(VALU_DEP_1) | instskip(NEXT) | instid1(VALU_DEP_1)
	v_add_nc_u64_e32 v[6:7], v[4:5], v[6:7]
	v_add_nc_u64_e32 v[6:7], -1, v[6:7]
; %bb.14953:                            ;   in Loop: Header=BB6_14012 Depth=2
	s_or_b32 exec_lo, exec_lo, s40
	v_add_nc_u32_e32 v0, 0xffffff81, v8
	s_delay_alu instid0(VALU_DEP_2) | instskip(SKIP_2) | instid1(VALU_DEP_3)
	v_and_b32_e32 v6, 0x1fffff, v6
	v_lshrrev_b32_e32 v5, 23, v4
	s_mov_b32 s7, exec_lo
	v_cndmask_b32_e64 v0, v0, 0xffffff82, vcc_lo
	s_delay_alu instid0(VALU_DEP_1) | instskip(SKIP_1) | instid1(VALU_DEP_2)
	v_add3_u32 v7, v9, v0, v5
	v_add_nc_u32_e32 v0, v6, v4
                                        ; implicit-def: $vgpr4_vgpr5
                                        ; implicit-def: $vgpr6
	v_add_nc_u32_e32 v8, 14, v7
	s_delay_alu instid0(VALU_DEP_1)
	v_cmpx_ne_u32_e32 0, v8
	s_xor_b32 s7, exec_lo, s7
; %bb.14954:                            ;   in Loop: Header=BB6_14012 Depth=2
	s_delay_alu instid0(VALU_DEP_3) | instskip(SKIP_1) | instid1(VALU_DEP_1)
	v_cmp_lt_u64_e32 vcc_lo, 0xffffff, v[0:1]
	v_add_nc_u32_e32 v4, 15, v7
	v_cndmask_b32_e32 v6, v8, v4, vcc_lo
	v_cndmask_b32_e64 v4, 0, 1, vcc_lo
	s_delay_alu instid0(VALU_DEP_1)
	v_lshrrev_b64 v[4:5], v4, v[0:1]
; %bb.14955:                            ;   in Loop: Header=BB6_14012 Depth=2
	s_and_not1_saveexec_b32 s7, s7
; %bb.14956:                            ;   in Loop: Header=BB6_14012 Depth=2
	v_mov_b64_e32 v[4:5], v[0:1]
	v_bfe_u32 v6, v0, 23, 1
; %bb.14957:                            ;   in Loop: Header=BB6_14012 Depth=2
	s_or_b32 exec_lo, exec_lo, s7
	s_delay_alu instid0(VALU_DEP_2) | instskip(NEXT) | instid1(VALU_DEP_2)
	v_lshrrev_b64 v[4:5], 21, v[4:5]
	v_cmp_gt_i32_e32 vcc_lo, 32, v6
	v_cmp_ne_u32_e64 s7, 0, v6
                                        ; implicit-def: $vgpr0
	scratch_store_b64 off, v[0:1], s33 offset:252 ; 8-byte Folded Spill
	v_dual_cndmask_b32 v5, 0, v5 :: v_dual_cndmask_b32 v4, 3, v4
	s_delay_alu instid0(VALU_DEP_1) | instskip(SKIP_3) | instid1(SALU_CYCLE_1)
	v_cmp_ne_u64_e32 vcc_lo, 0, v[4:5]
	s_or_b32 s7, s7, vcc_lo
	s_wait_xcnt 0x0
	s_and_saveexec_b32 s40, s7
	s_xor_b32 s7, exec_lo, s40
	s_cbranch_execz .LBB6_14959
; %bb.14958:                            ;   in Loop: Header=BB6_14012 Depth=2
	v_min_i32_e32 v0, 31, v6
	s_delay_alu instid0(VALU_DEP_1) | instskip(NEXT) | instid1(VALU_DEP_1)
	v_lshl_or_b32 v0, v0, 2, v3
                                        ; implicit-def: $vgpr3
	v_and_or_b32 v0, v4, 3, v0
	scratch_store_b64 off, v[0:1], s33 offset:252 ; 8-byte Folded Spill
.LBB6_14959:                            ;   in Loop: Header=BB6_14012 Depth=2
	s_wait_xcnt 0x0
	s_and_not1_saveexec_b32 s7, s7
	s_cbranch_execz .LBB6_14961
; %bb.14960:                            ;   in Loop: Header=BB6_14012 Depth=2
	v_mov_b32_e32 v0, v3
	scratch_store_b64 off, v[0:1], s33 offset:252 ; 8-byte Folded Spill
.LBB6_14961:                            ;   in Loop: Header=BB6_14012 Depth=2
	s_wait_xcnt 0x0
	s_or_b32 exec_lo, exec_lo, s7
.LBB6_14962:                            ;   in Loop: Header=BB6_14012 Depth=2
	s_delay_alu instid0(SALU_CYCLE_1)
	s_or_b32 exec_lo, exec_lo, s29
                                        ; implicit-def: $vgpr3
.LBB6_14963:                            ;   in Loop: Header=BB6_14012 Depth=2
	s_and_not1_saveexec_b32 s7, s11
	s_cbranch_execz .LBB6_14965
; %bb.14964:                            ;   in Loop: Header=BB6_14012 Depth=2
	v_or_b32_e32 v0, 0x7b, v3
	scratch_store_b64 off, v[0:1], s33 offset:252 ; 8-byte Folded Spill
.LBB6_14965:                            ;   in Loop: Header=BB6_14012 Depth=2
	s_wait_xcnt 0x0
	s_or_b32 exec_lo, exec_lo, s7
                                        ; implicit-def: $vgpr4
.LBB6_14966:                            ;   in Loop: Header=BB6_14012 Depth=2
	s_and_not1_saveexec_b32 s7, s10
	s_cbranch_execz .LBB6_14972
; %bb.14967:                            ;   in Loop: Header=BB6_14012 Depth=2
	v_cmp_ne_u64_e32 vcc_lo, 0, v[0:1]
                                        ; implicit-def: $vgpr0
	scratch_store_b64 off, v[0:1], s33 offset:252 ; 8-byte Folded Spill
	s_wait_xcnt 0x0
	s_and_saveexec_b32 s10, vcc_lo
	s_delay_alu instid0(SALU_CYCLE_1)
	s_xor_b32 s10, exec_lo, s10
	s_cbranch_execz .LBB6_14969
; %bb.14968:                            ;   in Loop: Header=BB6_14012 Depth=2
	v_lshrrev_b32_e32 v0, 24, v4
                                        ; implicit-def: $vgpr4
	s_delay_alu instid0(VALU_DEP_1)
	v_or_b32_e32 v0, 0x7f, v0
	scratch_store_b64 off, v[0:1], s33 offset:252 ; 8-byte Folded Spill
.LBB6_14969:                            ;   in Loop: Header=BB6_14012 Depth=2
	s_wait_xcnt 0x0
	s_and_not1_saveexec_b32 s10, s10
	s_cbranch_execz .LBB6_14971
; %bb.14970:                            ;   in Loop: Header=BB6_14012 Depth=2
	v_cmp_lt_i32_e32 vcc_lo, -1, v4
	v_cndmask_b32_e64 v0, -4, 0x7c, vcc_lo
	scratch_store_b64 off, v[0:1], s33 offset:252 ; 8-byte Folded Spill
.LBB6_14971:                            ;   in Loop: Header=BB6_14012 Depth=2
	s_wait_xcnt 0x0
	s_or_b32 exec_lo, exec_lo, s10
.LBB6_14972:                            ;   in Loop: Header=BB6_14012 Depth=2
	s_delay_alu instid0(SALU_CYCLE_1)
	s_or_b32 exec_lo, exec_lo, s7
	flat_load_i8 v4, v[10:11] offset:896 th:TH_LOAD_NT
	v_mov_b32_e32 v3, 0
	s_mov_b32 s7, exec_lo
	s_wait_loadcnt_dscnt 0x0
	v_cmpx_ne_u16_e32 0, v4
	s_cbranch_execz .LBB6_14982
; %bb.14973:                            ;   in Loop: Header=BB6_14012 Depth=2
	v_bfrev_b32_e32 v3, 1
	s_mov_b32 s10, exec_lo
	v_cmpx_ne_u16_e32 0xff80, v4
	s_cbranch_execz .LBB6_14981
; %bb.14974:                            ;   in Loop: Header=BB6_14012 Depth=2
	v_and_b32_e32 v3, 0x7c, v4
	v_and_b32_e32 v0, 3, v4
	s_delay_alu instid0(VALU_DEP_2) | instskip(SKIP_1) | instid1(SALU_CYCLE_1)
	v_cmp_ne_u32_e32 vcc_lo, 0x7c, v3
                                        ; implicit-def: $vgpr3
	s_and_saveexec_b32 s11, vcc_lo
	s_xor_b32 s11, exec_lo, s11
	s_cbranch_execz .LBB6_14978
; %bb.14975:                            ;   in Loop: Header=BB6_14012 Depth=2
	v_and_b32_e32 v3, 0xff, v4
	s_mov_b32 s29, exec_lo
	s_delay_alu instid0(VALU_DEP_1) | instskip(NEXT) | instid1(VALU_DEP_1)
	v_bfe_u32 v3, v3, 2, 5
	v_cmpx_eq_u32_e32 0, v3
; %bb.14976:                            ;   in Loop: Header=BB6_14012 Depth=2
	v_clz_i32_u32_e32 v0, v0
	s_delay_alu instid0(VALU_DEP_1) | instskip(SKIP_1) | instid1(VALU_DEP_2)
	v_min_u32_e32 v0, 32, v0
	v_mov_b32_e32 v5, v1
	v_subrev_nc_u32_e32 v3, 29, v0
	s_delay_alu instid0(VALU_DEP_1) | instskip(NEXT) | instid1(VALU_DEP_1)
	v_lshlrev_b64_e32 v[6:7], v3, v[4:5]
	v_dual_sub_nc_u32 v3, 30, v0 :: v_dual_bitop2_b32 v0, 3, v6 bitop3:0x40
; %bb.14977:                            ;   in Loop: Header=BB6_14012 Depth=2
	s_or_b32 exec_lo, exec_lo, s29
	v_bfe_i32 v4, v4, 0, 16
	s_delay_alu instid0(VALU_DEP_1) | instskip(NEXT) | instid1(VALU_DEP_1)
	v_and_b32_e32 v4, 0x80000000, v4
	v_lshl_add_u32 v3, v3, 23, v4
                                        ; implicit-def: $vgpr4
	s_delay_alu instid0(VALU_DEP_1) | instskip(NEXT) | instid1(VALU_DEP_1)
	v_lshl_or_b32 v0, v0, 21, v3
	v_add_nc_u32_e32 v3, 0x38000000, v0
                                        ; implicit-def: $vgpr0
.LBB6_14978:                            ;   in Loop: Header=BB6_14012 Depth=2
	s_and_not1_saveexec_b32 s11, s11
; %bb.14979:                            ;   in Loop: Header=BB6_14012 Depth=2
	v_cmp_lt_i16_e32 vcc_lo, -1, v4
	v_mov_b32_e32 v3, 0x7f800000
	s_delay_alu instid0(VALU_DEP_1) | instskip(SKIP_1) | instid1(VALU_DEP_2)
	v_cndmask_b32_e32 v3, 0xff800000, v3, vcc_lo
	v_cmp_eq_u32_e32 vcc_lo, 0, v0
	v_cndmask_b32_e32 v3, 0x7f800001, v3, vcc_lo
; %bb.14980:                            ;   in Loop: Header=BB6_14012 Depth=2
	s_or_b32 exec_lo, exec_lo, s11
.LBB6_14981:                            ;   in Loop: Header=BB6_14012 Depth=2
	s_delay_alu instid0(SALU_CYCLE_1)
	s_or_b32 exec_lo, exec_lo, s10
.LBB6_14982:                            ;   in Loop: Header=BB6_14012 Depth=2
	s_delay_alu instid0(SALU_CYCLE_1) | instskip(NEXT) | instid1(VALU_DEP_1)
	s_or_b32 exec_lo, exec_lo, s7
	v_dual_mul_f32 v4, s28, v3 :: v_dual_mov_b32 v7, v1
	s_delay_alu instid0(VALU_DEP_1) | instskip(SKIP_1) | instid1(VALU_DEP_2)
	v_and_b32_e32 v6, 0x7f800000, v4
	v_and_b32_e32 v0, 0x7fffff, v4
	v_cmp_ne_u64_e32 vcc_lo, 0x7f800000, v[6:7]
                                        ; implicit-def: $vgpr6
	scratch_store_b64 off, v[6:7], s33 offset:244 ; 8-byte Folded Spill
	s_wait_xcnt 0x0
	s_and_saveexec_b32 s7, vcc_lo
	s_delay_alu instid0(SALU_CYCLE_1)
	s_xor_b32 s10, exec_lo, s7
	s_cbranch_execz .LBB6_15000
; %bb.14983:                            ;   in Loop: Header=BB6_14012 Depth=2
	v_and_b32_e32 v6, 0x7fffffff, v4
	v_dual_mov_b32 v7, v1 :: v_dual_lshrrev_b32 v3, 24, v4
	s_delay_alu instid0(VALU_DEP_1) | instskip(NEXT) | instid1(VALU_DEP_2)
	v_cmp_gt_u64_e32 vcc_lo, 0x47600001, v[6:7]
	v_and_b32_e32 v3, 0x80, v3
                                        ; implicit-def: $vgpr6
	scratch_store_b64 off, v[6:7], s33 offset:244 ; 8-byte Folded Spill
	s_wait_xcnt 0x0
	s_and_saveexec_b32 s7, vcc_lo
	s_delay_alu instid0(SALU_CYCLE_1)
	s_xor_b32 s11, exec_lo, s7
	s_cbranch_execz .LBB6_14997
; %bb.14984:                            ;   in Loop: Header=BB6_14012 Depth=2
	v_mov_b32_e32 v6, 0
	s_mov_b32 s29, exec_lo
	scratch_store_b64 off, v[6:7], s33 offset:244 ; 8-byte Folded Spill
	s_wait_xcnt 0x0
	v_cmpx_ne_u32_e32 0, v4
	s_cbranch_execz .LBB6_14996
; %bb.14985:                            ;   in Loop: Header=BB6_14012 Depth=2
	v_bfe_u32 v8, v4, 23, 8
	v_or_b32_e32 v6, 0x800000, v0
	s_mov_b32 s40, exec_lo
	s_delay_alu instid0(VALU_DEP_2) | instskip(SKIP_1) | instid1(VALU_DEP_2)
	v_dual_mov_b32 v7, v1 :: v_dual_sub_nc_u32 v4, 0x71, v8
	v_cmp_gt_u32_e32 vcc_lo, 0x72, v8
	v_cndmask_b32_e32 v4, 0, v4, vcc_lo
	v_cmp_eq_u32_e32 vcc_lo, 0, v8
	s_delay_alu instid0(VALU_DEP_2) | instskip(NEXT) | instid1(VALU_DEP_1)
	v_cndmask_b32_e64 v9, v4, 0x70, vcc_lo
	v_dual_cndmask_b32 v6, v6, v0, vcc_lo :: v_dual_add_nc_u32 v4, 21, v9
	v_add_nc_u32_e32 v16, 20, v9
	s_delay_alu instid0(VALU_DEP_2) | instskip(NEXT) | instid1(VALU_DEP_2)
	v_lshlrev_b64_e64 v[4:5], v4, -1
	v_lshlrev_b64_e64 v[16:17], v16, 1
	s_delay_alu instid0(VALU_DEP_2) | instskip(NEXT) | instid1(VALU_DEP_3)
	v_bfi_b32 v19, v5, 0, 0
	v_bfi_b32 v18, v4, 0, v6
	v_lshrrev_b64 v[4:5], v9, v[6:7]
	s_delay_alu instid0(VALU_DEP_1) | instskip(NEXT) | instid1(VALU_DEP_3)
	v_mov_b64_e32 v[6:7], v[4:5]
	v_cmpx_eq_u64_e64 v[18:19], v[16:17]
; %bb.14986:                            ;   in Loop: Header=BB6_14012 Depth=2
	v_bfe_u32 v6, v4, 21, 1
	v_mov_b32_e32 v7, v1
	s_delay_alu instid0(VALU_DEP_1) | instskip(NEXT) | instid1(VALU_DEP_1)
	v_add_nc_u64_e32 v[6:7], v[4:5], v[6:7]
	v_add_nc_u64_e32 v[6:7], -1, v[6:7]
; %bb.14987:                            ;   in Loop: Header=BB6_14012 Depth=2
	s_or_b32 exec_lo, exec_lo, s40
	v_add_nc_u32_e32 v0, 0xffffff81, v8
	s_delay_alu instid0(VALU_DEP_2) | instskip(SKIP_2) | instid1(VALU_DEP_3)
	v_and_b32_e32 v6, 0x1fffff, v6
	v_lshrrev_b32_e32 v5, 23, v4
	s_mov_b32 s7, exec_lo
	v_cndmask_b32_e64 v0, v0, 0xffffff82, vcc_lo
	s_delay_alu instid0(VALU_DEP_1) | instskip(SKIP_1) | instid1(VALU_DEP_2)
	v_add3_u32 v7, v9, v0, v5
	v_add_nc_u32_e32 v0, v6, v4
                                        ; implicit-def: $vgpr4_vgpr5
                                        ; implicit-def: $vgpr6
	v_add_nc_u32_e32 v8, 14, v7
	s_delay_alu instid0(VALU_DEP_1)
	v_cmpx_ne_u32_e32 0, v8
	s_xor_b32 s7, exec_lo, s7
; %bb.14988:                            ;   in Loop: Header=BB6_14012 Depth=2
	s_delay_alu instid0(VALU_DEP_3) | instskip(SKIP_1) | instid1(VALU_DEP_1)
	v_cmp_lt_u64_e32 vcc_lo, 0xffffff, v[0:1]
	v_add_nc_u32_e32 v4, 15, v7
	v_cndmask_b32_e32 v6, v8, v4, vcc_lo
	v_cndmask_b32_e64 v4, 0, 1, vcc_lo
	s_delay_alu instid0(VALU_DEP_1)
	v_lshrrev_b64 v[4:5], v4, v[0:1]
; %bb.14989:                            ;   in Loop: Header=BB6_14012 Depth=2
	s_and_not1_saveexec_b32 s7, s7
; %bb.14990:                            ;   in Loop: Header=BB6_14012 Depth=2
	v_mov_b64_e32 v[4:5], v[0:1]
	v_bfe_u32 v6, v0, 23, 1
; %bb.14991:                            ;   in Loop: Header=BB6_14012 Depth=2
	s_or_b32 exec_lo, exec_lo, s7
	s_delay_alu instid0(VALU_DEP_2) | instskip(NEXT) | instid1(VALU_DEP_2)
	v_lshrrev_b64 v[4:5], 21, v[4:5]
	v_cmp_gt_i32_e32 vcc_lo, 32, v6
	v_cmp_ne_u32_e64 s7, 0, v6
                                        ; implicit-def: $vgpr0
	scratch_store_b64 off, v[0:1], s33 offset:244 ; 8-byte Folded Spill
	v_dual_cndmask_b32 v5, 0, v5 :: v_dual_cndmask_b32 v4, 3, v4
	s_delay_alu instid0(VALU_DEP_1) | instskip(SKIP_3) | instid1(SALU_CYCLE_1)
	v_cmp_ne_u64_e32 vcc_lo, 0, v[4:5]
	s_or_b32 s7, s7, vcc_lo
	s_wait_xcnt 0x0
	s_and_saveexec_b32 s40, s7
	s_xor_b32 s7, exec_lo, s40
	s_cbranch_execz .LBB6_14993
; %bb.14992:                            ;   in Loop: Header=BB6_14012 Depth=2
	v_min_i32_e32 v0, 31, v6
	s_delay_alu instid0(VALU_DEP_1) | instskip(NEXT) | instid1(VALU_DEP_1)
	v_lshl_or_b32 v0, v0, 2, v3
                                        ; implicit-def: $vgpr3
	v_and_or_b32 v0, v4, 3, v0
	scratch_store_b64 off, v[0:1], s33 offset:244 ; 8-byte Folded Spill
.LBB6_14993:                            ;   in Loop: Header=BB6_14012 Depth=2
	s_wait_xcnt 0x0
	s_and_not1_saveexec_b32 s7, s7
	s_cbranch_execz .LBB6_14995
; %bb.14994:                            ;   in Loop: Header=BB6_14012 Depth=2
	v_mov_b32_e32 v0, v3
	scratch_store_b64 off, v[0:1], s33 offset:244 ; 8-byte Folded Spill
.LBB6_14995:                            ;   in Loop: Header=BB6_14012 Depth=2
	s_wait_xcnt 0x0
	s_or_b32 exec_lo, exec_lo, s7
.LBB6_14996:                            ;   in Loop: Header=BB6_14012 Depth=2
	s_delay_alu instid0(SALU_CYCLE_1)
	s_or_b32 exec_lo, exec_lo, s29
                                        ; implicit-def: $vgpr3
.LBB6_14997:                            ;   in Loop: Header=BB6_14012 Depth=2
	s_and_not1_saveexec_b32 s7, s11
	s_cbranch_execz .LBB6_14999
; %bb.14998:                            ;   in Loop: Header=BB6_14012 Depth=2
	v_or_b32_e32 v0, 0x7b, v3
	scratch_store_b64 off, v[0:1], s33 offset:244 ; 8-byte Folded Spill
.LBB6_14999:                            ;   in Loop: Header=BB6_14012 Depth=2
	s_wait_xcnt 0x0
	s_or_b32 exec_lo, exec_lo, s7
                                        ; implicit-def: $vgpr4
.LBB6_15000:                            ;   in Loop: Header=BB6_14012 Depth=2
	s_and_not1_saveexec_b32 s7, s10
	s_cbranch_execz .LBB6_15006
; %bb.15001:                            ;   in Loop: Header=BB6_14012 Depth=2
	v_cmp_ne_u64_e32 vcc_lo, 0, v[0:1]
                                        ; implicit-def: $vgpr0
	scratch_store_b64 off, v[0:1], s33 offset:244 ; 8-byte Folded Spill
	s_wait_xcnt 0x0
	s_and_saveexec_b32 s10, vcc_lo
	s_delay_alu instid0(SALU_CYCLE_1)
	s_xor_b32 s10, exec_lo, s10
	s_cbranch_execz .LBB6_15003
; %bb.15002:                            ;   in Loop: Header=BB6_14012 Depth=2
	v_lshrrev_b32_e32 v0, 24, v4
                                        ; implicit-def: $vgpr4
	s_delay_alu instid0(VALU_DEP_1)
	v_or_b32_e32 v0, 0x7f, v0
	scratch_store_b64 off, v[0:1], s33 offset:244 ; 8-byte Folded Spill
.LBB6_15003:                            ;   in Loop: Header=BB6_14012 Depth=2
	s_wait_xcnt 0x0
	s_and_not1_saveexec_b32 s10, s10
	s_cbranch_execz .LBB6_15005
; %bb.15004:                            ;   in Loop: Header=BB6_14012 Depth=2
	v_cmp_lt_i32_e32 vcc_lo, -1, v4
	v_cndmask_b32_e64 v0, -4, 0x7c, vcc_lo
	scratch_store_b64 off, v[0:1], s33 offset:244 ; 8-byte Folded Spill
.LBB6_15005:                            ;   in Loop: Header=BB6_14012 Depth=2
	s_wait_xcnt 0x0
	s_or_b32 exec_lo, exec_lo, s10
.LBB6_15006:                            ;   in Loop: Header=BB6_14012 Depth=2
	s_delay_alu instid0(SALU_CYCLE_1)
	s_or_b32 exec_lo, exec_lo, s7
	flat_load_i8 v4, v[10:11] offset:928 th:TH_LOAD_NT
	v_mov_b32_e32 v3, 0
	s_mov_b32 s7, exec_lo
	s_wait_loadcnt_dscnt 0x0
	v_cmpx_ne_u16_e32 0, v4
	s_cbranch_execz .LBB6_15016
; %bb.15007:                            ;   in Loop: Header=BB6_14012 Depth=2
	v_bfrev_b32_e32 v3, 1
	s_mov_b32 s10, exec_lo
	v_cmpx_ne_u16_e32 0xff80, v4
	s_cbranch_execz .LBB6_15015
; %bb.15008:                            ;   in Loop: Header=BB6_14012 Depth=2
	v_and_b32_e32 v3, 0x7c, v4
	v_and_b32_e32 v0, 3, v4
	s_delay_alu instid0(VALU_DEP_2) | instskip(SKIP_1) | instid1(SALU_CYCLE_1)
	v_cmp_ne_u32_e32 vcc_lo, 0x7c, v3
                                        ; implicit-def: $vgpr3
	s_and_saveexec_b32 s11, vcc_lo
	s_xor_b32 s11, exec_lo, s11
	s_cbranch_execz .LBB6_15012
; %bb.15009:                            ;   in Loop: Header=BB6_14012 Depth=2
	v_and_b32_e32 v3, 0xff, v4
	s_mov_b32 s29, exec_lo
	s_delay_alu instid0(VALU_DEP_1) | instskip(NEXT) | instid1(VALU_DEP_1)
	v_bfe_u32 v3, v3, 2, 5
	v_cmpx_eq_u32_e32 0, v3
; %bb.15010:                            ;   in Loop: Header=BB6_14012 Depth=2
	v_clz_i32_u32_e32 v0, v0
	s_delay_alu instid0(VALU_DEP_1) | instskip(SKIP_1) | instid1(VALU_DEP_2)
	v_min_u32_e32 v0, 32, v0
	v_mov_b32_e32 v5, v1
	v_subrev_nc_u32_e32 v3, 29, v0
	s_delay_alu instid0(VALU_DEP_1) | instskip(NEXT) | instid1(VALU_DEP_1)
	v_lshlrev_b64_e32 v[6:7], v3, v[4:5]
	v_dual_sub_nc_u32 v3, 30, v0 :: v_dual_bitop2_b32 v0, 3, v6 bitop3:0x40
; %bb.15011:                            ;   in Loop: Header=BB6_14012 Depth=2
	s_or_b32 exec_lo, exec_lo, s29
	v_bfe_i32 v4, v4, 0, 16
	s_delay_alu instid0(VALU_DEP_1) | instskip(NEXT) | instid1(VALU_DEP_1)
	v_and_b32_e32 v4, 0x80000000, v4
	v_lshl_add_u32 v3, v3, 23, v4
                                        ; implicit-def: $vgpr4
	s_delay_alu instid0(VALU_DEP_1) | instskip(NEXT) | instid1(VALU_DEP_1)
	v_lshl_or_b32 v0, v0, 21, v3
	v_add_nc_u32_e32 v3, 0x38000000, v0
                                        ; implicit-def: $vgpr0
.LBB6_15012:                            ;   in Loop: Header=BB6_14012 Depth=2
	s_and_not1_saveexec_b32 s11, s11
; %bb.15013:                            ;   in Loop: Header=BB6_14012 Depth=2
	v_cmp_lt_i16_e32 vcc_lo, -1, v4
	v_mov_b32_e32 v3, 0x7f800000
	s_delay_alu instid0(VALU_DEP_1) | instskip(SKIP_1) | instid1(VALU_DEP_2)
	v_cndmask_b32_e32 v3, 0xff800000, v3, vcc_lo
	v_cmp_eq_u32_e32 vcc_lo, 0, v0
	v_cndmask_b32_e32 v3, 0x7f800001, v3, vcc_lo
; %bb.15014:                            ;   in Loop: Header=BB6_14012 Depth=2
	s_or_b32 exec_lo, exec_lo, s11
.LBB6_15015:                            ;   in Loop: Header=BB6_14012 Depth=2
	s_delay_alu instid0(SALU_CYCLE_1)
	s_or_b32 exec_lo, exec_lo, s10
.LBB6_15016:                            ;   in Loop: Header=BB6_14012 Depth=2
	s_delay_alu instid0(SALU_CYCLE_1) | instskip(NEXT) | instid1(VALU_DEP_1)
	s_or_b32 exec_lo, exec_lo, s7
	v_dual_mul_f32 v4, s28, v3 :: v_dual_mov_b32 v7, v1
	s_delay_alu instid0(VALU_DEP_1) | instskip(SKIP_1) | instid1(VALU_DEP_2)
	v_and_b32_e32 v6, 0x7f800000, v4
	v_and_b32_e32 v0, 0x7fffff, v4
	v_cmp_ne_u64_e32 vcc_lo, 0x7f800000, v[6:7]
                                        ; implicit-def: $vgpr6
	scratch_store_b64 off, v[6:7], s33 offset:236 ; 8-byte Folded Spill
	s_wait_xcnt 0x0
	s_and_saveexec_b32 s7, vcc_lo
	s_delay_alu instid0(SALU_CYCLE_1)
	s_xor_b32 s10, exec_lo, s7
	s_cbranch_execz .LBB6_15034
; %bb.15017:                            ;   in Loop: Header=BB6_14012 Depth=2
	v_and_b32_e32 v6, 0x7fffffff, v4
	v_dual_mov_b32 v7, v1 :: v_dual_lshrrev_b32 v3, 24, v4
	s_delay_alu instid0(VALU_DEP_1) | instskip(NEXT) | instid1(VALU_DEP_2)
	v_cmp_gt_u64_e32 vcc_lo, 0x47600001, v[6:7]
	v_and_b32_e32 v3, 0x80, v3
                                        ; implicit-def: $vgpr6
	scratch_store_b64 off, v[6:7], s33 offset:236 ; 8-byte Folded Spill
	s_wait_xcnt 0x0
	s_and_saveexec_b32 s7, vcc_lo
	s_delay_alu instid0(SALU_CYCLE_1)
	s_xor_b32 s11, exec_lo, s7
	s_cbranch_execz .LBB6_15031
; %bb.15018:                            ;   in Loop: Header=BB6_14012 Depth=2
	v_mov_b32_e32 v6, 0
	s_mov_b32 s29, exec_lo
	scratch_store_b64 off, v[6:7], s33 offset:236 ; 8-byte Folded Spill
	s_wait_xcnt 0x0
	v_cmpx_ne_u32_e32 0, v4
	s_cbranch_execz .LBB6_15030
; %bb.15019:                            ;   in Loop: Header=BB6_14012 Depth=2
	v_bfe_u32 v8, v4, 23, 8
	v_or_b32_e32 v6, 0x800000, v0
	s_mov_b32 s40, exec_lo
	s_delay_alu instid0(VALU_DEP_2) | instskip(SKIP_1) | instid1(VALU_DEP_2)
	v_dual_mov_b32 v7, v1 :: v_dual_sub_nc_u32 v4, 0x71, v8
	v_cmp_gt_u32_e32 vcc_lo, 0x72, v8
	v_cndmask_b32_e32 v4, 0, v4, vcc_lo
	v_cmp_eq_u32_e32 vcc_lo, 0, v8
	s_delay_alu instid0(VALU_DEP_2) | instskip(NEXT) | instid1(VALU_DEP_1)
	v_cndmask_b32_e64 v9, v4, 0x70, vcc_lo
	v_dual_cndmask_b32 v6, v6, v0, vcc_lo :: v_dual_add_nc_u32 v4, 21, v9
	v_add_nc_u32_e32 v16, 20, v9
	s_delay_alu instid0(VALU_DEP_2) | instskip(NEXT) | instid1(VALU_DEP_2)
	v_lshlrev_b64_e64 v[4:5], v4, -1
	v_lshlrev_b64_e64 v[16:17], v16, 1
	s_delay_alu instid0(VALU_DEP_2) | instskip(NEXT) | instid1(VALU_DEP_3)
	v_bfi_b32 v19, v5, 0, 0
	v_bfi_b32 v18, v4, 0, v6
	v_lshrrev_b64 v[4:5], v9, v[6:7]
	s_delay_alu instid0(VALU_DEP_1) | instskip(NEXT) | instid1(VALU_DEP_3)
	v_mov_b64_e32 v[6:7], v[4:5]
	v_cmpx_eq_u64_e64 v[18:19], v[16:17]
; %bb.15020:                            ;   in Loop: Header=BB6_14012 Depth=2
	v_bfe_u32 v6, v4, 21, 1
	v_mov_b32_e32 v7, v1
	s_delay_alu instid0(VALU_DEP_1) | instskip(NEXT) | instid1(VALU_DEP_1)
	v_add_nc_u64_e32 v[6:7], v[4:5], v[6:7]
	v_add_nc_u64_e32 v[6:7], -1, v[6:7]
; %bb.15021:                            ;   in Loop: Header=BB6_14012 Depth=2
	s_or_b32 exec_lo, exec_lo, s40
	v_add_nc_u32_e32 v0, 0xffffff81, v8
	s_delay_alu instid0(VALU_DEP_2) | instskip(SKIP_2) | instid1(VALU_DEP_3)
	v_and_b32_e32 v6, 0x1fffff, v6
	v_lshrrev_b32_e32 v5, 23, v4
	s_mov_b32 s7, exec_lo
	v_cndmask_b32_e64 v0, v0, 0xffffff82, vcc_lo
	s_delay_alu instid0(VALU_DEP_1) | instskip(SKIP_1) | instid1(VALU_DEP_2)
	v_add3_u32 v7, v9, v0, v5
	v_add_nc_u32_e32 v0, v6, v4
                                        ; implicit-def: $vgpr4_vgpr5
                                        ; implicit-def: $vgpr6
	v_add_nc_u32_e32 v8, 14, v7
	s_delay_alu instid0(VALU_DEP_1)
	v_cmpx_ne_u32_e32 0, v8
	s_xor_b32 s7, exec_lo, s7
; %bb.15022:                            ;   in Loop: Header=BB6_14012 Depth=2
	s_delay_alu instid0(VALU_DEP_3) | instskip(SKIP_1) | instid1(VALU_DEP_1)
	v_cmp_lt_u64_e32 vcc_lo, 0xffffff, v[0:1]
	v_add_nc_u32_e32 v4, 15, v7
	v_cndmask_b32_e32 v6, v8, v4, vcc_lo
	v_cndmask_b32_e64 v4, 0, 1, vcc_lo
	s_delay_alu instid0(VALU_DEP_1)
	v_lshrrev_b64 v[4:5], v4, v[0:1]
; %bb.15023:                            ;   in Loop: Header=BB6_14012 Depth=2
	s_and_not1_saveexec_b32 s7, s7
; %bb.15024:                            ;   in Loop: Header=BB6_14012 Depth=2
	v_mov_b64_e32 v[4:5], v[0:1]
	v_bfe_u32 v6, v0, 23, 1
; %bb.15025:                            ;   in Loop: Header=BB6_14012 Depth=2
	s_or_b32 exec_lo, exec_lo, s7
	s_delay_alu instid0(VALU_DEP_2) | instskip(NEXT) | instid1(VALU_DEP_2)
	v_lshrrev_b64 v[4:5], 21, v[4:5]
	v_cmp_gt_i32_e32 vcc_lo, 32, v6
	v_cmp_ne_u32_e64 s7, 0, v6
                                        ; implicit-def: $vgpr0
	scratch_store_b64 off, v[0:1], s33 offset:236 ; 8-byte Folded Spill
	v_dual_cndmask_b32 v5, 0, v5 :: v_dual_cndmask_b32 v4, 3, v4
	s_delay_alu instid0(VALU_DEP_1) | instskip(SKIP_3) | instid1(SALU_CYCLE_1)
	v_cmp_ne_u64_e32 vcc_lo, 0, v[4:5]
	s_or_b32 s7, s7, vcc_lo
	s_wait_xcnt 0x0
	s_and_saveexec_b32 s40, s7
	s_xor_b32 s7, exec_lo, s40
	s_cbranch_execz .LBB6_15027
; %bb.15026:                            ;   in Loop: Header=BB6_14012 Depth=2
	v_min_i32_e32 v0, 31, v6
	s_delay_alu instid0(VALU_DEP_1) | instskip(NEXT) | instid1(VALU_DEP_1)
	v_lshl_or_b32 v0, v0, 2, v3
                                        ; implicit-def: $vgpr3
	v_and_or_b32 v0, v4, 3, v0
	scratch_store_b64 off, v[0:1], s33 offset:236 ; 8-byte Folded Spill
.LBB6_15027:                            ;   in Loop: Header=BB6_14012 Depth=2
	s_wait_xcnt 0x0
	s_and_not1_saveexec_b32 s7, s7
	s_cbranch_execz .LBB6_15029
; %bb.15028:                            ;   in Loop: Header=BB6_14012 Depth=2
	v_mov_b32_e32 v0, v3
	scratch_store_b64 off, v[0:1], s33 offset:236 ; 8-byte Folded Spill
.LBB6_15029:                            ;   in Loop: Header=BB6_14012 Depth=2
	s_wait_xcnt 0x0
	s_or_b32 exec_lo, exec_lo, s7
.LBB6_15030:                            ;   in Loop: Header=BB6_14012 Depth=2
	s_delay_alu instid0(SALU_CYCLE_1)
	s_or_b32 exec_lo, exec_lo, s29
                                        ; implicit-def: $vgpr3
.LBB6_15031:                            ;   in Loop: Header=BB6_14012 Depth=2
	s_and_not1_saveexec_b32 s7, s11
	s_cbranch_execz .LBB6_15033
; %bb.15032:                            ;   in Loop: Header=BB6_14012 Depth=2
	v_or_b32_e32 v0, 0x7b, v3
	scratch_store_b64 off, v[0:1], s33 offset:236 ; 8-byte Folded Spill
.LBB6_15033:                            ;   in Loop: Header=BB6_14012 Depth=2
	s_wait_xcnt 0x0
	s_or_b32 exec_lo, exec_lo, s7
                                        ; implicit-def: $vgpr4
.LBB6_15034:                            ;   in Loop: Header=BB6_14012 Depth=2
	s_and_not1_saveexec_b32 s7, s10
	s_cbranch_execz .LBB6_15040
; %bb.15035:                            ;   in Loop: Header=BB6_14012 Depth=2
	v_cmp_ne_u64_e32 vcc_lo, 0, v[0:1]
                                        ; implicit-def: $vgpr0
	scratch_store_b64 off, v[0:1], s33 offset:236 ; 8-byte Folded Spill
	s_wait_xcnt 0x0
	s_and_saveexec_b32 s10, vcc_lo
	s_delay_alu instid0(SALU_CYCLE_1)
	s_xor_b32 s10, exec_lo, s10
	s_cbranch_execz .LBB6_15037
; %bb.15036:                            ;   in Loop: Header=BB6_14012 Depth=2
	v_lshrrev_b32_e32 v0, 24, v4
                                        ; implicit-def: $vgpr4
	s_delay_alu instid0(VALU_DEP_1)
	v_or_b32_e32 v0, 0x7f, v0
	scratch_store_b64 off, v[0:1], s33 offset:236 ; 8-byte Folded Spill
.LBB6_15037:                            ;   in Loop: Header=BB6_14012 Depth=2
	s_wait_xcnt 0x0
	s_and_not1_saveexec_b32 s10, s10
	s_cbranch_execz .LBB6_15039
; %bb.15038:                            ;   in Loop: Header=BB6_14012 Depth=2
	v_cmp_lt_i32_e32 vcc_lo, -1, v4
	v_cndmask_b32_e64 v0, -4, 0x7c, vcc_lo
	scratch_store_b64 off, v[0:1], s33 offset:236 ; 8-byte Folded Spill
.LBB6_15039:                            ;   in Loop: Header=BB6_14012 Depth=2
	s_wait_xcnt 0x0
	s_or_b32 exec_lo, exec_lo, s10
.LBB6_15040:                            ;   in Loop: Header=BB6_14012 Depth=2
	s_delay_alu instid0(SALU_CYCLE_1)
	s_or_b32 exec_lo, exec_lo, s7
	flat_load_i8 v4, v[10:11] offset:960 th:TH_LOAD_NT
	v_mov_b32_e32 v3, 0
	s_mov_b32 s7, exec_lo
	s_wait_loadcnt_dscnt 0x0
	v_cmpx_ne_u16_e32 0, v4
	s_cbranch_execz .LBB6_15050
; %bb.15041:                            ;   in Loop: Header=BB6_14012 Depth=2
	v_bfrev_b32_e32 v3, 1
	s_mov_b32 s10, exec_lo
	v_cmpx_ne_u16_e32 0xff80, v4
	s_cbranch_execz .LBB6_15049
; %bb.15042:                            ;   in Loop: Header=BB6_14012 Depth=2
	v_and_b32_e32 v3, 0x7c, v4
	v_and_b32_e32 v0, 3, v4
	s_delay_alu instid0(VALU_DEP_2) | instskip(SKIP_1) | instid1(SALU_CYCLE_1)
	v_cmp_ne_u32_e32 vcc_lo, 0x7c, v3
                                        ; implicit-def: $vgpr3
	s_and_saveexec_b32 s11, vcc_lo
	s_xor_b32 s11, exec_lo, s11
	s_cbranch_execz .LBB6_15046
; %bb.15043:                            ;   in Loop: Header=BB6_14012 Depth=2
	v_and_b32_e32 v3, 0xff, v4
	s_mov_b32 s29, exec_lo
	s_delay_alu instid0(VALU_DEP_1) | instskip(NEXT) | instid1(VALU_DEP_1)
	v_bfe_u32 v3, v3, 2, 5
	v_cmpx_eq_u32_e32 0, v3
; %bb.15044:                            ;   in Loop: Header=BB6_14012 Depth=2
	v_clz_i32_u32_e32 v0, v0
	s_delay_alu instid0(VALU_DEP_1) | instskip(SKIP_1) | instid1(VALU_DEP_2)
	v_min_u32_e32 v0, 32, v0
	v_mov_b32_e32 v5, v1
	v_subrev_nc_u32_e32 v3, 29, v0
	s_delay_alu instid0(VALU_DEP_1) | instskip(NEXT) | instid1(VALU_DEP_1)
	v_lshlrev_b64_e32 v[6:7], v3, v[4:5]
	v_dual_sub_nc_u32 v3, 30, v0 :: v_dual_bitop2_b32 v0, 3, v6 bitop3:0x40
; %bb.15045:                            ;   in Loop: Header=BB6_14012 Depth=2
	s_or_b32 exec_lo, exec_lo, s29
	v_bfe_i32 v4, v4, 0, 16
	s_delay_alu instid0(VALU_DEP_1) | instskip(NEXT) | instid1(VALU_DEP_1)
	v_and_b32_e32 v4, 0x80000000, v4
	v_lshl_add_u32 v3, v3, 23, v4
                                        ; implicit-def: $vgpr4
	s_delay_alu instid0(VALU_DEP_1) | instskip(NEXT) | instid1(VALU_DEP_1)
	v_lshl_or_b32 v0, v0, 21, v3
	v_add_nc_u32_e32 v3, 0x38000000, v0
                                        ; implicit-def: $vgpr0
.LBB6_15046:                            ;   in Loop: Header=BB6_14012 Depth=2
	s_and_not1_saveexec_b32 s11, s11
; %bb.15047:                            ;   in Loop: Header=BB6_14012 Depth=2
	v_cmp_lt_i16_e32 vcc_lo, -1, v4
	v_mov_b32_e32 v3, 0x7f800000
	s_delay_alu instid0(VALU_DEP_1) | instskip(SKIP_1) | instid1(VALU_DEP_2)
	v_cndmask_b32_e32 v3, 0xff800000, v3, vcc_lo
	v_cmp_eq_u32_e32 vcc_lo, 0, v0
	v_cndmask_b32_e32 v3, 0x7f800001, v3, vcc_lo
; %bb.15048:                            ;   in Loop: Header=BB6_14012 Depth=2
	s_or_b32 exec_lo, exec_lo, s11
.LBB6_15049:                            ;   in Loop: Header=BB6_14012 Depth=2
	s_delay_alu instid0(SALU_CYCLE_1)
	s_or_b32 exec_lo, exec_lo, s10
.LBB6_15050:                            ;   in Loop: Header=BB6_14012 Depth=2
	s_delay_alu instid0(SALU_CYCLE_1) | instskip(NEXT) | instid1(VALU_DEP_1)
	s_or_b32 exec_lo, exec_lo, s7
	v_dual_mul_f32 v4, s28, v3 :: v_dual_mov_b32 v7, v1
	s_delay_alu instid0(VALU_DEP_1) | instskip(SKIP_1) | instid1(VALU_DEP_2)
	v_and_b32_e32 v6, 0x7f800000, v4
	v_and_b32_e32 v0, 0x7fffff, v4
	v_cmp_ne_u64_e32 vcc_lo, 0x7f800000, v[6:7]
                                        ; implicit-def: $vgpr6
	scratch_store_b64 off, v[6:7], s33 offset:228 ; 8-byte Folded Spill
	s_wait_xcnt 0x0
	s_and_saveexec_b32 s7, vcc_lo
	s_delay_alu instid0(SALU_CYCLE_1)
	s_xor_b32 s10, exec_lo, s7
	s_cbranch_execz .LBB6_15068
; %bb.15051:                            ;   in Loop: Header=BB6_14012 Depth=2
	v_and_b32_e32 v6, 0x7fffffff, v4
	v_dual_mov_b32 v7, v1 :: v_dual_lshrrev_b32 v3, 24, v4
	s_delay_alu instid0(VALU_DEP_1) | instskip(NEXT) | instid1(VALU_DEP_2)
	v_cmp_gt_u64_e32 vcc_lo, 0x47600001, v[6:7]
	v_and_b32_e32 v3, 0x80, v3
                                        ; implicit-def: $vgpr6
	scratch_store_b64 off, v[6:7], s33 offset:228 ; 8-byte Folded Spill
	s_wait_xcnt 0x0
	s_and_saveexec_b32 s7, vcc_lo
	s_delay_alu instid0(SALU_CYCLE_1)
	s_xor_b32 s11, exec_lo, s7
	s_cbranch_execz .LBB6_15065
; %bb.15052:                            ;   in Loop: Header=BB6_14012 Depth=2
	v_mov_b32_e32 v6, 0
	s_mov_b32 s29, exec_lo
	scratch_store_b64 off, v[6:7], s33 offset:228 ; 8-byte Folded Spill
	s_wait_xcnt 0x0
	v_cmpx_ne_u32_e32 0, v4
	s_cbranch_execz .LBB6_15064
; %bb.15053:                            ;   in Loop: Header=BB6_14012 Depth=2
	v_bfe_u32 v8, v4, 23, 8
	v_or_b32_e32 v6, 0x800000, v0
	s_mov_b32 s40, exec_lo
	s_delay_alu instid0(VALU_DEP_2) | instskip(SKIP_1) | instid1(VALU_DEP_2)
	v_dual_mov_b32 v7, v1 :: v_dual_sub_nc_u32 v4, 0x71, v8
	v_cmp_gt_u32_e32 vcc_lo, 0x72, v8
	v_cndmask_b32_e32 v4, 0, v4, vcc_lo
	v_cmp_eq_u32_e32 vcc_lo, 0, v8
	s_delay_alu instid0(VALU_DEP_2) | instskip(NEXT) | instid1(VALU_DEP_1)
	v_cndmask_b32_e64 v9, v4, 0x70, vcc_lo
	v_dual_cndmask_b32 v6, v6, v0, vcc_lo :: v_dual_add_nc_u32 v4, 21, v9
	v_add_nc_u32_e32 v16, 20, v9
	s_delay_alu instid0(VALU_DEP_2) | instskip(NEXT) | instid1(VALU_DEP_2)
	v_lshlrev_b64_e64 v[4:5], v4, -1
	v_lshlrev_b64_e64 v[16:17], v16, 1
	s_delay_alu instid0(VALU_DEP_2) | instskip(NEXT) | instid1(VALU_DEP_3)
	v_bfi_b32 v19, v5, 0, 0
	v_bfi_b32 v18, v4, 0, v6
	v_lshrrev_b64 v[4:5], v9, v[6:7]
	s_delay_alu instid0(VALU_DEP_1) | instskip(NEXT) | instid1(VALU_DEP_3)
	v_mov_b64_e32 v[6:7], v[4:5]
	v_cmpx_eq_u64_e64 v[18:19], v[16:17]
; %bb.15054:                            ;   in Loop: Header=BB6_14012 Depth=2
	v_bfe_u32 v6, v4, 21, 1
	v_mov_b32_e32 v7, v1
	s_delay_alu instid0(VALU_DEP_1) | instskip(NEXT) | instid1(VALU_DEP_1)
	v_add_nc_u64_e32 v[6:7], v[4:5], v[6:7]
	v_add_nc_u64_e32 v[6:7], -1, v[6:7]
; %bb.15055:                            ;   in Loop: Header=BB6_14012 Depth=2
	s_or_b32 exec_lo, exec_lo, s40
	v_add_nc_u32_e32 v0, 0xffffff81, v8
	s_delay_alu instid0(VALU_DEP_2) | instskip(SKIP_2) | instid1(VALU_DEP_3)
	v_and_b32_e32 v6, 0x1fffff, v6
	v_lshrrev_b32_e32 v5, 23, v4
	s_mov_b32 s7, exec_lo
	v_cndmask_b32_e64 v0, v0, 0xffffff82, vcc_lo
	s_delay_alu instid0(VALU_DEP_1) | instskip(SKIP_1) | instid1(VALU_DEP_2)
	v_add3_u32 v7, v9, v0, v5
	v_add_nc_u32_e32 v0, v6, v4
                                        ; implicit-def: $vgpr4_vgpr5
                                        ; implicit-def: $vgpr6
	v_add_nc_u32_e32 v8, 14, v7
	s_delay_alu instid0(VALU_DEP_1)
	v_cmpx_ne_u32_e32 0, v8
	s_xor_b32 s7, exec_lo, s7
; %bb.15056:                            ;   in Loop: Header=BB6_14012 Depth=2
	s_delay_alu instid0(VALU_DEP_3) | instskip(SKIP_1) | instid1(VALU_DEP_1)
	v_cmp_lt_u64_e32 vcc_lo, 0xffffff, v[0:1]
	v_add_nc_u32_e32 v4, 15, v7
	v_cndmask_b32_e32 v6, v8, v4, vcc_lo
	v_cndmask_b32_e64 v4, 0, 1, vcc_lo
	s_delay_alu instid0(VALU_DEP_1)
	v_lshrrev_b64 v[4:5], v4, v[0:1]
; %bb.15057:                            ;   in Loop: Header=BB6_14012 Depth=2
	s_and_not1_saveexec_b32 s7, s7
; %bb.15058:                            ;   in Loop: Header=BB6_14012 Depth=2
	v_mov_b64_e32 v[4:5], v[0:1]
	v_bfe_u32 v6, v0, 23, 1
; %bb.15059:                            ;   in Loop: Header=BB6_14012 Depth=2
	s_or_b32 exec_lo, exec_lo, s7
	s_delay_alu instid0(VALU_DEP_2) | instskip(NEXT) | instid1(VALU_DEP_2)
	v_lshrrev_b64 v[4:5], 21, v[4:5]
	v_cmp_gt_i32_e32 vcc_lo, 32, v6
	v_cmp_ne_u32_e64 s7, 0, v6
                                        ; implicit-def: $vgpr0
	scratch_store_b64 off, v[0:1], s33 offset:228 ; 8-byte Folded Spill
	v_dual_cndmask_b32 v5, 0, v5 :: v_dual_cndmask_b32 v4, 3, v4
	s_delay_alu instid0(VALU_DEP_1) | instskip(SKIP_3) | instid1(SALU_CYCLE_1)
	v_cmp_ne_u64_e32 vcc_lo, 0, v[4:5]
	s_or_b32 s7, s7, vcc_lo
	s_wait_xcnt 0x0
	s_and_saveexec_b32 s40, s7
	s_xor_b32 s7, exec_lo, s40
	s_cbranch_execz .LBB6_15061
; %bb.15060:                            ;   in Loop: Header=BB6_14012 Depth=2
	v_min_i32_e32 v0, 31, v6
	s_delay_alu instid0(VALU_DEP_1) | instskip(NEXT) | instid1(VALU_DEP_1)
	v_lshl_or_b32 v0, v0, 2, v3
                                        ; implicit-def: $vgpr3
	v_and_or_b32 v0, v4, 3, v0
	scratch_store_b64 off, v[0:1], s33 offset:228 ; 8-byte Folded Spill
.LBB6_15061:                            ;   in Loop: Header=BB6_14012 Depth=2
	s_wait_xcnt 0x0
	s_and_not1_saveexec_b32 s7, s7
	s_cbranch_execz .LBB6_15063
; %bb.15062:                            ;   in Loop: Header=BB6_14012 Depth=2
	v_mov_b32_e32 v0, v3
	scratch_store_b64 off, v[0:1], s33 offset:228 ; 8-byte Folded Spill
.LBB6_15063:                            ;   in Loop: Header=BB6_14012 Depth=2
	s_wait_xcnt 0x0
	s_or_b32 exec_lo, exec_lo, s7
.LBB6_15064:                            ;   in Loop: Header=BB6_14012 Depth=2
	s_delay_alu instid0(SALU_CYCLE_1)
	s_or_b32 exec_lo, exec_lo, s29
                                        ; implicit-def: $vgpr3
.LBB6_15065:                            ;   in Loop: Header=BB6_14012 Depth=2
	s_and_not1_saveexec_b32 s7, s11
	s_cbranch_execz .LBB6_15067
; %bb.15066:                            ;   in Loop: Header=BB6_14012 Depth=2
	v_or_b32_e32 v0, 0x7b, v3
	scratch_store_b64 off, v[0:1], s33 offset:228 ; 8-byte Folded Spill
.LBB6_15067:                            ;   in Loop: Header=BB6_14012 Depth=2
	s_wait_xcnt 0x0
	s_or_b32 exec_lo, exec_lo, s7
                                        ; implicit-def: $vgpr4
.LBB6_15068:                            ;   in Loop: Header=BB6_14012 Depth=2
	s_and_not1_saveexec_b32 s7, s10
	s_cbranch_execz .LBB6_15074
; %bb.15069:                            ;   in Loop: Header=BB6_14012 Depth=2
	v_cmp_ne_u64_e32 vcc_lo, 0, v[0:1]
                                        ; implicit-def: $vgpr0
	scratch_store_b64 off, v[0:1], s33 offset:228 ; 8-byte Folded Spill
	s_wait_xcnt 0x0
	s_and_saveexec_b32 s10, vcc_lo
	s_delay_alu instid0(SALU_CYCLE_1)
	s_xor_b32 s10, exec_lo, s10
	s_cbranch_execz .LBB6_15071
; %bb.15070:                            ;   in Loop: Header=BB6_14012 Depth=2
	v_lshrrev_b32_e32 v0, 24, v4
                                        ; implicit-def: $vgpr4
	s_delay_alu instid0(VALU_DEP_1)
	v_or_b32_e32 v0, 0x7f, v0
	scratch_store_b64 off, v[0:1], s33 offset:228 ; 8-byte Folded Spill
.LBB6_15071:                            ;   in Loop: Header=BB6_14012 Depth=2
	s_wait_xcnt 0x0
	s_and_not1_saveexec_b32 s10, s10
	s_cbranch_execz .LBB6_15073
; %bb.15072:                            ;   in Loop: Header=BB6_14012 Depth=2
	v_cmp_lt_i32_e32 vcc_lo, -1, v4
	v_cndmask_b32_e64 v0, -4, 0x7c, vcc_lo
	scratch_store_b64 off, v[0:1], s33 offset:228 ; 8-byte Folded Spill
.LBB6_15073:                            ;   in Loop: Header=BB6_14012 Depth=2
	s_wait_xcnt 0x0
	s_or_b32 exec_lo, exec_lo, s10
.LBB6_15074:                            ;   in Loop: Header=BB6_14012 Depth=2
	s_delay_alu instid0(SALU_CYCLE_1)
	s_or_b32 exec_lo, exec_lo, s7
	flat_load_i8 v4, v[10:11] offset:992 th:TH_LOAD_NT
	v_mov_b32_e32 v3, 0
	s_mov_b32 s7, exec_lo
	s_wait_loadcnt_dscnt 0x0
	v_cmpx_ne_u16_e32 0, v4
	s_cbranch_execz .LBB6_15084
; %bb.15075:                            ;   in Loop: Header=BB6_14012 Depth=2
	v_bfrev_b32_e32 v3, 1
	s_mov_b32 s10, exec_lo
	v_cmpx_ne_u16_e32 0xff80, v4
	s_cbranch_execz .LBB6_15083
; %bb.15076:                            ;   in Loop: Header=BB6_14012 Depth=2
	v_and_b32_e32 v3, 0x7c, v4
	v_and_b32_e32 v0, 3, v4
	s_delay_alu instid0(VALU_DEP_2) | instskip(SKIP_1) | instid1(SALU_CYCLE_1)
	v_cmp_ne_u32_e32 vcc_lo, 0x7c, v3
                                        ; implicit-def: $vgpr3
	s_and_saveexec_b32 s11, vcc_lo
	s_xor_b32 s11, exec_lo, s11
	s_cbranch_execz .LBB6_15080
; %bb.15077:                            ;   in Loop: Header=BB6_14012 Depth=2
	v_and_b32_e32 v3, 0xff, v4
	s_mov_b32 s29, exec_lo
	s_delay_alu instid0(VALU_DEP_1) | instskip(NEXT) | instid1(VALU_DEP_1)
	v_bfe_u32 v3, v3, 2, 5
	v_cmpx_eq_u32_e32 0, v3
; %bb.15078:                            ;   in Loop: Header=BB6_14012 Depth=2
	v_clz_i32_u32_e32 v0, v0
	s_delay_alu instid0(VALU_DEP_1) | instskip(SKIP_1) | instid1(VALU_DEP_2)
	v_min_u32_e32 v0, 32, v0
	v_mov_b32_e32 v5, v1
	v_subrev_nc_u32_e32 v3, 29, v0
	s_delay_alu instid0(VALU_DEP_1) | instskip(NEXT) | instid1(VALU_DEP_1)
	v_lshlrev_b64_e32 v[6:7], v3, v[4:5]
	v_dual_sub_nc_u32 v3, 30, v0 :: v_dual_bitop2_b32 v0, 3, v6 bitop3:0x40
; %bb.15079:                            ;   in Loop: Header=BB6_14012 Depth=2
	s_or_b32 exec_lo, exec_lo, s29
	v_bfe_i32 v4, v4, 0, 16
	s_delay_alu instid0(VALU_DEP_1) | instskip(NEXT) | instid1(VALU_DEP_1)
	v_and_b32_e32 v4, 0x80000000, v4
	v_lshl_add_u32 v3, v3, 23, v4
                                        ; implicit-def: $vgpr4
	s_delay_alu instid0(VALU_DEP_1) | instskip(NEXT) | instid1(VALU_DEP_1)
	v_lshl_or_b32 v0, v0, 21, v3
	v_add_nc_u32_e32 v3, 0x38000000, v0
                                        ; implicit-def: $vgpr0
.LBB6_15080:                            ;   in Loop: Header=BB6_14012 Depth=2
	s_and_not1_saveexec_b32 s11, s11
; %bb.15081:                            ;   in Loop: Header=BB6_14012 Depth=2
	v_cmp_lt_i16_e32 vcc_lo, -1, v4
	v_mov_b32_e32 v3, 0x7f800000
	s_delay_alu instid0(VALU_DEP_1) | instskip(SKIP_1) | instid1(VALU_DEP_2)
	v_cndmask_b32_e32 v3, 0xff800000, v3, vcc_lo
	v_cmp_eq_u32_e32 vcc_lo, 0, v0
	v_cndmask_b32_e32 v3, 0x7f800001, v3, vcc_lo
; %bb.15082:                            ;   in Loop: Header=BB6_14012 Depth=2
	s_or_b32 exec_lo, exec_lo, s11
.LBB6_15083:                            ;   in Loop: Header=BB6_14012 Depth=2
	s_delay_alu instid0(SALU_CYCLE_1)
	s_or_b32 exec_lo, exec_lo, s10
.LBB6_15084:                            ;   in Loop: Header=BB6_14012 Depth=2
	s_delay_alu instid0(SALU_CYCLE_1) | instskip(NEXT) | instid1(VALU_DEP_1)
	s_or_b32 exec_lo, exec_lo, s7
	v_dual_mul_f32 v4, s28, v3 :: v_dual_mov_b32 v7, v1
                                        ; implicit-def: $vgpr96
	s_mov_b32 s7, exec_lo
	s_delay_alu instid0(VALU_DEP_1) | instskip(SKIP_1) | instid1(VALU_DEP_2)
	v_and_b32_e32 v6, 0x7f800000, v4
	v_and_b32_e32 v0, 0x7fffff, v4
	v_cmpx_ne_u64_e32 0x7f800000, v[6:7]
	s_xor_b32 s10, exec_lo, s7
	s_cbranch_execz .LBB6_15102
; %bb.15085:                            ;   in Loop: Header=BB6_14012 Depth=2
	v_dual_mov_b32 v7, v1 :: v_dual_lshrrev_b32 v3, 24, v4
	v_and_b32_e32 v6, 0x7fffffff, v4
                                        ; implicit-def: $vgpr96
	s_mov_b32 s7, exec_lo
	s_delay_alu instid0(VALU_DEP_2) | instskip(NEXT) | instid1(VALU_DEP_2)
	v_and_b32_e32 v3, 0x80, v3
	v_cmpx_gt_u64_e32 0x47600001, v[6:7]
	s_xor_b32 s11, exec_lo, s7
	s_cbranch_execz .LBB6_15099
; %bb.15086:                            ;   in Loop: Header=BB6_14012 Depth=2
	v_mov_b32_e32 v96, 0
	s_mov_b32 s28, exec_lo
	v_cmpx_ne_u32_e32 0, v4
	s_cbranch_execz .LBB6_15098
; %bb.15087:                            ;   in Loop: Header=BB6_14012 Depth=2
	v_bfe_u32 v8, v4, 23, 8
	v_or_b32_e32 v6, 0x800000, v0
	s_mov_b32 s29, exec_lo
	s_delay_alu instid0(VALU_DEP_2) | instskip(SKIP_1) | instid1(VALU_DEP_2)
	v_dual_mov_b32 v7, v1 :: v_dual_sub_nc_u32 v4, 0x71, v8
	v_cmp_gt_u32_e32 vcc_lo, 0x72, v8
	v_cndmask_b32_e32 v4, 0, v4, vcc_lo
	v_cmp_eq_u32_e32 vcc_lo, 0, v8
	s_delay_alu instid0(VALU_DEP_2) | instskip(NEXT) | instid1(VALU_DEP_1)
	v_cndmask_b32_e64 v9, v4, 0x70, vcc_lo
	v_dual_cndmask_b32 v6, v6, v0, vcc_lo :: v_dual_add_nc_u32 v4, 21, v9
	v_add_nc_u32_e32 v16, 20, v9
	s_delay_alu instid0(VALU_DEP_2) | instskip(NEXT) | instid1(VALU_DEP_2)
	v_lshlrev_b64_e64 v[4:5], v4, -1
	v_lshlrev_b64_e64 v[16:17], v16, 1
	s_delay_alu instid0(VALU_DEP_2) | instskip(NEXT) | instid1(VALU_DEP_3)
	v_bfi_b32 v19, v5, 0, 0
	v_bfi_b32 v18, v4, 0, v6
	v_lshrrev_b64 v[4:5], v9, v[6:7]
	s_delay_alu instid0(VALU_DEP_1) | instskip(NEXT) | instid1(VALU_DEP_3)
	v_mov_b64_e32 v[6:7], v[4:5]
	v_cmpx_eq_u64_e64 v[18:19], v[16:17]
; %bb.15088:                            ;   in Loop: Header=BB6_14012 Depth=2
	v_bfe_u32 v6, v4, 21, 1
	v_mov_b32_e32 v7, v1
	s_delay_alu instid0(VALU_DEP_1) | instskip(NEXT) | instid1(VALU_DEP_1)
	v_add_nc_u64_e32 v[6:7], v[4:5], v[6:7]
	v_add_nc_u64_e32 v[6:7], -1, v[6:7]
; %bb.15089:                            ;   in Loop: Header=BB6_14012 Depth=2
	s_or_b32 exec_lo, exec_lo, s29
	v_add_nc_u32_e32 v0, 0xffffff81, v8
	s_delay_alu instid0(VALU_DEP_2) | instskip(SKIP_2) | instid1(VALU_DEP_3)
	v_and_b32_e32 v6, 0x1fffff, v6
	v_lshrrev_b32_e32 v5, 23, v4
	s_mov_b32 s7, exec_lo
	v_cndmask_b32_e64 v0, v0, 0xffffff82, vcc_lo
	s_delay_alu instid0(VALU_DEP_1) | instskip(SKIP_1) | instid1(VALU_DEP_2)
	v_add3_u32 v7, v9, v0, v5
	v_add_nc_u32_e32 v0, v6, v4
                                        ; implicit-def: $vgpr4_vgpr5
                                        ; implicit-def: $vgpr6
	v_add_nc_u32_e32 v8, 14, v7
	s_delay_alu instid0(VALU_DEP_1)
	v_cmpx_ne_u32_e32 0, v8
	s_xor_b32 s7, exec_lo, s7
; %bb.15090:                            ;   in Loop: Header=BB6_14012 Depth=2
	s_delay_alu instid0(VALU_DEP_3) | instskip(SKIP_1) | instid1(VALU_DEP_1)
	v_cmp_lt_u64_e32 vcc_lo, 0xffffff, v[0:1]
	v_add_nc_u32_e32 v4, 15, v7
	v_cndmask_b32_e32 v6, v8, v4, vcc_lo
	v_cndmask_b32_e64 v4, 0, 1, vcc_lo
	s_delay_alu instid0(VALU_DEP_1)
	v_lshrrev_b64 v[4:5], v4, v[0:1]
; %bb.15091:                            ;   in Loop: Header=BB6_14012 Depth=2
	s_and_not1_saveexec_b32 s7, s7
; %bb.15092:                            ;   in Loop: Header=BB6_14012 Depth=2
	v_mov_b64_e32 v[4:5], v[0:1]
	v_bfe_u32 v6, v0, 23, 1
; %bb.15093:                            ;   in Loop: Header=BB6_14012 Depth=2
	s_or_b32 exec_lo, exec_lo, s7
	s_delay_alu instid0(VALU_DEP_2) | instskip(NEXT) | instid1(VALU_DEP_2)
	v_lshrrev_b64 v[4:5], 21, v[4:5]
	v_cmp_gt_i32_e32 vcc_lo, 32, v6
	v_cmp_ne_u32_e64 s7, 0, v6
                                        ; implicit-def: $vgpr96
	s_delay_alu instid0(VALU_DEP_3) | instskip(NEXT) | instid1(VALU_DEP_1)
	v_dual_cndmask_b32 v5, 0, v5 :: v_dual_cndmask_b32 v4, 3, v4
	v_cmp_ne_u64_e32 vcc_lo, 0, v[4:5]
	s_or_b32 s7, s7, vcc_lo
	s_delay_alu instid0(SALU_CYCLE_1) | instskip(NEXT) | instid1(SALU_CYCLE_1)
	s_and_saveexec_b32 s29, s7
	s_xor_b32 s7, exec_lo, s29
; %bb.15094:                            ;   in Loop: Header=BB6_14012 Depth=2
	v_min_i32_e32 v0, 31, v6
	s_delay_alu instid0(VALU_DEP_1) | instskip(NEXT) | instid1(VALU_DEP_1)
	v_lshl_or_b32 v0, v0, 2, v3
                                        ; implicit-def: $vgpr3
	v_and_or_b32 v96, v4, 3, v0
; %bb.15095:                            ;   in Loop: Header=BB6_14012 Depth=2
	s_and_not1_saveexec_b32 s7, s7
; %bb.15096:                            ;   in Loop: Header=BB6_14012 Depth=2
	v_mov_b32_e32 v96, v3
; %bb.15097:                            ;   in Loop: Header=BB6_14012 Depth=2
	s_or_b32 exec_lo, exec_lo, s7
.LBB6_15098:                            ;   in Loop: Header=BB6_14012 Depth=2
	s_delay_alu instid0(SALU_CYCLE_1)
	s_or_b32 exec_lo, exec_lo, s28
                                        ; implicit-def: $vgpr3
.LBB6_15099:                            ;   in Loop: Header=BB6_14012 Depth=2
	s_and_not1_saveexec_b32 s7, s11
; %bb.15100:                            ;   in Loop: Header=BB6_14012 Depth=2
	v_or_b32_e32 v96, 0x7b, v3
; %bb.15101:                            ;   in Loop: Header=BB6_14012 Depth=2
	s_or_b32 exec_lo, exec_lo, s7
                                        ; implicit-def: $vgpr4
.LBB6_15102:                            ;   in Loop: Header=BB6_14012 Depth=2
	s_and_not1_saveexec_b32 s7, s10
	s_cbranch_execz .LBB6_15108
; %bb.15103:                            ;   in Loop: Header=BB6_14012 Depth=2
	s_mov_b32 s10, exec_lo
                                        ; implicit-def: $vgpr96
	v_cmpx_ne_u64_e32 0, v[0:1]
	s_xor_b32 s10, exec_lo, s10
; %bb.15104:                            ;   in Loop: Header=BB6_14012 Depth=2
	v_lshrrev_b32_e32 v0, 24, v4
                                        ; implicit-def: $vgpr4
	s_delay_alu instid0(VALU_DEP_1)
	v_or_b32_e32 v96, 0x7f, v0
; %bb.15105:                            ;   in Loop: Header=BB6_14012 Depth=2
	s_and_not1_saveexec_b32 s10, s10
; %bb.15106:                            ;   in Loop: Header=BB6_14012 Depth=2
	v_cmp_lt_i32_e32 vcc_lo, -1, v4
	v_cndmask_b32_e64 v96, -4, 0x7c, vcc_lo
; %bb.15107:                            ;   in Loop: Header=BB6_14012 Depth=2
	s_or_b32 exec_lo, exec_lo, s10
.LBB6_15108:                            ;   in Loop: Header=BB6_14012 Depth=2
	s_delay_alu instid0(SALU_CYCLE_1)
	s_or_b32 exec_lo, exec_lo, s7
	s_clause 0x1f
	flat_load_i8 v52, v[12:13] th:TH_LOAD_NT
	flat_load_i8 v24, v[12:13] offset:32 th:TH_LOAD_NT
	flat_load_i8 v22, v[12:13] offset:64 th:TH_LOAD_NT
	;; [unrolled: 1-line block ×31, first 2 shown]
	v_and_b32_e32 v7, 0xff, v122
	v_dual_mov_b32 v0, 0 :: v_dual_mov_b32 v3, 0
	s_mov_b32 s10, exec_lo
	s_wait_xcnt 0x0
	s_delay_alu instid0(VALU_DEP_2)
	v_cmpx_ne_u16_e32 0, v7
	s_cbranch_execz .LBB6_15118
; %bb.15109:                            ;   in Loop: Header=BB6_14012 Depth=2
	v_bfrev_b32_e32 v3, 1
	s_mov_b32 s11, exec_lo
	v_cmpx_ne_u16_e32 0x80, v7
	s_cbranch_execz .LBB6_15117
; %bb.15110:                            ;   in Loop: Header=BB6_14012 Depth=2
	v_and_b32_e32 v3, 0x7c, v122
	v_and_b32_e32 v5, 3, v122
	s_delay_alu instid0(VALU_DEP_2) | instskip(SKIP_1) | instid1(SALU_CYCLE_1)
	v_cmp_ne_u32_e32 vcc_lo, 0x7c, v3
                                        ; implicit-def: $vgpr3
	s_and_saveexec_b32 s7, vcc_lo
	s_xor_b32 s7, exec_lo, s7
	s_cbranch_execz .LBB6_15114
; %bb.15111:                            ;   in Loop: Header=BB6_14012 Depth=2
	v_bfe_u32 v3, v7, 2, 5
	s_mov_b32 s28, exec_lo
	s_delay_alu instid0(VALU_DEP_1)
	v_cmpx_eq_u32_e32 0, v3
	s_cbranch_execz .LBB6_15113
; %bb.15112:                            ;   in Loop: Header=BB6_14012 Depth=2
	v_clz_i32_u32_e32 v3, v5
	v_dual_mov_b32 v123, v1 :: v_dual_mov_b32 v102, v96
	s_delay_alu instid0(VALU_DEP_2) | instskip(NEXT) | instid1(VALU_DEP_1)
	v_min_u32_e32 v3, 32, v3
	v_subrev_nc_u32_e32 v5, 29, v3
	s_delay_alu instid0(VALU_DEP_1) | instskip(NEXT) | instid1(VALU_DEP_1)
	v_lshlrev_b64_e32 v[96:97], v5, v[122:123]
	v_dual_sub_nc_u32 v3, 30, v3 :: v_dual_bitop2_b32 v5, 3, v96 bitop3:0x40
	v_mov_b32_e32 v96, v102
.LBB6_15113:                            ;   in Loop: Header=BB6_14012 Depth=2
	s_or_b32 exec_lo, exec_lo, s28
	v_lshlrev_b32_e32 v7, 24, v122
                                        ; implicit-def: $vgpr122
	s_delay_alu instid0(VALU_DEP_1) | instskip(NEXT) | instid1(VALU_DEP_1)
	v_and_b32_e32 v7, 0x80000000, v7
	v_lshl_add_u32 v3, v3, 23, v7
	s_delay_alu instid0(VALU_DEP_1) | instskip(NEXT) | instid1(VALU_DEP_1)
	v_lshl_or_b32 v3, v5, 21, v3
                                        ; implicit-def: $vgpr5
	v_add_nc_u32_e32 v3, 0x38000000, v3
.LBB6_15114:                            ;   in Loop: Header=BB6_14012 Depth=2
	s_and_not1_saveexec_b32 s28, s7
; %bb.15115:                            ;   in Loop: Header=BB6_14012 Depth=2
	v_bfe_i32 v3, v122, 0, 8
	v_cmp_eq_u32_e32 vcc_lo, 0, v5
	s_delay_alu instid0(VALU_DEP_2) | instskip(SKIP_1) | instid1(VALU_DEP_1)
	v_cmp_lt_i16_e64 s7, -1, v3
	v_mov_b32_e32 v3, 0x7f800000
	v_cndmask_b32_e64 v3, 0xff800000, v3, s7
	s_delay_alu instid0(VALU_DEP_1)
	v_cndmask_b32_e32 v3, 0x7f800001, v3, vcc_lo
; %bb.15116:                            ;   in Loop: Header=BB6_14012 Depth=2
	s_or_b32 exec_lo, exec_lo, s28
.LBB6_15117:                            ;   in Loop: Header=BB6_14012 Depth=2
	s_delay_alu instid0(SALU_CYCLE_1)
	s_or_b32 exec_lo, exec_lo, s11
.LBB6_15118:                            ;   in Loop: Header=BB6_14012 Depth=2
	s_delay_alu instid0(SALU_CYCLE_1) | instskip(NEXT) | instid1(SALU_CYCLE_1)
	s_or_b32 exec_lo, exec_lo, s10
	s_mov_b32 s7, exec_lo
	s_wait_loadcnt_dscnt 0x1f1f
	v_cmpx_ne_u16_e32 0, v52
	s_cbranch_execz .LBB6_15128
; %bb.15119:                            ;   in Loop: Header=BB6_14012 Depth=2
	v_bfrev_b32_e32 v0, 1
	s_mov_b32 s10, exec_lo
	v_cmpx_ne_u16_e32 0xff80, v52
	s_cbranch_execz .LBB6_15127
; %bb.15120:                            ;   in Loop: Header=BB6_14012 Depth=2
	v_and_b32_e32 v0, 0x7c, v52
	v_and_b32_e32 v5, 3, v52
	s_delay_alu instid0(VALU_DEP_2) | instskip(SKIP_1) | instid1(SALU_CYCLE_1)
	v_cmp_ne_u32_e32 vcc_lo, 0x7c, v0
                                        ; implicit-def: $vgpr0
	s_and_saveexec_b32 s11, vcc_lo
	s_xor_b32 s11, exec_lo, s11
	s_cbranch_execz .LBB6_15124
; %bb.15121:                            ;   in Loop: Header=BB6_14012 Depth=2
	v_and_b32_e32 v0, 0xff, v52
	s_mov_b32 s28, exec_lo
	s_delay_alu instid0(VALU_DEP_1) | instskip(NEXT) | instid1(VALU_DEP_1)
	v_bfe_u32 v0, v0, 2, 5
	v_cmpx_eq_u32_e32 0, v0
	s_cbranch_execz .LBB6_15123
; %bb.15122:                            ;   in Loop: Header=BB6_14012 Depth=2
	v_clz_i32_u32_e32 v0, v5
	v_dual_mov_b32 v53, v1 :: v_dual_mov_b32 v102, v96
	s_delay_alu instid0(VALU_DEP_2) | instskip(NEXT) | instid1(VALU_DEP_1)
	v_min_u32_e32 v0, 32, v0
	v_subrev_nc_u32_e32 v5, 29, v0
	v_sub_nc_u32_e32 v0, 30, v0
	s_delay_alu instid0(VALU_DEP_2) | instskip(NEXT) | instid1(VALU_DEP_1)
	v_lshlrev_b64_e32 v[96:97], v5, v[52:53]
	v_dual_mov_b32 v96, v102 :: v_dual_bitop2_b32 v5, 3, v96 bitop3:0x40
.LBB6_15123:                            ;   in Loop: Header=BB6_14012 Depth=2
	s_or_b32 exec_lo, exec_lo, s28
	v_bfe_i32 v7, v52, 0, 16
                                        ; implicit-def: $vgpr52
	s_delay_alu instid0(VALU_DEP_1) | instskip(NEXT) | instid1(VALU_DEP_1)
	v_and_b32_e32 v7, 0x80000000, v7
	v_lshl_add_u32 v0, v0, 23, v7
	s_delay_alu instid0(VALU_DEP_1) | instskip(NEXT) | instid1(VALU_DEP_1)
	v_lshl_or_b32 v0, v5, 21, v0
                                        ; implicit-def: $vgpr5
	v_add_nc_u32_e32 v0, 0x38000000, v0
.LBB6_15124:                            ;   in Loop: Header=BB6_14012 Depth=2
	s_and_not1_saveexec_b32 s11, s11
; %bb.15125:                            ;   in Loop: Header=BB6_14012 Depth=2
	v_cmp_lt_i16_e32 vcc_lo, -1, v52
	v_mov_b32_e32 v0, 0x7f800000
	s_delay_alu instid0(VALU_DEP_1) | instskip(SKIP_1) | instid1(VALU_DEP_2)
	v_cndmask_b32_e32 v0, 0xff800000, v0, vcc_lo
	v_cmp_eq_u32_e32 vcc_lo, 0, v5
	v_cndmask_b32_e32 v0, 0x7f800001, v0, vcc_lo
; %bb.15126:                            ;   in Loop: Header=BB6_14012 Depth=2
	s_or_b32 exec_lo, exec_lo, s11
.LBB6_15127:                            ;   in Loop: Header=BB6_14012 Depth=2
	s_delay_alu instid0(SALU_CYCLE_1)
	s_or_b32 exec_lo, exec_lo, s10
.LBB6_15128:                            ;   in Loop: Header=BB6_14012 Depth=2
	s_delay_alu instid0(SALU_CYCLE_1) | instskip(NEXT) | instid1(VALU_DEP_1)
	s_or_b32 exec_lo, exec_lo, s7
	v_dual_add_f32 v5, v3, v0 :: v_dual_mov_b32 v53, v1
	s_delay_alu instid0(VALU_DEP_1) | instskip(SKIP_1) | instid1(VALU_DEP_2)
	v_and_b32_e32 v52, 0x7f800000, v5
	v_and_b32_e32 v0, 0x7fffff, v5
	v_cmp_ne_u64_e32 vcc_lo, 0x7f800000, v[52:53]
                                        ; implicit-def: $vgpr53
	s_and_saveexec_b32 s7, vcc_lo
	s_delay_alu instid0(SALU_CYCLE_1)
	s_xor_b32 s10, exec_lo, s7
	s_cbranch_execz .LBB6_15146
; %bb.15129:                            ;   in Loop: Header=BB6_14012 Depth=2
	v_and_b32_e32 v52, 0x7fffffff, v5
	v_dual_mov_b32 v53, v1 :: v_dual_lshrrev_b32 v3, 24, v5
	s_delay_alu instid0(VALU_DEP_1) | instskip(NEXT) | instid1(VALU_DEP_2)
	v_cmp_gt_u64_e32 vcc_lo, 0x47600001, v[52:53]
	v_and_b32_e32 v3, 0x80, v3
                                        ; implicit-def: $vgpr53
	s_and_saveexec_b32 s7, vcc_lo
	s_delay_alu instid0(SALU_CYCLE_1)
	s_xor_b32 s11, exec_lo, s7
	s_cbranch_execz .LBB6_15143
; %bb.15130:                            ;   in Loop: Header=BB6_14012 Depth=2
	v_mov_b32_e32 v53, 0
	s_mov_b32 s28, exec_lo
	v_cmpx_ne_u32_e32 0, v5
	s_cbranch_execz .LBB6_15142
; %bb.15131:                            ;   in Loop: Header=BB6_14012 Depth=2
	v_bfe_u32 v5, v5, 23, 8
	v_mov_b32_e32 v102, v96
	v_or_b32_e32 v9, 0x800000, v0
	s_delay_alu instid0(VALU_DEP_3) | instskip(SKIP_2) | instid1(VALU_DEP_2)
	v_cmp_gt_u32_e64 s7, 0x72, v5
	v_sub_nc_u32_e32 v7, 0x71, v5
	v_cmp_eq_u32_e32 vcc_lo, 0, v5
	v_dual_cndmask_b32 v7, 0, v7, s7 :: v_dual_cndmask_b32 v52, v9, v0, vcc_lo
	s_delay_alu instid0(VALU_DEP_1) | instskip(NEXT) | instid1(VALU_DEP_1)
	v_cndmask_b32_e64 v7, v7, 0x70, vcc_lo
	v_dual_mov_b32 v53, v1 :: v_dual_add_nc_u32 v0, 21, v7
	s_delay_alu instid0(VALU_DEP_1) | instskip(SKIP_1) | instid1(VALU_DEP_1)
	v_lshlrev_b64_e64 v[96:97], v0, -1
	v_add_nc_u32_e32 v0, 20, v7
	v_lshlrev_b64_e64 v[122:123], v0, 1
	s_delay_alu instid0(VALU_DEP_3) | instskip(SKIP_2) | instid1(VALU_DEP_1)
	v_bfi_b32 v96, v96, 0, v52
	v_lshrrev_b64 v[52:53], v7, v[52:53]
	v_bfi_b32 v97, v97, 0, 0
	v_cmp_eq_u64_e64 s7, v[96:97], v[122:123]
	s_delay_alu instid0(VALU_DEP_3)
	v_mov_b64_e32 v[122:123], v[52:53]
	s_and_saveexec_b32 s29, s7
; %bb.15132:                            ;   in Loop: Header=BB6_14012 Depth=2
	v_bfe_u32 v96, v52, 21, 1
	v_mov_b32_e32 v97, v1
	s_delay_alu instid0(VALU_DEP_1) | instskip(NEXT) | instid1(VALU_DEP_1)
	v_add_nc_u64_e32 v[96:97], v[52:53], v[96:97]
	v_add_nc_u64_e32 v[122:123], -1, v[96:97]
; %bb.15133:                            ;   in Loop: Header=BB6_14012 Depth=2
	s_or_b32 exec_lo, exec_lo, s29
	v_add_nc_u32_e32 v0, 0xffffff81, v5
	s_delay_alu instid0(VALU_DEP_2) | instskip(SKIP_2) | instid1(VALU_DEP_3)
	v_and_b32_e32 v17, 0x1fffff, v122
	v_lshrrev_b32_e32 v5, 23, v52
	s_mov_b32 s7, exec_lo
	v_cndmask_b32_e64 v0, v0, 0xffffff82, vcc_lo
	s_delay_alu instid0(VALU_DEP_1) | instskip(SKIP_1) | instid1(VALU_DEP_2)
	v_add3_u32 v9, v7, v0, v5
	v_add_nc_u32_e32 v0, v17, v52
                                        ; implicit-def: $vgpr52_vgpr53
                                        ; implicit-def: $vgpr5
	v_add_nc_u32_e32 v7, 14, v9
	s_delay_alu instid0(VALU_DEP_1)
	v_cmpx_ne_u32_e32 0, v7
	s_xor_b32 s7, exec_lo, s7
; %bb.15134:                            ;   in Loop: Header=BB6_14012 Depth=2
	s_delay_alu instid0(VALU_DEP_3) | instskip(SKIP_1) | instid1(VALU_DEP_1)
	v_cmp_lt_u64_e32 vcc_lo, 0xffffff, v[0:1]
	v_add_nc_u32_e32 v5, 15, v9
	v_cndmask_b32_e32 v5, v7, v5, vcc_lo
	v_cndmask_b32_e64 v7, 0, 1, vcc_lo
	s_delay_alu instid0(VALU_DEP_1)
	v_lshrrev_b64 v[52:53], v7, v[0:1]
; %bb.15135:                            ;   in Loop: Header=BB6_14012 Depth=2
	s_or_saveexec_b32 s7, s7
	v_mov_b32_e32 v96, v102
	s_xor_b32 exec_lo, exec_lo, s7
; %bb.15136:                            ;   in Loop: Header=BB6_14012 Depth=2
	v_mov_b64_e32 v[52:53], v[0:1]
	v_bfe_u32 v5, v0, 23, 1
; %bb.15137:                            ;   in Loop: Header=BB6_14012 Depth=2
	s_or_b32 exec_lo, exec_lo, s7
	s_delay_alu instid0(VALU_DEP_2) | instskip(NEXT) | instid1(VALU_DEP_2)
	v_lshrrev_b64 v[52:53], 21, v[52:53]
	v_cmp_gt_i32_e32 vcc_lo, 32, v5
	v_cmp_ne_u32_e64 s7, 0, v5
	s_delay_alu instid0(VALU_DEP_3) | instskip(NEXT) | instid1(VALU_DEP_1)
	v_dual_cndmask_b32 v53, 0, v53 :: v_dual_cndmask_b32 v52, 3, v52
	v_cmp_ne_u64_e32 vcc_lo, 0, v[52:53]
                                        ; implicit-def: $vgpr53
	s_or_b32 s7, s7, vcc_lo
	s_delay_alu instid0(SALU_CYCLE_1) | instskip(NEXT) | instid1(SALU_CYCLE_1)
	s_and_saveexec_b32 s29, s7
	s_xor_b32 s7, exec_lo, s29
; %bb.15138:                            ;   in Loop: Header=BB6_14012 Depth=2
	v_min_i32_e32 v0, 31, v5
	s_delay_alu instid0(VALU_DEP_1) | instskip(NEXT) | instid1(VALU_DEP_1)
	v_lshl_or_b32 v0, v0, 2, v3
                                        ; implicit-def: $vgpr3
	v_and_or_b32 v53, v52, 3, v0
; %bb.15139:                            ;   in Loop: Header=BB6_14012 Depth=2
	s_and_not1_saveexec_b32 s7, s7
; %bb.15140:                            ;   in Loop: Header=BB6_14012 Depth=2
	v_mov_b32_e32 v53, v3
; %bb.15141:                            ;   in Loop: Header=BB6_14012 Depth=2
	s_or_b32 exec_lo, exec_lo, s7
.LBB6_15142:                            ;   in Loop: Header=BB6_14012 Depth=2
	s_delay_alu instid0(SALU_CYCLE_1)
	s_or_b32 exec_lo, exec_lo, s28
                                        ; implicit-def: $vgpr3
.LBB6_15143:                            ;   in Loop: Header=BB6_14012 Depth=2
	s_and_not1_saveexec_b32 s7, s11
; %bb.15144:                            ;   in Loop: Header=BB6_14012 Depth=2
	v_or_b32_e32 v53, 0x7b, v3
; %bb.15145:                            ;   in Loop: Header=BB6_14012 Depth=2
	s_or_b32 exec_lo, exec_lo, s7
                                        ; implicit-def: $vgpr5
.LBB6_15146:                            ;   in Loop: Header=BB6_14012 Depth=2
	s_and_not1_saveexec_b32 s7, s10
	s_cbranch_execz .LBB6_15152
; %bb.15147:                            ;   in Loop: Header=BB6_14012 Depth=2
	s_mov_b32 s10, exec_lo
                                        ; implicit-def: $vgpr53
	v_cmpx_ne_u64_e32 0, v[0:1]
	s_xor_b32 s10, exec_lo, s10
; %bb.15148:                            ;   in Loop: Header=BB6_14012 Depth=2
	v_lshrrev_b32_e32 v0, 24, v5
                                        ; implicit-def: $vgpr5
	s_delay_alu instid0(VALU_DEP_1)
	v_or_b32_e32 v53, 0x7f, v0
; %bb.15149:                            ;   in Loop: Header=BB6_14012 Depth=2
	s_and_not1_saveexec_b32 s10, s10
; %bb.15150:                            ;   in Loop: Header=BB6_14012 Depth=2
	v_cmp_lt_i32_e32 vcc_lo, -1, v5
	v_cndmask_b32_e64 v53, -4, 0x7c, vcc_lo
; %bb.15151:                            ;   in Loop: Header=BB6_14012 Depth=2
	s_or_b32 exec_lo, exec_lo, s10
.LBB6_15152:                            ;   in Loop: Header=BB6_14012 Depth=2
	s_delay_alu instid0(SALU_CYCLE_1) | instskip(SKIP_3) | instid1(VALU_DEP_2)
	s_or_b32 exec_lo, exec_lo, s7
	v_and_b32_e32 v7, 0xff, v30
	v_dual_mov_b32 v0, 0 :: v_dual_mov_b32 v3, 0
	s_mov_b32 s10, exec_lo
	v_cmpx_ne_u16_e32 0, v7
	s_cbranch_execz .LBB6_15162
; %bb.15153:                            ;   in Loop: Header=BB6_14012 Depth=2
	v_bfrev_b32_e32 v3, 1
	s_mov_b32 s11, exec_lo
	v_cmpx_ne_u16_e32 0x80, v7
	s_cbranch_execz .LBB6_15161
; %bb.15154:                            ;   in Loop: Header=BB6_14012 Depth=2
	v_and_b32_e32 v3, 0x7c, v30
	v_and_b32_e32 v5, 3, v30
	s_delay_alu instid0(VALU_DEP_2) | instskip(SKIP_1) | instid1(SALU_CYCLE_1)
	v_cmp_ne_u32_e32 vcc_lo, 0x7c, v3
                                        ; implicit-def: $vgpr3
	s_and_saveexec_b32 s7, vcc_lo
	s_xor_b32 s7, exec_lo, s7
	s_cbranch_execz .LBB6_15158
; %bb.15155:                            ;   in Loop: Header=BB6_14012 Depth=2
	v_bfe_u32 v3, v7, 2, 5
	s_mov_b32 s28, exec_lo
	s_delay_alu instid0(VALU_DEP_1)
	v_cmpx_eq_u32_e32 0, v3
	s_cbranch_execz .LBB6_15157
; %bb.15156:                            ;   in Loop: Header=BB6_14012 Depth=2
	v_clz_i32_u32_e32 v3, v5
	v_dual_mov_b32 v31, v1 :: v_dual_mov_b32 v52, v96
	s_delay_alu instid0(VALU_DEP_2) | instskip(NEXT) | instid1(VALU_DEP_1)
	v_min_u32_e32 v3, 32, v3
	v_subrev_nc_u32_e32 v5, 29, v3
	s_delay_alu instid0(VALU_DEP_1) | instskip(NEXT) | instid1(VALU_DEP_1)
	v_lshlrev_b64_e32 v[96:97], v5, v[30:31]
	v_dual_sub_nc_u32 v3, 30, v3 :: v_dual_bitop2_b32 v5, 3, v96 bitop3:0x40
	v_mov_b32_e32 v96, v52
.LBB6_15157:                            ;   in Loop: Header=BB6_14012 Depth=2
	s_or_b32 exec_lo, exec_lo, s28
	v_lshlrev_b32_e32 v7, 24, v30
                                        ; implicit-def: $vgpr30
	s_delay_alu instid0(VALU_DEP_1) | instskip(NEXT) | instid1(VALU_DEP_1)
	v_and_b32_e32 v7, 0x80000000, v7
	v_lshl_add_u32 v3, v3, 23, v7
	s_delay_alu instid0(VALU_DEP_1) | instskip(NEXT) | instid1(VALU_DEP_1)
	v_lshl_or_b32 v3, v5, 21, v3
                                        ; implicit-def: $vgpr5
	v_add_nc_u32_e32 v3, 0x38000000, v3
.LBB6_15158:                            ;   in Loop: Header=BB6_14012 Depth=2
	s_and_not1_saveexec_b32 s28, s7
; %bb.15159:                            ;   in Loop: Header=BB6_14012 Depth=2
	v_bfe_i32 v3, v30, 0, 8
	v_cmp_eq_u32_e32 vcc_lo, 0, v5
	s_delay_alu instid0(VALU_DEP_2) | instskip(SKIP_1) | instid1(VALU_DEP_1)
	v_cmp_lt_i16_e64 s7, -1, v3
	v_mov_b32_e32 v3, 0x7f800000
	v_cndmask_b32_e64 v3, 0xff800000, v3, s7
	s_delay_alu instid0(VALU_DEP_1)
	v_cndmask_b32_e32 v3, 0x7f800001, v3, vcc_lo
; %bb.15160:                            ;   in Loop: Header=BB6_14012 Depth=2
	s_or_b32 exec_lo, exec_lo, s28
.LBB6_15161:                            ;   in Loop: Header=BB6_14012 Depth=2
	s_delay_alu instid0(SALU_CYCLE_1)
	s_or_b32 exec_lo, exec_lo, s11
.LBB6_15162:                            ;   in Loop: Header=BB6_14012 Depth=2
	s_delay_alu instid0(SALU_CYCLE_1) | instskip(NEXT) | instid1(SALU_CYCLE_1)
	s_or_b32 exec_lo, exec_lo, s10
	s_mov_b32 s7, exec_lo
	s_wait_loadcnt_dscnt 0x1e1e
	v_cmpx_ne_u16_e32 0, v24
	s_cbranch_execz .LBB6_15172
; %bb.15163:                            ;   in Loop: Header=BB6_14012 Depth=2
	v_bfrev_b32_e32 v0, 1
	s_mov_b32 s10, exec_lo
	v_cmpx_ne_u16_e32 0xff80, v24
	s_cbranch_execz .LBB6_15171
; %bb.15164:                            ;   in Loop: Header=BB6_14012 Depth=2
	v_and_b32_e32 v0, 0x7c, v24
	v_and_b32_e32 v5, 3, v24
	s_delay_alu instid0(VALU_DEP_2) | instskip(SKIP_1) | instid1(SALU_CYCLE_1)
	v_cmp_ne_u32_e32 vcc_lo, 0x7c, v0
                                        ; implicit-def: $vgpr0
	s_and_saveexec_b32 s11, vcc_lo
	s_xor_b32 s11, exec_lo, s11
	s_cbranch_execz .LBB6_15168
; %bb.15165:                            ;   in Loop: Header=BB6_14012 Depth=2
	v_and_b32_e32 v0, 0xff, v24
	s_mov_b32 s28, exec_lo
	s_delay_alu instid0(VALU_DEP_1) | instskip(NEXT) | instid1(VALU_DEP_1)
	v_bfe_u32 v0, v0, 2, 5
	v_cmpx_eq_u32_e32 0, v0
	s_cbranch_execz .LBB6_15167
; %bb.15166:                            ;   in Loop: Header=BB6_14012 Depth=2
	v_clz_i32_u32_e32 v0, v5
	s_delay_alu instid0(VALU_DEP_1) | instskip(SKIP_1) | instid1(VALU_DEP_2)
	v_min_u32_e32 v0, 32, v0
	v_mov_b32_e32 v25, v1
	v_subrev_nc_u32_e32 v5, 29, v0
	v_sub_nc_u32_e32 v0, 30, v0
	s_delay_alu instid0(VALU_DEP_2) | instskip(NEXT) | instid1(VALU_DEP_1)
	v_lshlrev_b64_e32 v[30:31], v5, v[24:25]
	v_and_b32_e32 v5, 3, v30
.LBB6_15167:                            ;   in Loop: Header=BB6_14012 Depth=2
	s_or_b32 exec_lo, exec_lo, s28
	v_bfe_i32 v7, v24, 0, 16
                                        ; implicit-def: $vgpr24
	s_delay_alu instid0(VALU_DEP_1) | instskip(NEXT) | instid1(VALU_DEP_1)
	v_and_b32_e32 v7, 0x80000000, v7
	v_lshl_add_u32 v0, v0, 23, v7
	s_delay_alu instid0(VALU_DEP_1) | instskip(NEXT) | instid1(VALU_DEP_1)
	v_lshl_or_b32 v0, v5, 21, v0
                                        ; implicit-def: $vgpr5
	v_add_nc_u32_e32 v0, 0x38000000, v0
.LBB6_15168:                            ;   in Loop: Header=BB6_14012 Depth=2
	s_and_not1_saveexec_b32 s11, s11
; %bb.15169:                            ;   in Loop: Header=BB6_14012 Depth=2
	v_cmp_lt_i16_e32 vcc_lo, -1, v24
	v_mov_b32_e32 v0, 0x7f800000
	s_delay_alu instid0(VALU_DEP_1) | instskip(SKIP_1) | instid1(VALU_DEP_2)
	v_cndmask_b32_e32 v0, 0xff800000, v0, vcc_lo
	v_cmp_eq_u32_e32 vcc_lo, 0, v5
	v_cndmask_b32_e32 v0, 0x7f800001, v0, vcc_lo
; %bb.15170:                            ;   in Loop: Header=BB6_14012 Depth=2
	s_or_b32 exec_lo, exec_lo, s11
.LBB6_15171:                            ;   in Loop: Header=BB6_14012 Depth=2
	s_delay_alu instid0(SALU_CYCLE_1)
	s_or_b32 exec_lo, exec_lo, s10
.LBB6_15172:                            ;   in Loop: Header=BB6_14012 Depth=2
	s_delay_alu instid0(SALU_CYCLE_1) | instskip(NEXT) | instid1(VALU_DEP_1)
	s_or_b32 exec_lo, exec_lo, s7
	v_dual_add_f32 v5, v3, v0 :: v_dual_mov_b32 v25, v1
                                        ; implicit-def: $vgpr30
	s_mov_b32 s7, exec_lo
	s_delay_alu instid0(VALU_DEP_1) | instskip(SKIP_1) | instid1(VALU_DEP_2)
	v_and_b32_e32 v24, 0x7f800000, v5
	v_and_b32_e32 v0, 0x7fffff, v5
	v_cmpx_ne_u64_e32 0x7f800000, v[24:25]
	s_xor_b32 s10, exec_lo, s7
	s_cbranch_execz .LBB6_15190
; %bb.15173:                            ;   in Loop: Header=BB6_14012 Depth=2
	v_dual_mov_b32 v25, v1 :: v_dual_lshrrev_b32 v3, 24, v5
	v_and_b32_e32 v24, 0x7fffffff, v5
                                        ; implicit-def: $vgpr30
	s_mov_b32 s7, exec_lo
	s_delay_alu instid0(VALU_DEP_2) | instskip(NEXT) | instid1(VALU_DEP_2)
	v_and_b32_e32 v3, 0x80, v3
	v_cmpx_gt_u64_e32 0x47600001, v[24:25]
	s_xor_b32 s11, exec_lo, s7
	s_cbranch_execz .LBB6_15187
; %bb.15174:                            ;   in Loop: Header=BB6_14012 Depth=2
	v_mov_b32_e32 v30, 0
	s_mov_b32 s28, exec_lo
	v_cmpx_ne_u32_e32 0, v5
	s_cbranch_execz .LBB6_15186
; %bb.15175:                            ;   in Loop: Header=BB6_14012 Depth=2
	v_bfe_u32 v5, v5, 23, 8
	v_mov_b32_e32 v52, v96
	v_or_b32_e32 v9, 0x800000, v0
	s_delay_alu instid0(VALU_DEP_3) | instskip(SKIP_2) | instid1(VALU_DEP_2)
	v_cmp_gt_u32_e64 s7, 0x72, v5
	v_sub_nc_u32_e32 v7, 0x71, v5
	v_cmp_eq_u32_e32 vcc_lo, 0, v5
	v_dual_cndmask_b32 v7, 0, v7, s7 :: v_dual_cndmask_b32 v24, v9, v0, vcc_lo
	s_delay_alu instid0(VALU_DEP_1) | instskip(NEXT) | instid1(VALU_DEP_1)
	v_cndmask_b32_e64 v7, v7, 0x70, vcc_lo
	v_dual_mov_b32 v25, v1 :: v_dual_add_nc_u32 v0, 21, v7
	s_delay_alu instid0(VALU_DEP_1) | instskip(SKIP_1) | instid1(VALU_DEP_1)
	v_lshlrev_b64_e64 v[30:31], v0, -1
	v_add_nc_u32_e32 v0, 20, v7
	v_lshlrev_b64_e64 v[96:97], v0, 1
	s_delay_alu instid0(VALU_DEP_3) | instskip(SKIP_2) | instid1(VALU_DEP_1)
	v_bfi_b32 v30, v30, 0, v24
	v_lshrrev_b64 v[24:25], v7, v[24:25]
	v_bfi_b32 v31, v31, 0, 0
	v_cmp_eq_u64_e64 s7, v[30:31], v[96:97]
	s_delay_alu instid0(VALU_DEP_3)
	v_mov_b64_e32 v[30:31], v[24:25]
	s_and_saveexec_b32 s29, s7
; %bb.15176:                            ;   in Loop: Header=BB6_14012 Depth=2
	v_bfe_u32 v30, v24, 21, 1
	v_mov_b32_e32 v31, v1
	s_delay_alu instid0(VALU_DEP_1) | instskip(NEXT) | instid1(VALU_DEP_1)
	v_add_nc_u64_e32 v[30:31], v[24:25], v[30:31]
	v_add_nc_u64_e32 v[30:31], -1, v[30:31]
; %bb.15177:                            ;   in Loop: Header=BB6_14012 Depth=2
	s_or_b32 exec_lo, exec_lo, s29
	v_add_nc_u32_e32 v0, 0xffffff81, v5
	s_delay_alu instid0(VALU_DEP_2) | instskip(SKIP_2) | instid1(VALU_DEP_3)
	v_and_b32_e32 v17, 0x1fffff, v30
	v_lshrrev_b32_e32 v5, 23, v24
	s_mov_b32 s7, exec_lo
	v_cndmask_b32_e64 v0, v0, 0xffffff82, vcc_lo
	s_delay_alu instid0(VALU_DEP_1) | instskip(SKIP_1) | instid1(VALU_DEP_2)
	v_add3_u32 v9, v7, v0, v5
	v_add_nc_u32_e32 v0, v17, v24
                                        ; implicit-def: $vgpr24_vgpr25
                                        ; implicit-def: $vgpr5
	v_add_nc_u32_e32 v7, 14, v9
	s_delay_alu instid0(VALU_DEP_1)
	v_cmpx_ne_u32_e32 0, v7
	s_xor_b32 s7, exec_lo, s7
; %bb.15178:                            ;   in Loop: Header=BB6_14012 Depth=2
	s_delay_alu instid0(VALU_DEP_3) | instskip(SKIP_1) | instid1(VALU_DEP_1)
	v_cmp_lt_u64_e32 vcc_lo, 0xffffff, v[0:1]
	v_add_nc_u32_e32 v5, 15, v9
	v_cndmask_b32_e32 v5, v7, v5, vcc_lo
	v_cndmask_b32_e64 v7, 0, 1, vcc_lo
	s_delay_alu instid0(VALU_DEP_1)
	v_lshrrev_b64 v[24:25], v7, v[0:1]
; %bb.15179:                            ;   in Loop: Header=BB6_14012 Depth=2
	s_or_saveexec_b32 s7, s7
	v_mov_b32_e32 v96, v52
	s_xor_b32 exec_lo, exec_lo, s7
; %bb.15180:                            ;   in Loop: Header=BB6_14012 Depth=2
	v_mov_b64_e32 v[24:25], v[0:1]
	v_bfe_u32 v5, v0, 23, 1
; %bb.15181:                            ;   in Loop: Header=BB6_14012 Depth=2
	s_or_b32 exec_lo, exec_lo, s7
	s_delay_alu instid0(VALU_DEP_2) | instskip(NEXT) | instid1(VALU_DEP_2)
	v_lshrrev_b64 v[24:25], 21, v[24:25]
	v_cmp_gt_i32_e32 vcc_lo, 32, v5
	v_cmp_ne_u32_e64 s7, 0, v5
                                        ; implicit-def: $vgpr30
	s_delay_alu instid0(VALU_DEP_3) | instskip(NEXT) | instid1(VALU_DEP_1)
	v_dual_cndmask_b32 v25, 0, v25 :: v_dual_cndmask_b32 v24, 3, v24
	v_cmp_ne_u64_e32 vcc_lo, 0, v[24:25]
	s_or_b32 s7, s7, vcc_lo
	s_delay_alu instid0(SALU_CYCLE_1) | instskip(NEXT) | instid1(SALU_CYCLE_1)
	s_and_saveexec_b32 s29, s7
	s_xor_b32 s7, exec_lo, s29
; %bb.15182:                            ;   in Loop: Header=BB6_14012 Depth=2
	v_min_i32_e32 v0, 31, v5
	s_delay_alu instid0(VALU_DEP_1) | instskip(NEXT) | instid1(VALU_DEP_1)
	v_lshl_or_b32 v0, v0, 2, v3
                                        ; implicit-def: $vgpr3
	v_and_or_b32 v30, v24, 3, v0
; %bb.15183:                            ;   in Loop: Header=BB6_14012 Depth=2
	s_and_not1_saveexec_b32 s7, s7
; %bb.15184:                            ;   in Loop: Header=BB6_14012 Depth=2
	v_mov_b32_e32 v30, v3
; %bb.15185:                            ;   in Loop: Header=BB6_14012 Depth=2
	s_or_b32 exec_lo, exec_lo, s7
.LBB6_15186:                            ;   in Loop: Header=BB6_14012 Depth=2
	s_delay_alu instid0(SALU_CYCLE_1)
	s_or_b32 exec_lo, exec_lo, s28
                                        ; implicit-def: $vgpr3
.LBB6_15187:                            ;   in Loop: Header=BB6_14012 Depth=2
	s_and_not1_saveexec_b32 s7, s11
; %bb.15188:                            ;   in Loop: Header=BB6_14012 Depth=2
	v_or_b32_e32 v30, 0x7b, v3
; %bb.15189:                            ;   in Loop: Header=BB6_14012 Depth=2
	s_or_b32 exec_lo, exec_lo, s7
                                        ; implicit-def: $vgpr5
.LBB6_15190:                            ;   in Loop: Header=BB6_14012 Depth=2
	s_and_not1_saveexec_b32 s7, s10
	s_cbranch_execz .LBB6_15196
; %bb.15191:                            ;   in Loop: Header=BB6_14012 Depth=2
	s_mov_b32 s10, exec_lo
                                        ; implicit-def: $vgpr30
	v_cmpx_ne_u64_e32 0, v[0:1]
	s_xor_b32 s10, exec_lo, s10
; %bb.15192:                            ;   in Loop: Header=BB6_14012 Depth=2
	v_lshrrev_b32_e32 v0, 24, v5
                                        ; implicit-def: $vgpr5
	s_delay_alu instid0(VALU_DEP_1)
	v_or_b32_e32 v30, 0x7f, v0
; %bb.15193:                            ;   in Loop: Header=BB6_14012 Depth=2
	s_and_not1_saveexec_b32 s10, s10
; %bb.15194:                            ;   in Loop: Header=BB6_14012 Depth=2
	v_cmp_lt_i32_e32 vcc_lo, -1, v5
	v_cndmask_b32_e64 v30, -4, 0x7c, vcc_lo
; %bb.15195:                            ;   in Loop: Header=BB6_14012 Depth=2
	s_or_b32 exec_lo, exec_lo, s10
.LBB6_15196:                            ;   in Loop: Header=BB6_14012 Depth=2
	s_delay_alu instid0(SALU_CYCLE_1) | instskip(SKIP_3) | instid1(VALU_DEP_2)
	s_or_b32 exec_lo, exec_lo, s7
	v_and_b32_e32 v7, 0xff, v28
	v_dual_mov_b32 v0, 0 :: v_dual_mov_b32 v3, 0
	s_mov_b32 s7, exec_lo
	v_cmpx_ne_u16_e32 0, v7
	s_cbranch_execz .LBB6_15206
; %bb.15197:                            ;   in Loop: Header=BB6_14012 Depth=2
	v_bfrev_b32_e32 v3, 1
	s_mov_b32 s10, exec_lo
	v_cmpx_ne_u16_e32 0x80, v7
	s_cbranch_execz .LBB6_15205
; %bb.15198:                            ;   in Loop: Header=BB6_14012 Depth=2
	v_and_b32_e32 v3, 0x7c, v28
	v_and_b32_e32 v5, 3, v28
	s_delay_alu instid0(VALU_DEP_2) | instskip(SKIP_1) | instid1(SALU_CYCLE_1)
	v_cmp_ne_u32_e32 vcc_lo, 0x7c, v3
                                        ; implicit-def: $vgpr3
	s_and_saveexec_b32 s11, vcc_lo
	s_xor_b32 s11, exec_lo, s11
	s_cbranch_execz .LBB6_15202
; %bb.15199:                            ;   in Loop: Header=BB6_14012 Depth=2
	v_bfe_u32 v3, v7, 2, 5
	s_mov_b32 s28, exec_lo
	s_delay_alu instid0(VALU_DEP_1)
	v_cmpx_eq_u32_e32 0, v3
	s_cbranch_execz .LBB6_15201
; %bb.15200:                            ;   in Loop: Header=BB6_14012 Depth=2
	v_clz_i32_u32_e32 v3, v5
	s_delay_alu instid0(VALU_DEP_1) | instskip(SKIP_1) | instid1(VALU_DEP_2)
	v_min_u32_e32 v3, 32, v3
	v_mov_b32_e32 v29, v1
	v_subrev_nc_u32_e32 v5, 29, v3
	v_sub_nc_u32_e32 v3, 30, v3
	s_delay_alu instid0(VALU_DEP_2) | instskip(NEXT) | instid1(VALU_DEP_1)
	v_lshlrev_b64_e32 v[24:25], v5, v[28:29]
	v_and_b32_e32 v5, 3, v24
.LBB6_15201:                            ;   in Loop: Header=BB6_14012 Depth=2
	s_or_b32 exec_lo, exec_lo, s28
	v_lshlrev_b32_e32 v7, 24, v28
                                        ; implicit-def: $vgpr28
	s_delay_alu instid0(VALU_DEP_1) | instskip(NEXT) | instid1(VALU_DEP_1)
	v_and_b32_e32 v7, 0x80000000, v7
	v_lshl_add_u32 v3, v3, 23, v7
	s_delay_alu instid0(VALU_DEP_1) | instskip(NEXT) | instid1(VALU_DEP_1)
	v_lshl_or_b32 v3, v5, 21, v3
                                        ; implicit-def: $vgpr5
	v_add_nc_u32_e32 v3, 0x38000000, v3
.LBB6_15202:                            ;   in Loop: Header=BB6_14012 Depth=2
	s_and_not1_saveexec_b32 s11, s11
; %bb.15203:                            ;   in Loop: Header=BB6_14012 Depth=2
	v_bfe_i32 v3, v28, 0, 8
	s_delay_alu instid0(VALU_DEP_1) | instskip(SKIP_1) | instid1(VALU_DEP_1)
	v_cmp_lt_i16_e32 vcc_lo, -1, v3
	v_mov_b32_e32 v3, 0x7f800000
	v_cndmask_b32_e32 v3, 0xff800000, v3, vcc_lo
	v_cmp_eq_u32_e32 vcc_lo, 0, v5
	s_delay_alu instid0(VALU_DEP_2)
	v_cndmask_b32_e32 v3, 0x7f800001, v3, vcc_lo
; %bb.15204:                            ;   in Loop: Header=BB6_14012 Depth=2
	s_or_b32 exec_lo, exec_lo, s11
.LBB6_15205:                            ;   in Loop: Header=BB6_14012 Depth=2
	s_delay_alu instid0(SALU_CYCLE_1)
	s_or_b32 exec_lo, exec_lo, s10
.LBB6_15206:                            ;   in Loop: Header=BB6_14012 Depth=2
	s_delay_alu instid0(SALU_CYCLE_1) | instskip(NEXT) | instid1(SALU_CYCLE_1)
	s_or_b32 exec_lo, exec_lo, s7
	s_mov_b32 s7, exec_lo
	s_wait_loadcnt_dscnt 0x1d1d
	v_cmpx_ne_u16_e32 0, v22
	s_cbranch_execz .LBB6_15216
; %bb.15207:                            ;   in Loop: Header=BB6_14012 Depth=2
	v_bfrev_b32_e32 v0, 1
	s_mov_b32 s10, exec_lo
	v_cmpx_ne_u16_e32 0xff80, v22
	s_cbranch_execz .LBB6_15215
; %bb.15208:                            ;   in Loop: Header=BB6_14012 Depth=2
	v_and_b32_e32 v0, 0x7c, v22
	v_and_b32_e32 v5, 3, v22
	s_delay_alu instid0(VALU_DEP_2) | instskip(SKIP_1) | instid1(SALU_CYCLE_1)
	v_cmp_ne_u32_e32 vcc_lo, 0x7c, v0
                                        ; implicit-def: $vgpr0
	s_and_saveexec_b32 s11, vcc_lo
	s_xor_b32 s11, exec_lo, s11
	s_cbranch_execz .LBB6_15212
; %bb.15209:                            ;   in Loop: Header=BB6_14012 Depth=2
	v_and_b32_e32 v0, 0xff, v22
	s_mov_b32 s28, exec_lo
	s_delay_alu instid0(VALU_DEP_1) | instskip(NEXT) | instid1(VALU_DEP_1)
	v_bfe_u32 v0, v0, 2, 5
	v_cmpx_eq_u32_e32 0, v0
	s_cbranch_execz .LBB6_15211
; %bb.15210:                            ;   in Loop: Header=BB6_14012 Depth=2
	v_clz_i32_u32_e32 v0, v5
	s_delay_alu instid0(VALU_DEP_1) | instskip(SKIP_1) | instid1(VALU_DEP_2)
	v_min_u32_e32 v0, 32, v0
	v_mov_b32_e32 v23, v1
	v_subrev_nc_u32_e32 v5, 29, v0
	v_sub_nc_u32_e32 v0, 30, v0
	s_delay_alu instid0(VALU_DEP_2) | instskip(NEXT) | instid1(VALU_DEP_1)
	v_lshlrev_b64_e32 v[24:25], v5, v[22:23]
	v_and_b32_e32 v5, 3, v24
.LBB6_15211:                            ;   in Loop: Header=BB6_14012 Depth=2
	s_or_b32 exec_lo, exec_lo, s28
	v_bfe_i32 v7, v22, 0, 16
                                        ; implicit-def: $vgpr22
	s_delay_alu instid0(VALU_DEP_1) | instskip(NEXT) | instid1(VALU_DEP_1)
	v_and_b32_e32 v7, 0x80000000, v7
	v_lshl_add_u32 v0, v0, 23, v7
	s_delay_alu instid0(VALU_DEP_1) | instskip(NEXT) | instid1(VALU_DEP_1)
	v_lshl_or_b32 v0, v5, 21, v0
                                        ; implicit-def: $vgpr5
	v_add_nc_u32_e32 v0, 0x38000000, v0
.LBB6_15212:                            ;   in Loop: Header=BB6_14012 Depth=2
	s_and_not1_saveexec_b32 s11, s11
; %bb.15213:                            ;   in Loop: Header=BB6_14012 Depth=2
	v_cmp_lt_i16_e32 vcc_lo, -1, v22
	v_mov_b32_e32 v0, 0x7f800000
	s_delay_alu instid0(VALU_DEP_1) | instskip(SKIP_1) | instid1(VALU_DEP_2)
	v_cndmask_b32_e32 v0, 0xff800000, v0, vcc_lo
	v_cmp_eq_u32_e32 vcc_lo, 0, v5
	v_cndmask_b32_e32 v0, 0x7f800001, v0, vcc_lo
; %bb.15214:                            ;   in Loop: Header=BB6_14012 Depth=2
	s_or_b32 exec_lo, exec_lo, s11
.LBB6_15215:                            ;   in Loop: Header=BB6_14012 Depth=2
	s_delay_alu instid0(SALU_CYCLE_1)
	s_or_b32 exec_lo, exec_lo, s10
.LBB6_15216:                            ;   in Loop: Header=BB6_14012 Depth=2
	s_delay_alu instid0(SALU_CYCLE_1) | instskip(NEXT) | instid1(VALU_DEP_1)
	s_or_b32 exec_lo, exec_lo, s7
	v_dual_add_f32 v5, v3, v0 :: v_dual_mov_b32 v23, v1
                                        ; implicit-def: $vgpr24
	s_mov_b32 s7, exec_lo
	s_delay_alu instid0(VALU_DEP_1) | instskip(SKIP_1) | instid1(VALU_DEP_2)
	v_and_b32_e32 v22, 0x7f800000, v5
	v_and_b32_e32 v0, 0x7fffff, v5
	v_cmpx_ne_u64_e32 0x7f800000, v[22:23]
	s_xor_b32 s10, exec_lo, s7
	s_cbranch_execz .LBB6_15234
; %bb.15217:                            ;   in Loop: Header=BB6_14012 Depth=2
	v_dual_mov_b32 v23, v1 :: v_dual_lshrrev_b32 v3, 24, v5
	v_and_b32_e32 v22, 0x7fffffff, v5
                                        ; implicit-def: $vgpr24
	s_mov_b32 s7, exec_lo
	s_delay_alu instid0(VALU_DEP_2) | instskip(NEXT) | instid1(VALU_DEP_2)
	v_and_b32_e32 v3, 0x80, v3
	v_cmpx_gt_u64_e32 0x47600001, v[22:23]
	s_xor_b32 s11, exec_lo, s7
	s_cbranch_execz .LBB6_15231
; %bb.15218:                            ;   in Loop: Header=BB6_14012 Depth=2
	v_mov_b32_e32 v24, 0
	s_mov_b32 s28, exec_lo
	v_cmpx_ne_u32_e32 0, v5
	s_cbranch_execz .LBB6_15230
; %bb.15219:                            ;   in Loop: Header=BB6_14012 Depth=2
	v_bfe_u32 v5, v5, 23, 8
	v_or_b32_e32 v9, 0x800000, v0
	v_mov_b32_e32 v23, v1
	s_delay_alu instid0(VALU_DEP_3) | instskip(SKIP_1) | instid1(VALU_DEP_4)
	v_cmp_eq_u32_e32 vcc_lo, 0, v5
	v_cmp_gt_u32_e64 s7, 0x72, v5
	v_dual_cndmask_b32 v22, v9, v0 :: v_dual_sub_nc_u32 v7, 0x71, v5
	s_delay_alu instid0(VALU_DEP_1) | instskip(NEXT) | instid1(VALU_DEP_1)
	v_cndmask_b32_e64 v7, 0, v7, s7
	v_cndmask_b32_e64 v7, v7, 0x70, vcc_lo
	s_delay_alu instid0(VALU_DEP_1) | instskip(NEXT) | instid1(VALU_DEP_1)
	v_add_nc_u32_e32 v0, 21, v7
	v_lshlrev_b64_e64 v[24:25], v0, -1
	v_add_nc_u32_e32 v0, 20, v7
	s_delay_alu instid0(VALU_DEP_1) | instskip(NEXT) | instid1(VALU_DEP_3)
	v_lshlrev_b64_e64 v[28:29], v0, 1
	v_bfi_b32 v24, v24, 0, v22
	v_lshrrev_b64 v[22:23], v7, v[22:23]
	v_bfi_b32 v25, v25, 0, 0
	s_delay_alu instid0(VALU_DEP_1) | instskip(NEXT) | instid1(VALU_DEP_3)
	v_cmp_eq_u64_e64 s7, v[24:25], v[28:29]
	v_mov_b64_e32 v[24:25], v[22:23]
	s_and_saveexec_b32 s29, s7
; %bb.15220:                            ;   in Loop: Header=BB6_14012 Depth=2
	v_bfe_u32 v24, v22, 21, 1
	v_mov_b32_e32 v25, v1
	s_delay_alu instid0(VALU_DEP_1) | instskip(NEXT) | instid1(VALU_DEP_1)
	v_add_nc_u64_e32 v[24:25], v[22:23], v[24:25]
	v_add_nc_u64_e32 v[24:25], -1, v[24:25]
; %bb.15221:                            ;   in Loop: Header=BB6_14012 Depth=2
	s_or_b32 exec_lo, exec_lo, s29
	v_add_nc_u32_e32 v0, 0xffffff81, v5
	s_delay_alu instid0(VALU_DEP_2) | instskip(SKIP_2) | instid1(VALU_DEP_3)
	v_and_b32_e32 v17, 0x1fffff, v24
	v_lshrrev_b32_e32 v5, 23, v22
	s_mov_b32 s7, exec_lo
	v_cndmask_b32_e64 v0, v0, 0xffffff82, vcc_lo
	s_delay_alu instid0(VALU_DEP_1) | instskip(SKIP_1) | instid1(VALU_DEP_2)
	v_add3_u32 v9, v7, v0, v5
	v_add_nc_u32_e32 v0, v17, v22
                                        ; implicit-def: $vgpr22_vgpr23
                                        ; implicit-def: $vgpr5
	v_add_nc_u32_e32 v7, 14, v9
	s_delay_alu instid0(VALU_DEP_1)
	v_cmpx_ne_u32_e32 0, v7
	s_xor_b32 s7, exec_lo, s7
; %bb.15222:                            ;   in Loop: Header=BB6_14012 Depth=2
	s_delay_alu instid0(VALU_DEP_3) | instskip(SKIP_1) | instid1(VALU_DEP_1)
	v_cmp_lt_u64_e32 vcc_lo, 0xffffff, v[0:1]
	v_add_nc_u32_e32 v5, 15, v9
	v_cndmask_b32_e32 v5, v7, v5, vcc_lo
	v_cndmask_b32_e64 v7, 0, 1, vcc_lo
	s_delay_alu instid0(VALU_DEP_1)
	v_lshrrev_b64 v[22:23], v7, v[0:1]
; %bb.15223:                            ;   in Loop: Header=BB6_14012 Depth=2
	s_and_not1_saveexec_b32 s7, s7
; %bb.15224:                            ;   in Loop: Header=BB6_14012 Depth=2
	v_mov_b64_e32 v[22:23], v[0:1]
	v_bfe_u32 v5, v0, 23, 1
; %bb.15225:                            ;   in Loop: Header=BB6_14012 Depth=2
	s_or_b32 exec_lo, exec_lo, s7
	s_delay_alu instid0(VALU_DEP_2) | instskip(NEXT) | instid1(VALU_DEP_2)
	v_lshrrev_b64 v[22:23], 21, v[22:23]
	v_cmp_gt_i32_e32 vcc_lo, 32, v5
	v_cmp_ne_u32_e64 s7, 0, v5
                                        ; implicit-def: $vgpr24
	s_delay_alu instid0(VALU_DEP_3) | instskip(NEXT) | instid1(VALU_DEP_1)
	v_dual_cndmask_b32 v23, 0, v23 :: v_dual_cndmask_b32 v22, 3, v22
	v_cmp_ne_u64_e32 vcc_lo, 0, v[22:23]
	s_or_b32 s7, s7, vcc_lo
	s_delay_alu instid0(SALU_CYCLE_1) | instskip(NEXT) | instid1(SALU_CYCLE_1)
	s_and_saveexec_b32 s29, s7
	s_xor_b32 s7, exec_lo, s29
; %bb.15226:                            ;   in Loop: Header=BB6_14012 Depth=2
	v_min_i32_e32 v0, 31, v5
	s_delay_alu instid0(VALU_DEP_1) | instskip(NEXT) | instid1(VALU_DEP_1)
	v_lshl_or_b32 v0, v0, 2, v3
                                        ; implicit-def: $vgpr3
	v_and_or_b32 v24, v22, 3, v0
; %bb.15227:                            ;   in Loop: Header=BB6_14012 Depth=2
	s_and_not1_saveexec_b32 s7, s7
; %bb.15228:                            ;   in Loop: Header=BB6_14012 Depth=2
	v_mov_b32_e32 v24, v3
; %bb.15229:                            ;   in Loop: Header=BB6_14012 Depth=2
	s_or_b32 exec_lo, exec_lo, s7
.LBB6_15230:                            ;   in Loop: Header=BB6_14012 Depth=2
	s_delay_alu instid0(SALU_CYCLE_1)
	s_or_b32 exec_lo, exec_lo, s28
                                        ; implicit-def: $vgpr3
.LBB6_15231:                            ;   in Loop: Header=BB6_14012 Depth=2
	s_and_not1_saveexec_b32 s7, s11
; %bb.15232:                            ;   in Loop: Header=BB6_14012 Depth=2
	v_or_b32_e32 v24, 0x7b, v3
; %bb.15233:                            ;   in Loop: Header=BB6_14012 Depth=2
	s_or_b32 exec_lo, exec_lo, s7
                                        ; implicit-def: $vgpr5
.LBB6_15234:                            ;   in Loop: Header=BB6_14012 Depth=2
	s_and_not1_saveexec_b32 s7, s10
	s_cbranch_execz .LBB6_15240
; %bb.15235:                            ;   in Loop: Header=BB6_14012 Depth=2
	s_mov_b32 s10, exec_lo
                                        ; implicit-def: $vgpr24
	v_cmpx_ne_u64_e32 0, v[0:1]
	s_xor_b32 s10, exec_lo, s10
; %bb.15236:                            ;   in Loop: Header=BB6_14012 Depth=2
	v_lshrrev_b32_e32 v0, 24, v5
                                        ; implicit-def: $vgpr5
	s_delay_alu instid0(VALU_DEP_1)
	v_or_b32_e32 v24, 0x7f, v0
; %bb.15237:                            ;   in Loop: Header=BB6_14012 Depth=2
	s_and_not1_saveexec_b32 s10, s10
; %bb.15238:                            ;   in Loop: Header=BB6_14012 Depth=2
	v_cmp_lt_i32_e32 vcc_lo, -1, v5
	v_cndmask_b32_e64 v24, -4, 0x7c, vcc_lo
; %bb.15239:                            ;   in Loop: Header=BB6_14012 Depth=2
	s_or_b32 exec_lo, exec_lo, s10
.LBB6_15240:                            ;   in Loop: Header=BB6_14012 Depth=2
	s_delay_alu instid0(SALU_CYCLE_1) | instskip(SKIP_3) | instid1(VALU_DEP_2)
	s_or_b32 exec_lo, exec_lo, s7
	v_and_b32_e32 v7, 0xff, v120
	v_dual_mov_b32 v0, 0 :: v_dual_mov_b32 v3, 0
	s_mov_b32 s7, exec_lo
	v_cmpx_ne_u16_e32 0, v7
	s_cbranch_execz .LBB6_15250
; %bb.15241:                            ;   in Loop: Header=BB6_14012 Depth=2
	v_bfrev_b32_e32 v3, 1
	s_mov_b32 s10, exec_lo
	v_cmpx_ne_u16_e32 0x80, v7
	s_cbranch_execz .LBB6_15249
; %bb.15242:                            ;   in Loop: Header=BB6_14012 Depth=2
	v_and_b32_e32 v3, 0x7c, v120
	v_and_b32_e32 v5, 3, v120
	s_delay_alu instid0(VALU_DEP_2) | instskip(SKIP_1) | instid1(SALU_CYCLE_1)
	v_cmp_ne_u32_e32 vcc_lo, 0x7c, v3
                                        ; implicit-def: $vgpr3
	s_and_saveexec_b32 s11, vcc_lo
	s_xor_b32 s11, exec_lo, s11
	s_cbranch_execz .LBB6_15246
; %bb.15243:                            ;   in Loop: Header=BB6_14012 Depth=2
	v_bfe_u32 v3, v7, 2, 5
	s_mov_b32 s28, exec_lo
	s_delay_alu instid0(VALU_DEP_1)
	v_cmpx_eq_u32_e32 0, v3
	s_cbranch_execz .LBB6_15245
; %bb.15244:                            ;   in Loop: Header=BB6_14012 Depth=2
	v_clz_i32_u32_e32 v3, v5
	s_delay_alu instid0(VALU_DEP_1) | instskip(SKIP_1) | instid1(VALU_DEP_2)
	v_min_u32_e32 v3, 32, v3
	v_mov_b32_e32 v121, v1
	v_subrev_nc_u32_e32 v5, 29, v3
	v_sub_nc_u32_e32 v3, 30, v3
	s_delay_alu instid0(VALU_DEP_2) | instskip(NEXT) | instid1(VALU_DEP_1)
	v_lshlrev_b64_e32 v[22:23], v5, v[120:121]
	v_and_b32_e32 v5, 3, v22
.LBB6_15245:                            ;   in Loop: Header=BB6_14012 Depth=2
	s_or_b32 exec_lo, exec_lo, s28
	v_lshlrev_b32_e32 v7, 24, v120
                                        ; implicit-def: $vgpr120
	s_delay_alu instid0(VALU_DEP_1) | instskip(NEXT) | instid1(VALU_DEP_1)
	v_and_b32_e32 v7, 0x80000000, v7
	v_lshl_add_u32 v3, v3, 23, v7
	s_delay_alu instid0(VALU_DEP_1) | instskip(NEXT) | instid1(VALU_DEP_1)
	v_lshl_or_b32 v3, v5, 21, v3
                                        ; implicit-def: $vgpr5
	v_add_nc_u32_e32 v3, 0x38000000, v3
.LBB6_15246:                            ;   in Loop: Header=BB6_14012 Depth=2
	s_and_not1_saveexec_b32 s11, s11
; %bb.15247:                            ;   in Loop: Header=BB6_14012 Depth=2
	v_bfe_i32 v3, v120, 0, 8
	s_delay_alu instid0(VALU_DEP_1) | instskip(SKIP_1) | instid1(VALU_DEP_1)
	v_cmp_lt_i16_e32 vcc_lo, -1, v3
	v_mov_b32_e32 v3, 0x7f800000
	v_cndmask_b32_e32 v3, 0xff800000, v3, vcc_lo
	v_cmp_eq_u32_e32 vcc_lo, 0, v5
	s_delay_alu instid0(VALU_DEP_2)
	v_cndmask_b32_e32 v3, 0x7f800001, v3, vcc_lo
; %bb.15248:                            ;   in Loop: Header=BB6_14012 Depth=2
	s_or_b32 exec_lo, exec_lo, s11
.LBB6_15249:                            ;   in Loop: Header=BB6_14012 Depth=2
	s_delay_alu instid0(SALU_CYCLE_1)
	s_or_b32 exec_lo, exec_lo, s10
.LBB6_15250:                            ;   in Loop: Header=BB6_14012 Depth=2
	s_delay_alu instid0(SALU_CYCLE_1) | instskip(NEXT) | instid1(SALU_CYCLE_1)
	s_or_b32 exec_lo, exec_lo, s7
	s_mov_b32 s7, exec_lo
	s_wait_loadcnt_dscnt 0x1c1c
	v_cmpx_ne_u16_e32 0, v20
	s_cbranch_execz .LBB6_15260
; %bb.15251:                            ;   in Loop: Header=BB6_14012 Depth=2
	v_bfrev_b32_e32 v0, 1
	s_mov_b32 s10, exec_lo
	v_cmpx_ne_u16_e32 0xff80, v20
	s_cbranch_execz .LBB6_15259
; %bb.15252:                            ;   in Loop: Header=BB6_14012 Depth=2
	v_and_b32_e32 v0, 0x7c, v20
	v_and_b32_e32 v5, 3, v20
	s_delay_alu instid0(VALU_DEP_2) | instskip(SKIP_1) | instid1(SALU_CYCLE_1)
	v_cmp_ne_u32_e32 vcc_lo, 0x7c, v0
                                        ; implicit-def: $vgpr0
	s_and_saveexec_b32 s11, vcc_lo
	s_xor_b32 s11, exec_lo, s11
	s_cbranch_execz .LBB6_15256
; %bb.15253:                            ;   in Loop: Header=BB6_14012 Depth=2
	v_and_b32_e32 v0, 0xff, v20
	s_mov_b32 s28, exec_lo
	s_delay_alu instid0(VALU_DEP_1) | instskip(NEXT) | instid1(VALU_DEP_1)
	v_bfe_u32 v0, v0, 2, 5
	v_cmpx_eq_u32_e32 0, v0
	s_cbranch_execz .LBB6_15255
; %bb.15254:                            ;   in Loop: Header=BB6_14012 Depth=2
	v_clz_i32_u32_e32 v0, v5
	s_delay_alu instid0(VALU_DEP_1) | instskip(SKIP_1) | instid1(VALU_DEP_2)
	v_min_u32_e32 v0, 32, v0
	v_mov_b32_e32 v21, v1
	v_subrev_nc_u32_e32 v5, 29, v0
	v_sub_nc_u32_e32 v0, 30, v0
	s_delay_alu instid0(VALU_DEP_2) | instskip(NEXT) | instid1(VALU_DEP_1)
	v_lshlrev_b64_e32 v[22:23], v5, v[20:21]
	v_and_b32_e32 v5, 3, v22
.LBB6_15255:                            ;   in Loop: Header=BB6_14012 Depth=2
	s_or_b32 exec_lo, exec_lo, s28
	v_bfe_i32 v7, v20, 0, 16
                                        ; implicit-def: $vgpr20
	s_delay_alu instid0(VALU_DEP_1) | instskip(NEXT) | instid1(VALU_DEP_1)
	v_and_b32_e32 v7, 0x80000000, v7
	v_lshl_add_u32 v0, v0, 23, v7
	s_delay_alu instid0(VALU_DEP_1) | instskip(NEXT) | instid1(VALU_DEP_1)
	v_lshl_or_b32 v0, v5, 21, v0
                                        ; implicit-def: $vgpr5
	v_add_nc_u32_e32 v0, 0x38000000, v0
.LBB6_15256:                            ;   in Loop: Header=BB6_14012 Depth=2
	s_and_not1_saveexec_b32 s11, s11
; %bb.15257:                            ;   in Loop: Header=BB6_14012 Depth=2
	v_cmp_lt_i16_e32 vcc_lo, -1, v20
	v_mov_b32_e32 v0, 0x7f800000
	s_delay_alu instid0(VALU_DEP_1) | instskip(SKIP_1) | instid1(VALU_DEP_2)
	v_cndmask_b32_e32 v0, 0xff800000, v0, vcc_lo
	v_cmp_eq_u32_e32 vcc_lo, 0, v5
	v_cndmask_b32_e32 v0, 0x7f800001, v0, vcc_lo
; %bb.15258:                            ;   in Loop: Header=BB6_14012 Depth=2
	s_or_b32 exec_lo, exec_lo, s11
.LBB6_15259:                            ;   in Loop: Header=BB6_14012 Depth=2
	s_delay_alu instid0(SALU_CYCLE_1)
	s_or_b32 exec_lo, exec_lo, s10
.LBB6_15260:                            ;   in Loop: Header=BB6_14012 Depth=2
	s_delay_alu instid0(SALU_CYCLE_1) | instskip(NEXT) | instid1(VALU_DEP_1)
	s_or_b32 exec_lo, exec_lo, s7
	v_dual_add_f32 v5, v3, v0 :: v_dual_mov_b32 v21, v1
	s_delay_alu instid0(VALU_DEP_1) | instskip(SKIP_1) | instid1(VALU_DEP_2)
	v_and_b32_e32 v20, 0x7f800000, v5
	v_and_b32_e32 v0, 0x7fffff, v5
	v_cmp_ne_u64_e32 vcc_lo, 0x7f800000, v[20:21]
                                        ; implicit-def: $vgpr21
	s_and_saveexec_b32 s7, vcc_lo
	s_delay_alu instid0(SALU_CYCLE_1)
	s_xor_b32 s10, exec_lo, s7
	s_cbranch_execz .LBB6_15278
; %bb.15261:                            ;   in Loop: Header=BB6_14012 Depth=2
	v_and_b32_e32 v20, 0x7fffffff, v5
	v_dual_mov_b32 v21, v1 :: v_dual_lshrrev_b32 v3, 24, v5
	s_delay_alu instid0(VALU_DEP_1) | instskip(NEXT) | instid1(VALU_DEP_2)
	v_cmp_gt_u64_e32 vcc_lo, 0x47600001, v[20:21]
	v_and_b32_e32 v3, 0x80, v3
                                        ; implicit-def: $vgpr21
	s_and_saveexec_b32 s7, vcc_lo
	s_delay_alu instid0(SALU_CYCLE_1)
	s_xor_b32 s11, exec_lo, s7
	s_cbranch_execz .LBB6_15275
; %bb.15262:                            ;   in Loop: Header=BB6_14012 Depth=2
	v_mov_b32_e32 v21, 0
	s_mov_b32 s28, exec_lo
	v_cmpx_ne_u32_e32 0, v5
	s_cbranch_execz .LBB6_15274
; %bb.15263:                            ;   in Loop: Header=BB6_14012 Depth=2
	v_bfe_u32 v5, v5, 23, 8
	v_or_b32_e32 v9, 0x800000, v0
	v_mov_b32_e32 v21, v1
	s_delay_alu instid0(VALU_DEP_3) | instskip(SKIP_1) | instid1(VALU_DEP_4)
	v_cmp_eq_u32_e32 vcc_lo, 0, v5
	v_cmp_gt_u32_e64 s7, 0x72, v5
	v_dual_cndmask_b32 v20, v9, v0 :: v_dual_sub_nc_u32 v7, 0x71, v5
	s_delay_alu instid0(VALU_DEP_1) | instskip(NEXT) | instid1(VALU_DEP_1)
	v_cndmask_b32_e64 v7, 0, v7, s7
	v_cndmask_b32_e64 v7, v7, 0x70, vcc_lo
	s_delay_alu instid0(VALU_DEP_1) | instskip(NEXT) | instid1(VALU_DEP_1)
	v_add_nc_u32_e32 v0, 21, v7
	v_lshlrev_b64_e64 v[22:23], v0, -1
	v_add_nc_u32_e32 v0, 20, v7
	s_delay_alu instid0(VALU_DEP_1) | instskip(NEXT) | instid1(VALU_DEP_3)
	v_lshlrev_b64_e64 v[28:29], v0, 1
	v_bfi_b32 v22, v22, 0, v20
	v_lshrrev_b64 v[20:21], v7, v[20:21]
	v_bfi_b32 v23, v23, 0, 0
	s_delay_alu instid0(VALU_DEP_1) | instskip(NEXT) | instid1(VALU_DEP_3)
	v_cmp_eq_u64_e64 s7, v[22:23], v[28:29]
	v_mov_b64_e32 v[22:23], v[20:21]
	s_and_saveexec_b32 s29, s7
; %bb.15264:                            ;   in Loop: Header=BB6_14012 Depth=2
	v_bfe_u32 v22, v20, 21, 1
	v_mov_b32_e32 v23, v1
	s_delay_alu instid0(VALU_DEP_1) | instskip(NEXT) | instid1(VALU_DEP_1)
	v_add_nc_u64_e32 v[22:23], v[20:21], v[22:23]
	v_add_nc_u64_e32 v[22:23], -1, v[22:23]
; %bb.15265:                            ;   in Loop: Header=BB6_14012 Depth=2
	s_or_b32 exec_lo, exec_lo, s29
	v_add_nc_u32_e32 v0, 0xffffff81, v5
	s_delay_alu instid0(VALU_DEP_2) | instskip(SKIP_2) | instid1(VALU_DEP_3)
	v_and_b32_e32 v9, 0x1fffff, v22
	v_lshrrev_b32_e32 v5, 23, v20
	s_mov_b32 s7, exec_lo
	v_cndmask_b32_e64 v0, v0, 0xffffff82, vcc_lo
	s_delay_alu instid0(VALU_DEP_1) | instskip(SKIP_1) | instid1(VALU_DEP_2)
	v_add3_u32 v7, v7, v0, v5
	v_add_nc_u32_e32 v0, v9, v20
                                        ; implicit-def: $vgpr20_vgpr21
                                        ; implicit-def: $vgpr5
	v_add_nc_u32_e32 v9, 14, v7
	s_delay_alu instid0(VALU_DEP_1)
	v_cmpx_ne_u32_e32 0, v9
	s_xor_b32 s7, exec_lo, s7
; %bb.15266:                            ;   in Loop: Header=BB6_14012 Depth=2
	s_delay_alu instid0(VALU_DEP_3) | instskip(SKIP_2) | instid1(VALU_DEP_2)
	v_cmp_lt_u64_e32 vcc_lo, 0xffffff, v[0:1]
	v_add_nc_u32_e32 v5, 15, v7
	v_cndmask_b32_e64 v7, 0, 1, vcc_lo
	v_cndmask_b32_e32 v5, v9, v5, vcc_lo
	s_delay_alu instid0(VALU_DEP_2)
	v_lshrrev_b64 v[20:21], v7, v[0:1]
; %bb.15267:                            ;   in Loop: Header=BB6_14012 Depth=2
	s_and_not1_saveexec_b32 s7, s7
; %bb.15268:                            ;   in Loop: Header=BB6_14012 Depth=2
	v_mov_b64_e32 v[20:21], v[0:1]
	v_bfe_u32 v5, v0, 23, 1
; %bb.15269:                            ;   in Loop: Header=BB6_14012 Depth=2
	s_or_b32 exec_lo, exec_lo, s7
	s_delay_alu instid0(VALU_DEP_2) | instskip(NEXT) | instid1(VALU_DEP_2)
	v_lshrrev_b64 v[20:21], 21, v[20:21]
	v_cmp_gt_i32_e32 vcc_lo, 32, v5
	v_cmp_ne_u32_e64 s7, 0, v5
	s_delay_alu instid0(VALU_DEP_3) | instskip(NEXT) | instid1(VALU_DEP_1)
	v_dual_cndmask_b32 v21, 0, v21 :: v_dual_cndmask_b32 v20, 3, v20
	v_cmp_ne_u64_e32 vcc_lo, 0, v[20:21]
                                        ; implicit-def: $vgpr21
	s_or_b32 s7, s7, vcc_lo
	s_delay_alu instid0(SALU_CYCLE_1) | instskip(NEXT) | instid1(SALU_CYCLE_1)
	s_and_saveexec_b32 s29, s7
	s_xor_b32 s7, exec_lo, s29
; %bb.15270:                            ;   in Loop: Header=BB6_14012 Depth=2
	v_min_i32_e32 v0, 31, v5
	s_delay_alu instid0(VALU_DEP_1) | instskip(NEXT) | instid1(VALU_DEP_1)
	v_lshl_or_b32 v0, v0, 2, v3
                                        ; implicit-def: $vgpr3
	v_and_or_b32 v21, v20, 3, v0
; %bb.15271:                            ;   in Loop: Header=BB6_14012 Depth=2
	s_and_not1_saveexec_b32 s7, s7
; %bb.15272:                            ;   in Loop: Header=BB6_14012 Depth=2
	v_mov_b32_e32 v21, v3
; %bb.15273:                            ;   in Loop: Header=BB6_14012 Depth=2
	s_or_b32 exec_lo, exec_lo, s7
.LBB6_15274:                            ;   in Loop: Header=BB6_14012 Depth=2
	s_delay_alu instid0(SALU_CYCLE_1)
	s_or_b32 exec_lo, exec_lo, s28
                                        ; implicit-def: $vgpr3
.LBB6_15275:                            ;   in Loop: Header=BB6_14012 Depth=2
	s_and_not1_saveexec_b32 s7, s11
; %bb.15276:                            ;   in Loop: Header=BB6_14012 Depth=2
	v_or_b32_e32 v21, 0x7b, v3
; %bb.15277:                            ;   in Loop: Header=BB6_14012 Depth=2
	s_or_b32 exec_lo, exec_lo, s7
                                        ; implicit-def: $vgpr5
.LBB6_15278:                            ;   in Loop: Header=BB6_14012 Depth=2
	s_and_not1_saveexec_b32 s7, s10
	s_cbranch_execz .LBB6_15284
; %bb.15279:                            ;   in Loop: Header=BB6_14012 Depth=2
	s_mov_b32 s10, exec_lo
                                        ; implicit-def: $vgpr21
	v_cmpx_ne_u64_e32 0, v[0:1]
	s_xor_b32 s10, exec_lo, s10
; %bb.15280:                            ;   in Loop: Header=BB6_14012 Depth=2
	v_lshrrev_b32_e32 v0, 24, v5
                                        ; implicit-def: $vgpr5
	s_delay_alu instid0(VALU_DEP_1)
	v_or_b32_e32 v21, 0x7f, v0
; %bb.15281:                            ;   in Loop: Header=BB6_14012 Depth=2
	s_and_not1_saveexec_b32 s10, s10
; %bb.15282:                            ;   in Loop: Header=BB6_14012 Depth=2
	v_cmp_lt_i32_e32 vcc_lo, -1, v5
	v_cndmask_b32_e64 v21, -4, 0x7c, vcc_lo
; %bb.15283:                            ;   in Loop: Header=BB6_14012 Depth=2
	s_or_b32 exec_lo, exec_lo, s10
.LBB6_15284:                            ;   in Loop: Header=BB6_14012 Depth=2
	s_delay_alu instid0(SALU_CYCLE_1) | instskip(SKIP_3) | instid1(VALU_DEP_2)
	s_or_b32 exec_lo, exec_lo, s7
	v_and_b32_e32 v7, 0xff, v2
	v_dual_mov_b32 v0, 0 :: v_dual_mov_b32 v3, 0
	s_mov_b32 s7, exec_lo
	v_cmpx_ne_u16_e32 0, v7
	s_cbranch_execz .LBB6_15294
; %bb.15285:                            ;   in Loop: Header=BB6_14012 Depth=2
	v_bfrev_b32_e32 v3, 1
	s_mov_b32 s10, exec_lo
	v_cmpx_ne_u16_e32 0x80, v7
	s_cbranch_execz .LBB6_15293
; %bb.15286:                            ;   in Loop: Header=BB6_14012 Depth=2
	v_and_b32_e32 v3, 0x7c, v2
	v_and_b32_e32 v5, 3, v2
	s_delay_alu instid0(VALU_DEP_2) | instskip(SKIP_1) | instid1(SALU_CYCLE_1)
	v_cmp_ne_u32_e32 vcc_lo, 0x7c, v3
                                        ; implicit-def: $vgpr3
	s_and_saveexec_b32 s11, vcc_lo
	s_xor_b32 s11, exec_lo, s11
	s_cbranch_execz .LBB6_15290
; %bb.15287:                            ;   in Loop: Header=BB6_14012 Depth=2
	v_bfe_u32 v3, v7, 2, 5
	s_mov_b32 s28, exec_lo
	s_delay_alu instid0(VALU_DEP_1)
	v_cmpx_eq_u32_e32 0, v3
; %bb.15288:                            ;   in Loop: Header=BB6_14012 Depth=2
	v_clz_i32_u32_e32 v3, v5
	s_delay_alu instid0(VALU_DEP_1) | instskip(SKIP_1) | instid1(VALU_DEP_2)
	v_min_u32_e32 v5, 32, v3
	v_mov_b32_e32 v3, v1
	v_subrev_nc_u32_e32 v7, 29, v5
	s_delay_alu instid0(VALU_DEP_1) | instskip(NEXT) | instid1(VALU_DEP_1)
	v_lshlrev_b64_e32 v[22:23], v7, v[2:3]
	v_dual_sub_nc_u32 v3, 30, v5 :: v_dual_bitop2_b32 v5, 3, v22 bitop3:0x40
; %bb.15289:                            ;   in Loop: Header=BB6_14012 Depth=2
	s_or_b32 exec_lo, exec_lo, s28
	v_lshlrev_b32_e32 v2, 24, v2
	s_delay_alu instid0(VALU_DEP_1) | instskip(NEXT) | instid1(VALU_DEP_1)
	v_and_b32_e32 v2, 0x80000000, v2
	v_lshl_add_u32 v2, v3, 23, v2
	s_delay_alu instid0(VALU_DEP_1) | instskip(NEXT) | instid1(VALU_DEP_1)
	v_lshl_or_b32 v2, v5, 21, v2
                                        ; implicit-def: $vgpr5
	v_add_nc_u32_e32 v3, 0x38000000, v2
                                        ; implicit-def: $vgpr2
.LBB6_15290:                            ;   in Loop: Header=BB6_14012 Depth=2
	s_and_not1_saveexec_b32 s11, s11
; %bb.15291:                            ;   in Loop: Header=BB6_14012 Depth=2
	v_bfe_i32 v2, v2, 0, 8
	s_delay_alu instid0(VALU_DEP_1) | instskip(SKIP_1) | instid1(VALU_DEP_1)
	v_cmp_lt_i16_e32 vcc_lo, -1, v2
	v_mov_b32_e32 v2, 0x7f800000
	v_cndmask_b32_e32 v2, 0xff800000, v2, vcc_lo
	v_cmp_eq_u32_e32 vcc_lo, 0, v5
	s_delay_alu instid0(VALU_DEP_2)
	v_cndmask_b32_e32 v3, 0x7f800001, v2, vcc_lo
; %bb.15292:                            ;   in Loop: Header=BB6_14012 Depth=2
	s_or_b32 exec_lo, exec_lo, s11
.LBB6_15293:                            ;   in Loop: Header=BB6_14012 Depth=2
	s_delay_alu instid0(SALU_CYCLE_1)
	s_or_b32 exec_lo, exec_lo, s10
.LBB6_15294:                            ;   in Loop: Header=BB6_14012 Depth=2
	s_delay_alu instid0(SALU_CYCLE_1) | instskip(NEXT) | instid1(SALU_CYCLE_1)
	s_or_b32 exec_lo, exec_lo, s7
	s_mov_b32 s7, exec_lo
	s_wait_loadcnt_dscnt 0x1b1b
	v_cmpx_ne_u16_e32 0, v16
	s_cbranch_execz .LBB6_15304
; %bb.15295:                            ;   in Loop: Header=BB6_14012 Depth=2
	v_bfrev_b32_e32 v0, 1
	s_mov_b32 s10, exec_lo
	v_cmpx_ne_u16_e32 0xff80, v16
	s_cbranch_execz .LBB6_15303
; %bb.15296:                            ;   in Loop: Header=BB6_14012 Depth=2
	v_and_b32_e32 v0, 0x7c, v16
	v_and_b32_e32 v2, 3, v16
	s_delay_alu instid0(VALU_DEP_2) | instskip(SKIP_1) | instid1(SALU_CYCLE_1)
	v_cmp_ne_u32_e32 vcc_lo, 0x7c, v0
                                        ; implicit-def: $vgpr0
	s_and_saveexec_b32 s11, vcc_lo
	s_xor_b32 s11, exec_lo, s11
	s_cbranch_execz .LBB6_15300
; %bb.15297:                            ;   in Loop: Header=BB6_14012 Depth=2
	v_and_b32_e32 v0, 0xff, v16
	s_mov_b32 s28, exec_lo
	s_delay_alu instid0(VALU_DEP_1) | instskip(NEXT) | instid1(VALU_DEP_1)
	v_bfe_u32 v0, v0, 2, 5
	v_cmpx_eq_u32_e32 0, v0
	s_cbranch_execz .LBB6_15299
; %bb.15298:                            ;   in Loop: Header=BB6_14012 Depth=2
	v_clz_i32_u32_e32 v0, v2
	s_delay_alu instid0(VALU_DEP_1) | instskip(SKIP_1) | instid1(VALU_DEP_2)
	v_min_u32_e32 v0, 32, v0
	v_mov_b32_e32 v17, v1
	v_subrev_nc_u32_e32 v2, 29, v0
	v_sub_nc_u32_e32 v0, 30, v0
	s_delay_alu instid0(VALU_DEP_2) | instskip(NEXT) | instid1(VALU_DEP_1)
	v_lshlrev_b64_e32 v[22:23], v2, v[16:17]
	v_and_b32_e32 v2, 3, v22
.LBB6_15299:                            ;   in Loop: Header=BB6_14012 Depth=2
	s_or_b32 exec_lo, exec_lo, s28
	v_bfe_i32 v5, v16, 0, 16
                                        ; implicit-def: $vgpr16
	s_delay_alu instid0(VALU_DEP_1) | instskip(NEXT) | instid1(VALU_DEP_1)
	v_and_b32_e32 v5, 0x80000000, v5
	v_lshl_add_u32 v0, v0, 23, v5
	s_delay_alu instid0(VALU_DEP_1) | instskip(NEXT) | instid1(VALU_DEP_1)
	v_lshl_or_b32 v0, v2, 21, v0
                                        ; implicit-def: $vgpr2
	v_add_nc_u32_e32 v0, 0x38000000, v0
.LBB6_15300:                            ;   in Loop: Header=BB6_14012 Depth=2
	s_and_not1_saveexec_b32 s11, s11
; %bb.15301:                            ;   in Loop: Header=BB6_14012 Depth=2
	v_cmp_lt_i16_e32 vcc_lo, -1, v16
	v_mov_b32_e32 v0, 0x7f800000
	s_delay_alu instid0(VALU_DEP_1) | instskip(SKIP_1) | instid1(VALU_DEP_2)
	v_cndmask_b32_e32 v0, 0xff800000, v0, vcc_lo
	v_cmp_eq_u32_e32 vcc_lo, 0, v2
	v_cndmask_b32_e32 v0, 0x7f800001, v0, vcc_lo
; %bb.15302:                            ;   in Loop: Header=BB6_14012 Depth=2
	s_or_b32 exec_lo, exec_lo, s11
.LBB6_15303:                            ;   in Loop: Header=BB6_14012 Depth=2
	s_delay_alu instid0(SALU_CYCLE_1)
	s_or_b32 exec_lo, exec_lo, s10
.LBB6_15304:                            ;   in Loop: Header=BB6_14012 Depth=2
	s_delay_alu instid0(SALU_CYCLE_1) | instskip(NEXT) | instid1(VALU_DEP_1)
	s_or_b32 exec_lo, exec_lo, s7
	v_dual_add_f32 v2, v3, v0 :: v_dual_mov_b32 v17, v1
                                        ; implicit-def: $vgpr20
	s_mov_b32 s7, exec_lo
	s_delay_alu instid0(VALU_DEP_1) | instskip(SKIP_1) | instid1(VALU_DEP_2)
	v_and_b32_e32 v16, 0x7f800000, v2
	v_and_b32_e32 v0, 0x7fffff, v2
	v_cmpx_ne_u64_e32 0x7f800000, v[16:17]
	s_xor_b32 s10, exec_lo, s7
	s_cbranch_execz .LBB6_15322
; %bb.15305:                            ;   in Loop: Header=BB6_14012 Depth=2
	v_dual_mov_b32 v17, v1 :: v_dual_lshrrev_b32 v3, 24, v2
	v_and_b32_e32 v16, 0x7fffffff, v2
                                        ; implicit-def: $vgpr20
	s_mov_b32 s7, exec_lo
	s_delay_alu instid0(VALU_DEP_2) | instskip(NEXT) | instid1(VALU_DEP_2)
	v_and_b32_e32 v5, 0x80, v3
	v_cmpx_gt_u64_e32 0x47600001, v[16:17]
	s_xor_b32 s11, exec_lo, s7
	s_cbranch_execz .LBB6_15319
; %bb.15306:                            ;   in Loop: Header=BB6_14012 Depth=2
	v_mov_b32_e32 v20, 0
	s_mov_b32 s28, exec_lo
	v_cmpx_ne_u32_e32 0, v2
	s_cbranch_execz .LBB6_15318
; %bb.15307:                            ;   in Loop: Header=BB6_14012 Depth=2
	v_bfe_u32 v7, v2, 23, 8
	v_or_b32_e32 v3, 0x800000, v0
	s_delay_alu instid0(VALU_DEP_2) | instskip(SKIP_2) | instid1(VALU_DEP_2)
	v_cmp_gt_u32_e64 s7, 0x72, v7
	v_sub_nc_u32_e32 v2, 0x71, v7
	v_cmp_eq_u32_e32 vcc_lo, 0, v7
	v_cndmask_b32_e64 v2, 0, v2, s7
	s_delay_alu instid0(VALU_DEP_1) | instskip(SKIP_1) | instid1(VALU_DEP_2)
	v_cndmask_b32_e64 v9, v2, 0x70, vcc_lo
	v_dual_cndmask_b32 v2, v3, v0 :: v_dual_mov_b32 v3, v1
	v_add_nc_u32_e32 v0, 21, v9
	s_delay_alu instid0(VALU_DEP_1) | instskip(SKIP_1) | instid1(VALU_DEP_1)
	v_lshlrev_b64_e64 v[16:17], v0, -1
	v_add_nc_u32_e32 v0, 20, v9
	v_lshlrev_b64_e64 v[22:23], v0, 1
	s_delay_alu instid0(VALU_DEP_3) | instskip(SKIP_2) | instid1(VALU_DEP_1)
	v_bfi_b32 v16, v16, 0, v2
	v_lshrrev_b64 v[2:3], v9, v[2:3]
	v_bfi_b32 v17, v17, 0, 0
	v_cmp_eq_u64_e64 s7, v[16:17], v[22:23]
	s_delay_alu instid0(VALU_DEP_3)
	v_mov_b64_e32 v[16:17], v[2:3]
	s_and_saveexec_b32 s29, s7
; %bb.15308:                            ;   in Loop: Header=BB6_14012 Depth=2
	v_bfe_u32 v16, v2, 21, 1
	v_mov_b32_e32 v17, v1
	s_delay_alu instid0(VALU_DEP_1) | instskip(NEXT) | instid1(VALU_DEP_1)
	v_add_nc_u64_e32 v[16:17], v[2:3], v[16:17]
	v_add_nc_u64_e32 v[16:17], -1, v[16:17]
; %bb.15309:                            ;   in Loop: Header=BB6_14012 Depth=2
	s_or_b32 exec_lo, exec_lo, s29
	v_add_nc_u32_e32 v0, 0xffffff81, v7
	s_delay_alu instid0(VALU_DEP_2) | instskip(SKIP_2) | instid1(VALU_DEP_3)
	v_and_b32_e32 v7, 0x1fffff, v16
	v_lshrrev_b32_e32 v3, 23, v2
	s_mov_b32 s7, exec_lo
	v_cndmask_b32_e64 v0, v0, 0xffffff82, vcc_lo
	s_delay_alu instid0(VALU_DEP_1) | instskip(SKIP_1) | instid1(VALU_DEP_2)
	v_add3_u32 v9, v9, v0, v3
	v_add_nc_u32_e32 v0, v7, v2
                                        ; implicit-def: $vgpr2_vgpr3
                                        ; implicit-def: $vgpr7
	v_add_nc_u32_e32 v16, 14, v9
	s_delay_alu instid0(VALU_DEP_1)
	v_cmpx_ne_u32_e32 0, v16
	s_xor_b32 s7, exec_lo, s7
; %bb.15310:                            ;   in Loop: Header=BB6_14012 Depth=2
	s_delay_alu instid0(VALU_DEP_3) | instskip(SKIP_1) | instid1(VALU_DEP_1)
	v_cmp_lt_u64_e32 vcc_lo, 0xffffff, v[0:1]
	v_add_nc_u32_e32 v2, 15, v9
	v_cndmask_b32_e32 v7, v16, v2, vcc_lo
	v_cndmask_b32_e64 v2, 0, 1, vcc_lo
	s_delay_alu instid0(VALU_DEP_1)
	v_lshrrev_b64 v[2:3], v2, v[0:1]
; %bb.15311:                            ;   in Loop: Header=BB6_14012 Depth=2
	s_and_not1_saveexec_b32 s7, s7
; %bb.15312:                            ;   in Loop: Header=BB6_14012 Depth=2
	v_mov_b64_e32 v[2:3], v[0:1]
	v_bfe_u32 v7, v0, 23, 1
; %bb.15313:                            ;   in Loop: Header=BB6_14012 Depth=2
	s_or_b32 exec_lo, exec_lo, s7
	s_delay_alu instid0(VALU_DEP_2) | instskip(NEXT) | instid1(VALU_DEP_2)
	v_lshrrev_b64 v[2:3], 21, v[2:3]
	v_cmp_gt_i32_e32 vcc_lo, 32, v7
	v_cmp_ne_u32_e64 s7, 0, v7
                                        ; implicit-def: $vgpr20
	s_delay_alu instid0(VALU_DEP_3) | instskip(NEXT) | instid1(VALU_DEP_1)
	v_dual_cndmask_b32 v3, 0, v3 :: v_dual_cndmask_b32 v2, 3, v2
	v_cmp_ne_u64_e32 vcc_lo, 0, v[2:3]
	s_or_b32 s7, s7, vcc_lo
	s_delay_alu instid0(SALU_CYCLE_1) | instskip(NEXT) | instid1(SALU_CYCLE_1)
	s_and_saveexec_b32 s29, s7
	s_xor_b32 s7, exec_lo, s29
; %bb.15314:                            ;   in Loop: Header=BB6_14012 Depth=2
	v_min_i32_e32 v0, 31, v7
	s_delay_alu instid0(VALU_DEP_1) | instskip(NEXT) | instid1(VALU_DEP_1)
	v_lshl_or_b32 v0, v0, 2, v5
                                        ; implicit-def: $vgpr5
	v_and_or_b32 v20, v2, 3, v0
; %bb.15315:                            ;   in Loop: Header=BB6_14012 Depth=2
	s_and_not1_saveexec_b32 s7, s7
; %bb.15316:                            ;   in Loop: Header=BB6_14012 Depth=2
	v_mov_b32_e32 v20, v5
; %bb.15317:                            ;   in Loop: Header=BB6_14012 Depth=2
	s_or_b32 exec_lo, exec_lo, s7
.LBB6_15318:                            ;   in Loop: Header=BB6_14012 Depth=2
	s_delay_alu instid0(SALU_CYCLE_1)
	s_or_b32 exec_lo, exec_lo, s28
                                        ; implicit-def: $vgpr5
.LBB6_15319:                            ;   in Loop: Header=BB6_14012 Depth=2
	s_and_not1_saveexec_b32 s7, s11
; %bb.15320:                            ;   in Loop: Header=BB6_14012 Depth=2
	v_or_b32_e32 v20, 0x7b, v5
; %bb.15321:                            ;   in Loop: Header=BB6_14012 Depth=2
	s_or_b32 exec_lo, exec_lo, s7
                                        ; implicit-def: $vgpr2
.LBB6_15322:                            ;   in Loop: Header=BB6_14012 Depth=2
	s_and_not1_saveexec_b32 s7, s10
	s_cbranch_execz .LBB6_15328
; %bb.15323:                            ;   in Loop: Header=BB6_14012 Depth=2
	s_mov_b32 s10, exec_lo
                                        ; implicit-def: $vgpr20
	v_cmpx_ne_u64_e32 0, v[0:1]
	s_xor_b32 s10, exec_lo, s10
; %bb.15324:                            ;   in Loop: Header=BB6_14012 Depth=2
	v_lshrrev_b32_e32 v0, 24, v2
                                        ; implicit-def: $vgpr2
	s_delay_alu instid0(VALU_DEP_1)
	v_or_b32_e32 v20, 0x7f, v0
; %bb.15325:                            ;   in Loop: Header=BB6_14012 Depth=2
	s_and_not1_saveexec_b32 s10, s10
; %bb.15326:                            ;   in Loop: Header=BB6_14012 Depth=2
	v_cmp_lt_i32_e32 vcc_lo, -1, v2
	v_cndmask_b32_e64 v20, -4, 0x7c, vcc_lo
; %bb.15327:                            ;   in Loop: Header=BB6_14012 Depth=2
	s_or_b32 exec_lo, exec_lo, s10
.LBB6_15328:                            ;   in Loop: Header=BB6_14012 Depth=2
	s_delay_alu instid0(SALU_CYCLE_1) | instskip(SKIP_3) | instid1(VALU_DEP_2)
	s_or_b32 exec_lo, exec_lo, s7
	v_and_b32_e32 v5, 0xff, v108
	v_dual_mov_b32 v0, 0 :: v_dual_mov_b32 v2, 0
	s_mov_b32 s7, exec_lo
	v_cmpx_ne_u16_e32 0, v5
	s_cbranch_execz .LBB6_15338
; %bb.15329:                            ;   in Loop: Header=BB6_14012 Depth=2
	v_bfrev_b32_e32 v2, 1
	s_mov_b32 s10, exec_lo
	v_cmpx_ne_u16_e32 0x80, v5
	s_cbranch_execz .LBB6_15337
; %bb.15330:                            ;   in Loop: Header=BB6_14012 Depth=2
	v_and_b32_e32 v2, 0x7c, v108
	v_and_b32_e32 v3, 3, v108
	s_delay_alu instid0(VALU_DEP_2) | instskip(SKIP_1) | instid1(SALU_CYCLE_1)
	v_cmp_ne_u32_e32 vcc_lo, 0x7c, v2
                                        ; implicit-def: $vgpr2
	s_and_saveexec_b32 s11, vcc_lo
	s_xor_b32 s11, exec_lo, s11
	s_cbranch_execz .LBB6_15334
; %bb.15331:                            ;   in Loop: Header=BB6_14012 Depth=2
	v_bfe_u32 v2, v5, 2, 5
	s_mov_b32 s28, exec_lo
	s_delay_alu instid0(VALU_DEP_1)
	v_cmpx_eq_u32_e32 0, v2
	s_cbranch_execz .LBB6_15333
; %bb.15332:                            ;   in Loop: Header=BB6_14012 Depth=2
	v_clz_i32_u32_e32 v2, v3
	s_delay_alu instid0(VALU_DEP_1) | instskip(SKIP_1) | instid1(VALU_DEP_2)
	v_min_u32_e32 v2, 32, v2
	v_mov_b32_e32 v109, v1
	v_subrev_nc_u32_e32 v3, 29, v2
	v_sub_nc_u32_e32 v2, 30, v2
	s_delay_alu instid0(VALU_DEP_2) | instskip(NEXT) | instid1(VALU_DEP_1)
	v_lshlrev_b64_e32 v[16:17], v3, v[108:109]
	v_and_b32_e32 v3, 3, v16
.LBB6_15333:                            ;   in Loop: Header=BB6_14012 Depth=2
	s_or_b32 exec_lo, exec_lo, s28
	v_lshlrev_b32_e32 v5, 24, v108
                                        ; implicit-def: $vgpr108
	s_delay_alu instid0(VALU_DEP_1) | instskip(NEXT) | instid1(VALU_DEP_1)
	v_and_b32_e32 v5, 0x80000000, v5
	v_lshl_add_u32 v2, v2, 23, v5
	s_delay_alu instid0(VALU_DEP_1) | instskip(NEXT) | instid1(VALU_DEP_1)
	v_lshl_or_b32 v2, v3, 21, v2
                                        ; implicit-def: $vgpr3
	v_add_nc_u32_e32 v2, 0x38000000, v2
.LBB6_15334:                            ;   in Loop: Header=BB6_14012 Depth=2
	s_and_not1_saveexec_b32 s11, s11
; %bb.15335:                            ;   in Loop: Header=BB6_14012 Depth=2
	v_bfe_i32 v2, v108, 0, 8
	s_delay_alu instid0(VALU_DEP_1) | instskip(SKIP_1) | instid1(VALU_DEP_1)
	v_cmp_lt_i16_e32 vcc_lo, -1, v2
	v_mov_b32_e32 v2, 0x7f800000
	v_cndmask_b32_e32 v2, 0xff800000, v2, vcc_lo
	v_cmp_eq_u32_e32 vcc_lo, 0, v3
	s_delay_alu instid0(VALU_DEP_2)
	v_cndmask_b32_e32 v2, 0x7f800001, v2, vcc_lo
; %bb.15336:                            ;   in Loop: Header=BB6_14012 Depth=2
	s_or_b32 exec_lo, exec_lo, s11
.LBB6_15337:                            ;   in Loop: Header=BB6_14012 Depth=2
	s_delay_alu instid0(SALU_CYCLE_1)
	s_or_b32 exec_lo, exec_lo, s10
.LBB6_15338:                            ;   in Loop: Header=BB6_14012 Depth=2
	s_delay_alu instid0(SALU_CYCLE_1) | instskip(NEXT) | instid1(SALU_CYCLE_1)
	s_or_b32 exec_lo, exec_lo, s7
	s_mov_b32 s7, exec_lo
	s_wait_loadcnt_dscnt 0x1a1a
	v_cmpx_ne_u16_e32 0, v48
	s_cbranch_execz .LBB6_15348
; %bb.15339:                            ;   in Loop: Header=BB6_14012 Depth=2
	v_bfrev_b32_e32 v0, 1
	s_mov_b32 s10, exec_lo
	v_cmpx_ne_u16_e32 0xff80, v48
	s_cbranch_execz .LBB6_15347
; %bb.15340:                            ;   in Loop: Header=BB6_14012 Depth=2
	v_and_b32_e32 v0, 0x7c, v48
	v_and_b32_e32 v3, 3, v48
	s_delay_alu instid0(VALU_DEP_2) | instskip(SKIP_1) | instid1(SALU_CYCLE_1)
	v_cmp_ne_u32_e32 vcc_lo, 0x7c, v0
                                        ; implicit-def: $vgpr0
	s_and_saveexec_b32 s11, vcc_lo
	s_xor_b32 s11, exec_lo, s11
	s_cbranch_execz .LBB6_15344
; %bb.15341:                            ;   in Loop: Header=BB6_14012 Depth=2
	v_and_b32_e32 v0, 0xff, v48
	s_mov_b32 s28, exec_lo
	s_delay_alu instid0(VALU_DEP_1) | instskip(NEXT) | instid1(VALU_DEP_1)
	v_bfe_u32 v0, v0, 2, 5
	v_cmpx_eq_u32_e32 0, v0
	s_cbranch_execz .LBB6_15343
; %bb.15342:                            ;   in Loop: Header=BB6_14012 Depth=2
	v_clz_i32_u32_e32 v0, v3
	s_delay_alu instid0(VALU_DEP_1) | instskip(SKIP_1) | instid1(VALU_DEP_2)
	v_min_u32_e32 v0, 32, v0
	v_mov_b32_e32 v49, v1
	v_subrev_nc_u32_e32 v3, 29, v0
	v_sub_nc_u32_e32 v0, 30, v0
	s_delay_alu instid0(VALU_DEP_2) | instskip(NEXT) | instid1(VALU_DEP_1)
	v_lshlrev_b64_e32 v[16:17], v3, v[48:49]
	v_and_b32_e32 v3, 3, v16
.LBB6_15343:                            ;   in Loop: Header=BB6_14012 Depth=2
	s_or_b32 exec_lo, exec_lo, s28
	v_bfe_i32 v5, v48, 0, 16
                                        ; implicit-def: $vgpr48
	s_delay_alu instid0(VALU_DEP_1) | instskip(NEXT) | instid1(VALU_DEP_1)
	v_and_b32_e32 v5, 0x80000000, v5
	v_lshl_add_u32 v0, v0, 23, v5
	s_delay_alu instid0(VALU_DEP_1) | instskip(NEXT) | instid1(VALU_DEP_1)
	v_lshl_or_b32 v0, v3, 21, v0
                                        ; implicit-def: $vgpr3
	v_add_nc_u32_e32 v0, 0x38000000, v0
.LBB6_15344:                            ;   in Loop: Header=BB6_14012 Depth=2
	s_and_not1_saveexec_b32 s11, s11
; %bb.15345:                            ;   in Loop: Header=BB6_14012 Depth=2
	v_cmp_lt_i16_e32 vcc_lo, -1, v48
	v_mov_b32_e32 v0, 0x7f800000
	s_delay_alu instid0(VALU_DEP_1) | instskip(SKIP_1) | instid1(VALU_DEP_2)
	v_cndmask_b32_e32 v0, 0xff800000, v0, vcc_lo
	v_cmp_eq_u32_e32 vcc_lo, 0, v3
	v_cndmask_b32_e32 v0, 0x7f800001, v0, vcc_lo
; %bb.15346:                            ;   in Loop: Header=BB6_14012 Depth=2
	s_or_b32 exec_lo, exec_lo, s11
.LBB6_15347:                            ;   in Loop: Header=BB6_14012 Depth=2
	s_delay_alu instid0(SALU_CYCLE_1)
	s_or_b32 exec_lo, exec_lo, s10
.LBB6_15348:                            ;   in Loop: Header=BB6_14012 Depth=2
	s_delay_alu instid0(SALU_CYCLE_1) | instskip(NEXT) | instid1(VALU_DEP_1)
	s_or_b32 exec_lo, exec_lo, s7
	v_dual_add_f32 v2, v2, v0 :: v_dual_mov_b32 v17, v1
                                        ; implicit-def: $vgpr22
	s_mov_b32 s7, exec_lo
	s_delay_alu instid0(VALU_DEP_1) | instskip(SKIP_1) | instid1(VALU_DEP_2)
	v_and_b32_e32 v16, 0x7f800000, v2
	v_and_b32_e32 v0, 0x7fffff, v2
	v_cmpx_ne_u64_e32 0x7f800000, v[16:17]
	s_xor_b32 s10, exec_lo, s7
	s_cbranch_execz .LBB6_15366
; %bb.15349:                            ;   in Loop: Header=BB6_14012 Depth=2
	v_dual_mov_b32 v17, v1 :: v_dual_lshrrev_b32 v3, 24, v2
	v_and_b32_e32 v16, 0x7fffffff, v2
                                        ; implicit-def: $vgpr22
	s_mov_b32 s7, exec_lo
	s_delay_alu instid0(VALU_DEP_2) | instskip(NEXT) | instid1(VALU_DEP_2)
	v_and_b32_e32 v5, 0x80, v3
	v_cmpx_gt_u64_e32 0x47600001, v[16:17]
	s_xor_b32 s11, exec_lo, s7
	s_cbranch_execz .LBB6_15363
; %bb.15350:                            ;   in Loop: Header=BB6_14012 Depth=2
	v_mov_b32_e32 v22, 0
	s_mov_b32 s28, exec_lo
	v_cmpx_ne_u32_e32 0, v2
	s_cbranch_execz .LBB6_15362
; %bb.15351:                            ;   in Loop: Header=BB6_14012 Depth=2
	v_bfe_u32 v7, v2, 23, 8
	v_or_b32_e32 v3, 0x800000, v0
	s_delay_alu instid0(VALU_DEP_2) | instskip(SKIP_2) | instid1(VALU_DEP_2)
	v_cmp_gt_u32_e64 s7, 0x72, v7
	v_sub_nc_u32_e32 v2, 0x71, v7
	v_cmp_eq_u32_e32 vcc_lo, 0, v7
	v_cndmask_b32_e64 v2, 0, v2, s7
	s_delay_alu instid0(VALU_DEP_1) | instskip(SKIP_1) | instid1(VALU_DEP_2)
	v_cndmask_b32_e64 v9, v2, 0x70, vcc_lo
	v_dual_cndmask_b32 v2, v3, v0 :: v_dual_mov_b32 v3, v1
	v_add_nc_u32_e32 v0, 21, v9
	s_delay_alu instid0(VALU_DEP_1) | instskip(SKIP_1) | instid1(VALU_DEP_1)
	v_lshlrev_b64_e64 v[16:17], v0, -1
	v_add_nc_u32_e32 v0, 20, v9
	v_lshlrev_b64_e64 v[22:23], v0, 1
	s_delay_alu instid0(VALU_DEP_3) | instskip(SKIP_2) | instid1(VALU_DEP_1)
	v_bfi_b32 v16, v16, 0, v2
	v_lshrrev_b64 v[2:3], v9, v[2:3]
	v_bfi_b32 v17, v17, 0, 0
	v_cmp_eq_u64_e64 s7, v[16:17], v[22:23]
	s_delay_alu instid0(VALU_DEP_3)
	v_mov_b64_e32 v[16:17], v[2:3]
	s_and_saveexec_b32 s29, s7
; %bb.15352:                            ;   in Loop: Header=BB6_14012 Depth=2
	v_bfe_u32 v16, v2, 21, 1
	v_mov_b32_e32 v17, v1
	s_delay_alu instid0(VALU_DEP_1) | instskip(NEXT) | instid1(VALU_DEP_1)
	v_add_nc_u64_e32 v[16:17], v[2:3], v[16:17]
	v_add_nc_u64_e32 v[16:17], -1, v[16:17]
; %bb.15353:                            ;   in Loop: Header=BB6_14012 Depth=2
	s_or_b32 exec_lo, exec_lo, s29
	v_add_nc_u32_e32 v0, 0xffffff81, v7
	s_delay_alu instid0(VALU_DEP_2) | instskip(SKIP_2) | instid1(VALU_DEP_3)
	v_and_b32_e32 v7, 0x1fffff, v16
	v_lshrrev_b32_e32 v3, 23, v2
	s_mov_b32 s7, exec_lo
	v_cndmask_b32_e64 v0, v0, 0xffffff82, vcc_lo
	s_delay_alu instid0(VALU_DEP_1) | instskip(SKIP_1) | instid1(VALU_DEP_2)
	v_add3_u32 v9, v9, v0, v3
	v_add_nc_u32_e32 v0, v7, v2
                                        ; implicit-def: $vgpr2_vgpr3
                                        ; implicit-def: $vgpr7
	v_add_nc_u32_e32 v16, 14, v9
	s_delay_alu instid0(VALU_DEP_1)
	v_cmpx_ne_u32_e32 0, v16
	s_xor_b32 s7, exec_lo, s7
; %bb.15354:                            ;   in Loop: Header=BB6_14012 Depth=2
	s_delay_alu instid0(VALU_DEP_3) | instskip(SKIP_1) | instid1(VALU_DEP_1)
	v_cmp_lt_u64_e32 vcc_lo, 0xffffff, v[0:1]
	v_add_nc_u32_e32 v2, 15, v9
	v_cndmask_b32_e32 v7, v16, v2, vcc_lo
	v_cndmask_b32_e64 v2, 0, 1, vcc_lo
	s_delay_alu instid0(VALU_DEP_1)
	v_lshrrev_b64 v[2:3], v2, v[0:1]
; %bb.15355:                            ;   in Loop: Header=BB6_14012 Depth=2
	s_and_not1_saveexec_b32 s7, s7
; %bb.15356:                            ;   in Loop: Header=BB6_14012 Depth=2
	v_mov_b64_e32 v[2:3], v[0:1]
	v_bfe_u32 v7, v0, 23, 1
; %bb.15357:                            ;   in Loop: Header=BB6_14012 Depth=2
	s_or_b32 exec_lo, exec_lo, s7
	s_delay_alu instid0(VALU_DEP_2) | instskip(NEXT) | instid1(VALU_DEP_2)
	v_lshrrev_b64 v[2:3], 21, v[2:3]
	v_cmp_gt_i32_e32 vcc_lo, 32, v7
	v_cmp_ne_u32_e64 s7, 0, v7
                                        ; implicit-def: $vgpr22
	s_delay_alu instid0(VALU_DEP_3) | instskip(NEXT) | instid1(VALU_DEP_1)
	v_dual_cndmask_b32 v3, 0, v3 :: v_dual_cndmask_b32 v2, 3, v2
	v_cmp_ne_u64_e32 vcc_lo, 0, v[2:3]
	s_or_b32 s7, s7, vcc_lo
	s_delay_alu instid0(SALU_CYCLE_1) | instskip(NEXT) | instid1(SALU_CYCLE_1)
	s_and_saveexec_b32 s29, s7
	s_xor_b32 s7, exec_lo, s29
; %bb.15358:                            ;   in Loop: Header=BB6_14012 Depth=2
	v_min_i32_e32 v0, 31, v7
	s_delay_alu instid0(VALU_DEP_1) | instskip(NEXT) | instid1(VALU_DEP_1)
	v_lshl_or_b32 v0, v0, 2, v5
                                        ; implicit-def: $vgpr5
	v_and_or_b32 v22, v2, 3, v0
; %bb.15359:                            ;   in Loop: Header=BB6_14012 Depth=2
	s_and_not1_saveexec_b32 s7, s7
; %bb.15360:                            ;   in Loop: Header=BB6_14012 Depth=2
	v_mov_b32_e32 v22, v5
; %bb.15361:                            ;   in Loop: Header=BB6_14012 Depth=2
	s_or_b32 exec_lo, exec_lo, s7
.LBB6_15362:                            ;   in Loop: Header=BB6_14012 Depth=2
	s_delay_alu instid0(SALU_CYCLE_1)
	s_or_b32 exec_lo, exec_lo, s28
                                        ; implicit-def: $vgpr5
.LBB6_15363:                            ;   in Loop: Header=BB6_14012 Depth=2
	s_and_not1_saveexec_b32 s7, s11
; %bb.15364:                            ;   in Loop: Header=BB6_14012 Depth=2
	v_or_b32_e32 v22, 0x7b, v5
; %bb.15365:                            ;   in Loop: Header=BB6_14012 Depth=2
	s_or_b32 exec_lo, exec_lo, s7
                                        ; implicit-def: $vgpr2
.LBB6_15366:                            ;   in Loop: Header=BB6_14012 Depth=2
	s_and_not1_saveexec_b32 s7, s10
	s_cbranch_execz .LBB6_15372
; %bb.15367:                            ;   in Loop: Header=BB6_14012 Depth=2
	s_mov_b32 s10, exec_lo
                                        ; implicit-def: $vgpr22
	v_cmpx_ne_u64_e32 0, v[0:1]
	s_xor_b32 s10, exec_lo, s10
; %bb.15368:                            ;   in Loop: Header=BB6_14012 Depth=2
	v_lshrrev_b32_e32 v0, 24, v2
                                        ; implicit-def: $vgpr2
	s_delay_alu instid0(VALU_DEP_1)
	v_or_b32_e32 v22, 0x7f, v0
; %bb.15369:                            ;   in Loop: Header=BB6_14012 Depth=2
	s_and_not1_saveexec_b32 s10, s10
; %bb.15370:                            ;   in Loop: Header=BB6_14012 Depth=2
	v_cmp_lt_i32_e32 vcc_lo, -1, v2
	v_cndmask_b32_e64 v22, -4, 0x7c, vcc_lo
; %bb.15371:                            ;   in Loop: Header=BB6_14012 Depth=2
	s_or_b32 exec_lo, exec_lo, s10
.LBB6_15372:                            ;   in Loop: Header=BB6_14012 Depth=2
	s_delay_alu instid0(SALU_CYCLE_1) | instskip(SKIP_3) | instid1(VALU_DEP_2)
	s_or_b32 exec_lo, exec_lo, s7
	v_and_b32_e32 v5, 0xff, v106
	v_dual_mov_b32 v0, 0 :: v_dual_mov_b32 v2, 0
	s_mov_b32 s7, exec_lo
	v_cmpx_ne_u16_e32 0, v5
	s_cbranch_execz .LBB6_15382
; %bb.15373:                            ;   in Loop: Header=BB6_14012 Depth=2
	v_bfrev_b32_e32 v2, 1
	s_mov_b32 s10, exec_lo
	v_cmpx_ne_u16_e32 0x80, v5
	s_cbranch_execz .LBB6_15381
; %bb.15374:                            ;   in Loop: Header=BB6_14012 Depth=2
	v_and_b32_e32 v2, 0x7c, v106
	v_and_b32_e32 v3, 3, v106
	s_delay_alu instid0(VALU_DEP_2) | instskip(SKIP_1) | instid1(SALU_CYCLE_1)
	v_cmp_ne_u32_e32 vcc_lo, 0x7c, v2
                                        ; implicit-def: $vgpr2
	s_and_saveexec_b32 s11, vcc_lo
	s_xor_b32 s11, exec_lo, s11
	s_cbranch_execz .LBB6_15378
; %bb.15375:                            ;   in Loop: Header=BB6_14012 Depth=2
	v_bfe_u32 v2, v5, 2, 5
	s_mov_b32 s28, exec_lo
	s_delay_alu instid0(VALU_DEP_1)
	v_cmpx_eq_u32_e32 0, v2
	s_cbranch_execz .LBB6_15377
; %bb.15376:                            ;   in Loop: Header=BB6_14012 Depth=2
	v_clz_i32_u32_e32 v2, v3
	s_delay_alu instid0(VALU_DEP_1) | instskip(SKIP_1) | instid1(VALU_DEP_2)
	v_min_u32_e32 v2, 32, v2
	v_mov_b32_e32 v107, v1
	v_subrev_nc_u32_e32 v3, 29, v2
	v_sub_nc_u32_e32 v2, 30, v2
	s_delay_alu instid0(VALU_DEP_2) | instskip(NEXT) | instid1(VALU_DEP_1)
	v_lshlrev_b64_e32 v[16:17], v3, v[106:107]
	v_and_b32_e32 v3, 3, v16
.LBB6_15377:                            ;   in Loop: Header=BB6_14012 Depth=2
	s_or_b32 exec_lo, exec_lo, s28
	v_lshlrev_b32_e32 v5, 24, v106
                                        ; implicit-def: $vgpr106
	s_delay_alu instid0(VALU_DEP_1) | instskip(NEXT) | instid1(VALU_DEP_1)
	v_and_b32_e32 v5, 0x80000000, v5
	v_lshl_add_u32 v2, v2, 23, v5
	s_delay_alu instid0(VALU_DEP_1) | instskip(NEXT) | instid1(VALU_DEP_1)
	v_lshl_or_b32 v2, v3, 21, v2
                                        ; implicit-def: $vgpr3
	v_add_nc_u32_e32 v2, 0x38000000, v2
.LBB6_15378:                            ;   in Loop: Header=BB6_14012 Depth=2
	s_and_not1_saveexec_b32 s11, s11
; %bb.15379:                            ;   in Loop: Header=BB6_14012 Depth=2
	v_bfe_i32 v2, v106, 0, 8
	s_delay_alu instid0(VALU_DEP_1) | instskip(SKIP_1) | instid1(VALU_DEP_1)
	v_cmp_lt_i16_e32 vcc_lo, -1, v2
	v_mov_b32_e32 v2, 0x7f800000
	v_cndmask_b32_e32 v2, 0xff800000, v2, vcc_lo
	v_cmp_eq_u32_e32 vcc_lo, 0, v3
	s_delay_alu instid0(VALU_DEP_2)
	v_cndmask_b32_e32 v2, 0x7f800001, v2, vcc_lo
; %bb.15380:                            ;   in Loop: Header=BB6_14012 Depth=2
	s_or_b32 exec_lo, exec_lo, s11
.LBB6_15381:                            ;   in Loop: Header=BB6_14012 Depth=2
	s_delay_alu instid0(SALU_CYCLE_1)
	s_or_b32 exec_lo, exec_lo, s10
.LBB6_15382:                            ;   in Loop: Header=BB6_14012 Depth=2
	s_delay_alu instid0(SALU_CYCLE_1) | instskip(NEXT) | instid1(SALU_CYCLE_1)
	s_or_b32 exec_lo, exec_lo, s7
	s_mov_b32 s7, exec_lo
	s_wait_loadcnt_dscnt 0x1919
	v_cmpx_ne_u16_e32 0, v32
	s_cbranch_execz .LBB6_15392
; %bb.15383:                            ;   in Loop: Header=BB6_14012 Depth=2
	v_bfrev_b32_e32 v0, 1
	s_mov_b32 s10, exec_lo
	v_cmpx_ne_u16_e32 0xff80, v32
	s_cbranch_execz .LBB6_15391
; %bb.15384:                            ;   in Loop: Header=BB6_14012 Depth=2
	v_and_b32_e32 v0, 0x7c, v32
	v_and_b32_e32 v3, 3, v32
	s_delay_alu instid0(VALU_DEP_2) | instskip(SKIP_1) | instid1(SALU_CYCLE_1)
	v_cmp_ne_u32_e32 vcc_lo, 0x7c, v0
                                        ; implicit-def: $vgpr0
	s_and_saveexec_b32 s11, vcc_lo
	s_xor_b32 s11, exec_lo, s11
	s_cbranch_execz .LBB6_15388
; %bb.15385:                            ;   in Loop: Header=BB6_14012 Depth=2
	v_and_b32_e32 v0, 0xff, v32
	s_mov_b32 s28, exec_lo
	s_delay_alu instid0(VALU_DEP_1) | instskip(NEXT) | instid1(VALU_DEP_1)
	v_bfe_u32 v0, v0, 2, 5
	v_cmpx_eq_u32_e32 0, v0
	s_cbranch_execz .LBB6_15387
; %bb.15386:                            ;   in Loop: Header=BB6_14012 Depth=2
	v_clz_i32_u32_e32 v0, v3
	s_delay_alu instid0(VALU_DEP_1) | instskip(SKIP_1) | instid1(VALU_DEP_2)
	v_min_u32_e32 v0, 32, v0
	v_mov_b32_e32 v33, v1
	v_subrev_nc_u32_e32 v3, 29, v0
	v_sub_nc_u32_e32 v0, 30, v0
	s_delay_alu instid0(VALU_DEP_2) | instskip(NEXT) | instid1(VALU_DEP_1)
	v_lshlrev_b64_e32 v[16:17], v3, v[32:33]
	v_and_b32_e32 v3, 3, v16
.LBB6_15387:                            ;   in Loop: Header=BB6_14012 Depth=2
	s_or_b32 exec_lo, exec_lo, s28
	v_bfe_i32 v5, v32, 0, 16
                                        ; implicit-def: $vgpr32
	s_delay_alu instid0(VALU_DEP_1) | instskip(NEXT) | instid1(VALU_DEP_1)
	v_and_b32_e32 v5, 0x80000000, v5
	v_lshl_add_u32 v0, v0, 23, v5
	s_delay_alu instid0(VALU_DEP_1) | instskip(NEXT) | instid1(VALU_DEP_1)
	v_lshl_or_b32 v0, v3, 21, v0
                                        ; implicit-def: $vgpr3
	v_add_nc_u32_e32 v0, 0x38000000, v0
.LBB6_15388:                            ;   in Loop: Header=BB6_14012 Depth=2
	s_and_not1_saveexec_b32 s11, s11
; %bb.15389:                            ;   in Loop: Header=BB6_14012 Depth=2
	v_cmp_lt_i16_e32 vcc_lo, -1, v32
	v_mov_b32_e32 v0, 0x7f800000
	s_delay_alu instid0(VALU_DEP_1) | instskip(SKIP_1) | instid1(VALU_DEP_2)
	v_cndmask_b32_e32 v0, 0xff800000, v0, vcc_lo
	v_cmp_eq_u32_e32 vcc_lo, 0, v3
	v_cndmask_b32_e32 v0, 0x7f800001, v0, vcc_lo
; %bb.15390:                            ;   in Loop: Header=BB6_14012 Depth=2
	s_or_b32 exec_lo, exec_lo, s11
.LBB6_15391:                            ;   in Loop: Header=BB6_14012 Depth=2
	s_delay_alu instid0(SALU_CYCLE_1)
	s_or_b32 exec_lo, exec_lo, s10
.LBB6_15392:                            ;   in Loop: Header=BB6_14012 Depth=2
	s_delay_alu instid0(SALU_CYCLE_1) | instskip(NEXT) | instid1(VALU_DEP_1)
	s_or_b32 exec_lo, exec_lo, s7
	v_dual_add_f32 v2, v2, v0 :: v_dual_mov_b32 v17, v1
                                        ; implicit-def: $vgpr23
	s_mov_b32 s7, exec_lo
	s_delay_alu instid0(VALU_DEP_1) | instskip(SKIP_1) | instid1(VALU_DEP_2)
	v_and_b32_e32 v16, 0x7f800000, v2
	v_and_b32_e32 v0, 0x7fffff, v2
	v_cmpx_ne_u64_e32 0x7f800000, v[16:17]
	s_xor_b32 s10, exec_lo, s7
	s_cbranch_execz .LBB6_15410
; %bb.15393:                            ;   in Loop: Header=BB6_14012 Depth=2
	v_dual_mov_b32 v17, v1 :: v_dual_lshrrev_b32 v3, 24, v2
	v_and_b32_e32 v16, 0x7fffffff, v2
                                        ; implicit-def: $vgpr23
	s_mov_b32 s7, exec_lo
	s_delay_alu instid0(VALU_DEP_2) | instskip(NEXT) | instid1(VALU_DEP_2)
	v_and_b32_e32 v5, 0x80, v3
	v_cmpx_gt_u64_e32 0x47600001, v[16:17]
	s_xor_b32 s11, exec_lo, s7
	s_cbranch_execz .LBB6_15407
; %bb.15394:                            ;   in Loop: Header=BB6_14012 Depth=2
	v_mov_b32_e32 v23, 0
	s_mov_b32 s28, exec_lo
	v_cmpx_ne_u32_e32 0, v2
	s_cbranch_execz .LBB6_15406
; %bb.15395:                            ;   in Loop: Header=BB6_14012 Depth=2
	v_bfe_u32 v7, v2, 23, 8
	v_or_b32_e32 v3, 0x800000, v0
	s_delay_alu instid0(VALU_DEP_2) | instskip(SKIP_2) | instid1(VALU_DEP_2)
	v_cmp_gt_u32_e64 s7, 0x72, v7
	v_sub_nc_u32_e32 v2, 0x71, v7
	v_cmp_eq_u32_e32 vcc_lo, 0, v7
	v_cndmask_b32_e64 v2, 0, v2, s7
	s_delay_alu instid0(VALU_DEP_1) | instskip(SKIP_1) | instid1(VALU_DEP_2)
	v_cndmask_b32_e64 v9, v2, 0x70, vcc_lo
	v_dual_cndmask_b32 v2, v3, v0 :: v_dual_mov_b32 v3, v1
	v_add_nc_u32_e32 v0, 21, v9
	s_delay_alu instid0(VALU_DEP_1) | instskip(SKIP_1) | instid1(VALU_DEP_1)
	v_lshlrev_b64_e64 v[16:17], v0, -1
	v_add_nc_u32_e32 v0, 20, v9
	v_lshlrev_b64_e64 v[28:29], v0, 1
	s_delay_alu instid0(VALU_DEP_3) | instskip(SKIP_2) | instid1(VALU_DEP_1)
	v_bfi_b32 v16, v16, 0, v2
	v_lshrrev_b64 v[2:3], v9, v[2:3]
	v_bfi_b32 v17, v17, 0, 0
	v_cmp_eq_u64_e64 s7, v[16:17], v[28:29]
	s_delay_alu instid0(VALU_DEP_3)
	v_mov_b64_e32 v[16:17], v[2:3]
	s_and_saveexec_b32 s29, s7
; %bb.15396:                            ;   in Loop: Header=BB6_14012 Depth=2
	v_bfe_u32 v16, v2, 21, 1
	v_mov_b32_e32 v17, v1
	s_delay_alu instid0(VALU_DEP_1) | instskip(NEXT) | instid1(VALU_DEP_1)
	v_add_nc_u64_e32 v[16:17], v[2:3], v[16:17]
	v_add_nc_u64_e32 v[16:17], -1, v[16:17]
; %bb.15397:                            ;   in Loop: Header=BB6_14012 Depth=2
	s_or_b32 exec_lo, exec_lo, s29
	v_add_nc_u32_e32 v0, 0xffffff81, v7
	s_delay_alu instid0(VALU_DEP_2) | instskip(SKIP_2) | instid1(VALU_DEP_3)
	v_and_b32_e32 v7, 0x1fffff, v16
	v_lshrrev_b32_e32 v3, 23, v2
	s_mov_b32 s7, exec_lo
	v_cndmask_b32_e64 v0, v0, 0xffffff82, vcc_lo
	s_delay_alu instid0(VALU_DEP_1) | instskip(SKIP_1) | instid1(VALU_DEP_2)
	v_add3_u32 v9, v9, v0, v3
	v_add_nc_u32_e32 v0, v7, v2
                                        ; implicit-def: $vgpr2_vgpr3
                                        ; implicit-def: $vgpr7
	v_add_nc_u32_e32 v16, 14, v9
	s_delay_alu instid0(VALU_DEP_1)
	v_cmpx_ne_u32_e32 0, v16
	s_xor_b32 s7, exec_lo, s7
; %bb.15398:                            ;   in Loop: Header=BB6_14012 Depth=2
	s_delay_alu instid0(VALU_DEP_3) | instskip(SKIP_1) | instid1(VALU_DEP_1)
	v_cmp_lt_u64_e32 vcc_lo, 0xffffff, v[0:1]
	v_add_nc_u32_e32 v2, 15, v9
	v_cndmask_b32_e32 v7, v16, v2, vcc_lo
	v_cndmask_b32_e64 v2, 0, 1, vcc_lo
	s_delay_alu instid0(VALU_DEP_1)
	v_lshrrev_b64 v[2:3], v2, v[0:1]
; %bb.15399:                            ;   in Loop: Header=BB6_14012 Depth=2
	s_and_not1_saveexec_b32 s7, s7
; %bb.15400:                            ;   in Loop: Header=BB6_14012 Depth=2
	v_mov_b64_e32 v[2:3], v[0:1]
	v_bfe_u32 v7, v0, 23, 1
; %bb.15401:                            ;   in Loop: Header=BB6_14012 Depth=2
	s_or_b32 exec_lo, exec_lo, s7
	s_delay_alu instid0(VALU_DEP_2) | instskip(NEXT) | instid1(VALU_DEP_2)
	v_lshrrev_b64 v[2:3], 21, v[2:3]
	v_cmp_gt_i32_e32 vcc_lo, 32, v7
	v_cmp_ne_u32_e64 s7, 0, v7
                                        ; implicit-def: $vgpr23
	s_delay_alu instid0(VALU_DEP_3) | instskip(NEXT) | instid1(VALU_DEP_1)
	v_dual_cndmask_b32 v3, 0, v3 :: v_dual_cndmask_b32 v2, 3, v2
	v_cmp_ne_u64_e32 vcc_lo, 0, v[2:3]
	s_or_b32 s7, s7, vcc_lo
	s_delay_alu instid0(SALU_CYCLE_1) | instskip(NEXT) | instid1(SALU_CYCLE_1)
	s_and_saveexec_b32 s29, s7
	s_xor_b32 s7, exec_lo, s29
; %bb.15402:                            ;   in Loop: Header=BB6_14012 Depth=2
	v_min_i32_e32 v0, 31, v7
	s_delay_alu instid0(VALU_DEP_1) | instskip(NEXT) | instid1(VALU_DEP_1)
	v_lshl_or_b32 v0, v0, 2, v5
                                        ; implicit-def: $vgpr5
	v_and_or_b32 v23, v2, 3, v0
; %bb.15403:                            ;   in Loop: Header=BB6_14012 Depth=2
	s_and_not1_saveexec_b32 s7, s7
; %bb.15404:                            ;   in Loop: Header=BB6_14012 Depth=2
	v_mov_b32_e32 v23, v5
; %bb.15405:                            ;   in Loop: Header=BB6_14012 Depth=2
	s_or_b32 exec_lo, exec_lo, s7
.LBB6_15406:                            ;   in Loop: Header=BB6_14012 Depth=2
	s_delay_alu instid0(SALU_CYCLE_1)
	s_or_b32 exec_lo, exec_lo, s28
                                        ; implicit-def: $vgpr5
.LBB6_15407:                            ;   in Loop: Header=BB6_14012 Depth=2
	s_and_not1_saveexec_b32 s7, s11
; %bb.15408:                            ;   in Loop: Header=BB6_14012 Depth=2
	v_or_b32_e32 v23, 0x7b, v5
; %bb.15409:                            ;   in Loop: Header=BB6_14012 Depth=2
	s_or_b32 exec_lo, exec_lo, s7
                                        ; implicit-def: $vgpr2
.LBB6_15410:                            ;   in Loop: Header=BB6_14012 Depth=2
	s_and_not1_saveexec_b32 s7, s10
	s_cbranch_execz .LBB6_15416
; %bb.15411:                            ;   in Loop: Header=BB6_14012 Depth=2
	s_mov_b32 s10, exec_lo
                                        ; implicit-def: $vgpr23
	v_cmpx_ne_u64_e32 0, v[0:1]
	s_xor_b32 s10, exec_lo, s10
; %bb.15412:                            ;   in Loop: Header=BB6_14012 Depth=2
	v_lshrrev_b32_e32 v0, 24, v2
                                        ; implicit-def: $vgpr2
	s_delay_alu instid0(VALU_DEP_1)
	v_or_b32_e32 v23, 0x7f, v0
; %bb.15413:                            ;   in Loop: Header=BB6_14012 Depth=2
	s_and_not1_saveexec_b32 s10, s10
; %bb.15414:                            ;   in Loop: Header=BB6_14012 Depth=2
	v_cmp_lt_i32_e32 vcc_lo, -1, v2
	v_cndmask_b32_e64 v23, -4, 0x7c, vcc_lo
; %bb.15415:                            ;   in Loop: Header=BB6_14012 Depth=2
	s_or_b32 exec_lo, exec_lo, s10
.LBB6_15416:                            ;   in Loop: Header=BB6_14012 Depth=2
	s_delay_alu instid0(SALU_CYCLE_1) | instskip(SKIP_3) | instid1(VALU_DEP_2)
	s_or_b32 exec_lo, exec_lo, s7
	v_and_b32_e32 v5, 0xff, v104
	v_dual_mov_b32 v0, 0 :: v_dual_mov_b32 v2, 0
	s_mov_b32 s7, exec_lo
	v_cmpx_ne_u16_e32 0, v5
	s_cbranch_execz .LBB6_15426
; %bb.15417:                            ;   in Loop: Header=BB6_14012 Depth=2
	v_bfrev_b32_e32 v2, 1
	s_mov_b32 s10, exec_lo
	v_cmpx_ne_u16_e32 0x80, v5
	s_cbranch_execz .LBB6_15425
; %bb.15418:                            ;   in Loop: Header=BB6_14012 Depth=2
	v_and_b32_e32 v2, 0x7c, v104
	v_and_b32_e32 v3, 3, v104
	s_delay_alu instid0(VALU_DEP_2) | instskip(SKIP_1) | instid1(SALU_CYCLE_1)
	v_cmp_ne_u32_e32 vcc_lo, 0x7c, v2
                                        ; implicit-def: $vgpr2
	s_and_saveexec_b32 s11, vcc_lo
	s_xor_b32 s11, exec_lo, s11
	s_cbranch_execz .LBB6_15422
; %bb.15419:                            ;   in Loop: Header=BB6_14012 Depth=2
	v_bfe_u32 v2, v5, 2, 5
	s_mov_b32 s28, exec_lo
	s_delay_alu instid0(VALU_DEP_1)
	v_cmpx_eq_u32_e32 0, v2
	s_cbranch_execz .LBB6_15421
; %bb.15420:                            ;   in Loop: Header=BB6_14012 Depth=2
	v_clz_i32_u32_e32 v2, v3
	s_delay_alu instid0(VALU_DEP_1) | instskip(SKIP_1) | instid1(VALU_DEP_2)
	v_min_u32_e32 v2, 32, v2
	v_mov_b32_e32 v105, v1
	v_subrev_nc_u32_e32 v3, 29, v2
	v_sub_nc_u32_e32 v2, 30, v2
	s_delay_alu instid0(VALU_DEP_2) | instskip(NEXT) | instid1(VALU_DEP_1)
	v_lshlrev_b64_e32 v[16:17], v3, v[104:105]
	v_and_b32_e32 v3, 3, v16
.LBB6_15421:                            ;   in Loop: Header=BB6_14012 Depth=2
	s_or_b32 exec_lo, exec_lo, s28
	v_lshlrev_b32_e32 v5, 24, v104
                                        ; implicit-def: $vgpr104
	s_delay_alu instid0(VALU_DEP_1) | instskip(NEXT) | instid1(VALU_DEP_1)
	v_and_b32_e32 v5, 0x80000000, v5
	v_lshl_add_u32 v2, v2, 23, v5
	s_delay_alu instid0(VALU_DEP_1) | instskip(NEXT) | instid1(VALU_DEP_1)
	v_lshl_or_b32 v2, v3, 21, v2
                                        ; implicit-def: $vgpr3
	v_add_nc_u32_e32 v2, 0x38000000, v2
.LBB6_15422:                            ;   in Loop: Header=BB6_14012 Depth=2
	s_and_not1_saveexec_b32 s11, s11
; %bb.15423:                            ;   in Loop: Header=BB6_14012 Depth=2
	v_bfe_i32 v2, v104, 0, 8
	s_delay_alu instid0(VALU_DEP_1) | instskip(SKIP_1) | instid1(VALU_DEP_1)
	v_cmp_lt_i16_e32 vcc_lo, -1, v2
	v_mov_b32_e32 v2, 0x7f800000
	v_cndmask_b32_e32 v2, 0xff800000, v2, vcc_lo
	v_cmp_eq_u32_e32 vcc_lo, 0, v3
	s_delay_alu instid0(VALU_DEP_2)
	v_cndmask_b32_e32 v2, 0x7f800001, v2, vcc_lo
; %bb.15424:                            ;   in Loop: Header=BB6_14012 Depth=2
	s_or_b32 exec_lo, exec_lo, s11
.LBB6_15425:                            ;   in Loop: Header=BB6_14012 Depth=2
	s_delay_alu instid0(SALU_CYCLE_1)
	s_or_b32 exec_lo, exec_lo, s10
.LBB6_15426:                            ;   in Loop: Header=BB6_14012 Depth=2
	s_delay_alu instid0(SALU_CYCLE_1) | instskip(NEXT) | instid1(SALU_CYCLE_1)
	s_or_b32 exec_lo, exec_lo, s7
	s_mov_b32 s7, exec_lo
	s_wait_loadcnt_dscnt 0x1818
	v_cmpx_ne_u16_e32 0, v82
	s_cbranch_execz .LBB6_15436
; %bb.15427:                            ;   in Loop: Header=BB6_14012 Depth=2
	v_bfrev_b32_e32 v0, 1
	s_mov_b32 s10, exec_lo
	v_cmpx_ne_u16_e32 0xff80, v82
	s_cbranch_execz .LBB6_15435
; %bb.15428:                            ;   in Loop: Header=BB6_14012 Depth=2
	v_and_b32_e32 v0, 0x7c, v82
	v_and_b32_e32 v3, 3, v82
	s_delay_alu instid0(VALU_DEP_2) | instskip(SKIP_1) | instid1(SALU_CYCLE_1)
	v_cmp_ne_u32_e32 vcc_lo, 0x7c, v0
                                        ; implicit-def: $vgpr0
	s_and_saveexec_b32 s11, vcc_lo
	s_xor_b32 s11, exec_lo, s11
	s_cbranch_execz .LBB6_15432
; %bb.15429:                            ;   in Loop: Header=BB6_14012 Depth=2
	v_and_b32_e32 v0, 0xff, v82
	s_mov_b32 s28, exec_lo
	s_delay_alu instid0(VALU_DEP_1) | instskip(NEXT) | instid1(VALU_DEP_1)
	v_bfe_u32 v0, v0, 2, 5
	v_cmpx_eq_u32_e32 0, v0
	s_cbranch_execz .LBB6_15431
; %bb.15430:                            ;   in Loop: Header=BB6_14012 Depth=2
	v_clz_i32_u32_e32 v0, v3
	s_delay_alu instid0(VALU_DEP_1) | instskip(SKIP_1) | instid1(VALU_DEP_2)
	v_min_u32_e32 v0, 32, v0
	v_mov_b32_e32 v83, v1
	v_subrev_nc_u32_e32 v3, 29, v0
	v_sub_nc_u32_e32 v0, 30, v0
	s_delay_alu instid0(VALU_DEP_2) | instskip(NEXT) | instid1(VALU_DEP_1)
	v_lshlrev_b64_e32 v[16:17], v3, v[82:83]
	v_and_b32_e32 v3, 3, v16
.LBB6_15431:                            ;   in Loop: Header=BB6_14012 Depth=2
	s_or_b32 exec_lo, exec_lo, s28
	v_bfe_i32 v5, v82, 0, 16
                                        ; implicit-def: $vgpr82
	s_delay_alu instid0(VALU_DEP_1) | instskip(NEXT) | instid1(VALU_DEP_1)
	v_and_b32_e32 v5, 0x80000000, v5
	v_lshl_add_u32 v0, v0, 23, v5
	s_delay_alu instid0(VALU_DEP_1) | instskip(NEXT) | instid1(VALU_DEP_1)
	v_lshl_or_b32 v0, v3, 21, v0
                                        ; implicit-def: $vgpr3
	v_add_nc_u32_e32 v0, 0x38000000, v0
.LBB6_15432:                            ;   in Loop: Header=BB6_14012 Depth=2
	s_and_not1_saveexec_b32 s11, s11
; %bb.15433:                            ;   in Loop: Header=BB6_14012 Depth=2
	v_cmp_lt_i16_e32 vcc_lo, -1, v82
	v_mov_b32_e32 v0, 0x7f800000
	s_delay_alu instid0(VALU_DEP_1) | instskip(SKIP_1) | instid1(VALU_DEP_2)
	v_cndmask_b32_e32 v0, 0xff800000, v0, vcc_lo
	v_cmp_eq_u32_e32 vcc_lo, 0, v3
	v_cndmask_b32_e32 v0, 0x7f800001, v0, vcc_lo
; %bb.15434:                            ;   in Loop: Header=BB6_14012 Depth=2
	s_or_b32 exec_lo, exec_lo, s11
.LBB6_15435:                            ;   in Loop: Header=BB6_14012 Depth=2
	s_delay_alu instid0(SALU_CYCLE_1)
	s_or_b32 exec_lo, exec_lo, s10
.LBB6_15436:                            ;   in Loop: Header=BB6_14012 Depth=2
	s_delay_alu instid0(SALU_CYCLE_1) | instskip(NEXT) | instid1(VALU_DEP_1)
	s_or_b32 exec_lo, exec_lo, s7
	v_dual_add_f32 v2, v2, v0 :: v_dual_mov_b32 v17, v1
	s_delay_alu instid0(VALU_DEP_1) | instskip(SKIP_1) | instid1(VALU_DEP_2)
	v_and_b32_e32 v16, 0x7f800000, v2
	v_and_b32_e32 v0, 0x7fffff, v2
	v_cmp_ne_u64_e32 vcc_lo, 0x7f800000, v[16:17]
                                        ; implicit-def: $vgpr16
	s_and_saveexec_b32 s7, vcc_lo
	s_delay_alu instid0(SALU_CYCLE_1)
	s_xor_b32 s10, exec_lo, s7
	s_cbranch_execz .LBB6_15454
; %bb.15437:                            ;   in Loop: Header=BB6_14012 Depth=2
	v_and_b32_e32 v16, 0x7fffffff, v2
	v_dual_mov_b32 v17, v1 :: v_dual_lshrrev_b32 v3, 24, v2
	s_delay_alu instid0(VALU_DEP_1) | instskip(NEXT) | instid1(VALU_DEP_2)
	v_cmp_gt_u64_e32 vcc_lo, 0x47600001, v[16:17]
	v_and_b32_e32 v5, 0x80, v3
                                        ; implicit-def: $vgpr16
	s_and_saveexec_b32 s7, vcc_lo
	s_delay_alu instid0(SALU_CYCLE_1)
	s_xor_b32 s11, exec_lo, s7
	s_cbranch_execz .LBB6_15451
; %bb.15438:                            ;   in Loop: Header=BB6_14012 Depth=2
	v_mov_b32_e32 v16, 0
	s_mov_b32 s28, exec_lo
	v_cmpx_ne_u32_e32 0, v2
	s_cbranch_execz .LBB6_15450
; %bb.15439:                            ;   in Loop: Header=BB6_14012 Depth=2
	v_bfe_u32 v7, v2, 23, 8
	v_or_b32_e32 v3, 0x800000, v0
	s_delay_alu instid0(VALU_DEP_2) | instskip(SKIP_2) | instid1(VALU_DEP_2)
	v_cmp_gt_u32_e64 s7, 0x72, v7
	v_sub_nc_u32_e32 v2, 0x71, v7
	v_cmp_eq_u32_e32 vcc_lo, 0, v7
	v_cndmask_b32_e64 v2, 0, v2, s7
	s_delay_alu instid0(VALU_DEP_1) | instskip(SKIP_1) | instid1(VALU_DEP_2)
	v_cndmask_b32_e64 v9, v2, 0x70, vcc_lo
	v_dual_cndmask_b32 v2, v3, v0 :: v_dual_mov_b32 v3, v1
	v_add_nc_u32_e32 v0, 21, v9
	s_delay_alu instid0(VALU_DEP_1) | instskip(SKIP_1) | instid1(VALU_DEP_1)
	v_lshlrev_b64_e64 v[16:17], v0, -1
	v_add_nc_u32_e32 v0, 20, v9
	v_lshlrev_b64_e64 v[28:29], v0, 1
	s_delay_alu instid0(VALU_DEP_3) | instskip(SKIP_2) | instid1(VALU_DEP_1)
	v_bfi_b32 v16, v16, 0, v2
	v_lshrrev_b64 v[2:3], v9, v[2:3]
	v_bfi_b32 v17, v17, 0, 0
	v_cmp_eq_u64_e64 s7, v[16:17], v[28:29]
	s_delay_alu instid0(VALU_DEP_3)
	v_mov_b64_e32 v[16:17], v[2:3]
	s_and_saveexec_b32 s29, s7
; %bb.15440:                            ;   in Loop: Header=BB6_14012 Depth=2
	v_bfe_u32 v16, v2, 21, 1
	v_mov_b32_e32 v17, v1
	s_delay_alu instid0(VALU_DEP_1) | instskip(NEXT) | instid1(VALU_DEP_1)
	v_add_nc_u64_e32 v[16:17], v[2:3], v[16:17]
	v_add_nc_u64_e32 v[16:17], -1, v[16:17]
; %bb.15441:                            ;   in Loop: Header=BB6_14012 Depth=2
	s_or_b32 exec_lo, exec_lo, s29
	v_add_nc_u32_e32 v0, 0xffffff81, v7
	s_delay_alu instid0(VALU_DEP_2) | instskip(SKIP_2) | instid1(VALU_DEP_3)
	v_and_b32_e32 v7, 0x1fffff, v16
	v_lshrrev_b32_e32 v3, 23, v2
	s_mov_b32 s7, exec_lo
	v_cndmask_b32_e64 v0, v0, 0xffffff82, vcc_lo
	s_delay_alu instid0(VALU_DEP_1) | instskip(SKIP_1) | instid1(VALU_DEP_2)
	v_add3_u32 v9, v9, v0, v3
	v_add_nc_u32_e32 v0, v7, v2
                                        ; implicit-def: $vgpr2_vgpr3
                                        ; implicit-def: $vgpr7
	v_add_nc_u32_e32 v16, 14, v9
	s_delay_alu instid0(VALU_DEP_1)
	v_cmpx_ne_u32_e32 0, v16
	s_xor_b32 s7, exec_lo, s7
; %bb.15442:                            ;   in Loop: Header=BB6_14012 Depth=2
	s_delay_alu instid0(VALU_DEP_3) | instskip(SKIP_1) | instid1(VALU_DEP_1)
	v_cmp_lt_u64_e32 vcc_lo, 0xffffff, v[0:1]
	v_add_nc_u32_e32 v2, 15, v9
	v_cndmask_b32_e32 v7, v16, v2, vcc_lo
	v_cndmask_b32_e64 v2, 0, 1, vcc_lo
	s_delay_alu instid0(VALU_DEP_1)
	v_lshrrev_b64 v[2:3], v2, v[0:1]
; %bb.15443:                            ;   in Loop: Header=BB6_14012 Depth=2
	s_and_not1_saveexec_b32 s7, s7
; %bb.15444:                            ;   in Loop: Header=BB6_14012 Depth=2
	v_mov_b64_e32 v[2:3], v[0:1]
	v_bfe_u32 v7, v0, 23, 1
; %bb.15445:                            ;   in Loop: Header=BB6_14012 Depth=2
	s_or_b32 exec_lo, exec_lo, s7
	s_delay_alu instid0(VALU_DEP_2) | instskip(NEXT) | instid1(VALU_DEP_2)
	v_lshrrev_b64 v[2:3], 21, v[2:3]
	v_cmp_gt_i32_e32 vcc_lo, 32, v7
	v_cmp_ne_u32_e64 s7, 0, v7
                                        ; implicit-def: $vgpr16
	s_delay_alu instid0(VALU_DEP_3) | instskip(NEXT) | instid1(VALU_DEP_1)
	v_dual_cndmask_b32 v3, 0, v3 :: v_dual_cndmask_b32 v2, 3, v2
	v_cmp_ne_u64_e32 vcc_lo, 0, v[2:3]
	s_or_b32 s7, s7, vcc_lo
	s_delay_alu instid0(SALU_CYCLE_1) | instskip(NEXT) | instid1(SALU_CYCLE_1)
	s_and_saveexec_b32 s29, s7
	s_xor_b32 s7, exec_lo, s29
; %bb.15446:                            ;   in Loop: Header=BB6_14012 Depth=2
	v_min_i32_e32 v0, 31, v7
	s_delay_alu instid0(VALU_DEP_1) | instskip(NEXT) | instid1(VALU_DEP_1)
	v_lshl_or_b32 v0, v0, 2, v5
                                        ; implicit-def: $vgpr5
	v_and_or_b32 v16, v2, 3, v0
; %bb.15447:                            ;   in Loop: Header=BB6_14012 Depth=2
	s_and_not1_saveexec_b32 s7, s7
; %bb.15448:                            ;   in Loop: Header=BB6_14012 Depth=2
	v_mov_b32_e32 v16, v5
; %bb.15449:                            ;   in Loop: Header=BB6_14012 Depth=2
	s_or_b32 exec_lo, exec_lo, s7
.LBB6_15450:                            ;   in Loop: Header=BB6_14012 Depth=2
	s_delay_alu instid0(SALU_CYCLE_1)
	s_or_b32 exec_lo, exec_lo, s28
                                        ; implicit-def: $vgpr5
.LBB6_15451:                            ;   in Loop: Header=BB6_14012 Depth=2
	s_and_not1_saveexec_b32 s7, s11
; %bb.15452:                            ;   in Loop: Header=BB6_14012 Depth=2
	v_or_b32_e32 v16, 0x7b, v5
; %bb.15453:                            ;   in Loop: Header=BB6_14012 Depth=2
	s_or_b32 exec_lo, exec_lo, s7
                                        ; implicit-def: $vgpr2
.LBB6_15454:                            ;   in Loop: Header=BB6_14012 Depth=2
	s_and_not1_saveexec_b32 s7, s10
	s_cbranch_execz .LBB6_15460
; %bb.15455:                            ;   in Loop: Header=BB6_14012 Depth=2
	s_mov_b32 s10, exec_lo
                                        ; implicit-def: $vgpr16
	v_cmpx_ne_u64_e32 0, v[0:1]
	s_xor_b32 s10, exec_lo, s10
; %bb.15456:                            ;   in Loop: Header=BB6_14012 Depth=2
	v_lshrrev_b32_e32 v0, 24, v2
                                        ; implicit-def: $vgpr2
	s_delay_alu instid0(VALU_DEP_1)
	v_or_b32_e32 v16, 0x7f, v0
; %bb.15457:                            ;   in Loop: Header=BB6_14012 Depth=2
	s_and_not1_saveexec_b32 s10, s10
; %bb.15458:                            ;   in Loop: Header=BB6_14012 Depth=2
	v_cmp_lt_i32_e32 vcc_lo, -1, v2
	v_cndmask_b32_e64 v16, -4, 0x7c, vcc_lo
; %bb.15459:                            ;   in Loop: Header=BB6_14012 Depth=2
	s_or_b32 exec_lo, exec_lo, s10
.LBB6_15460:                            ;   in Loop: Header=BB6_14012 Depth=2
	s_delay_alu instid0(SALU_CYCLE_1) | instskip(SKIP_3) | instid1(VALU_DEP_2)
	s_or_b32 exec_lo, exec_lo, s7
	v_and_b32_e32 v5, 0xff, v92
	v_dual_mov_b32 v0, 0 :: v_dual_mov_b32 v2, 0
	s_mov_b32 s7, exec_lo
	v_cmpx_ne_u16_e32 0, v5
	s_cbranch_execz .LBB6_15470
; %bb.15461:                            ;   in Loop: Header=BB6_14012 Depth=2
	v_bfrev_b32_e32 v2, 1
	s_mov_b32 s10, exec_lo
	v_cmpx_ne_u16_e32 0x80, v5
	s_cbranch_execz .LBB6_15469
; %bb.15462:                            ;   in Loop: Header=BB6_14012 Depth=2
	v_and_b32_e32 v2, 0x7c, v92
	v_and_b32_e32 v3, 3, v92
	s_delay_alu instid0(VALU_DEP_2) | instskip(SKIP_1) | instid1(SALU_CYCLE_1)
	v_cmp_ne_u32_e32 vcc_lo, 0x7c, v2
                                        ; implicit-def: $vgpr2
	s_and_saveexec_b32 s11, vcc_lo
	s_xor_b32 s11, exec_lo, s11
	s_cbranch_execz .LBB6_15466
; %bb.15463:                            ;   in Loop: Header=BB6_14012 Depth=2
	v_bfe_u32 v2, v5, 2, 5
	s_mov_b32 s28, exec_lo
	s_delay_alu instid0(VALU_DEP_1)
	v_cmpx_eq_u32_e32 0, v2
	s_cbranch_execz .LBB6_15465
; %bb.15464:                            ;   in Loop: Header=BB6_14012 Depth=2
	v_clz_i32_u32_e32 v2, v3
	s_delay_alu instid0(VALU_DEP_1) | instskip(SKIP_1) | instid1(VALU_DEP_2)
	v_min_u32_e32 v2, 32, v2
	v_mov_b32_e32 v93, v1
	v_subrev_nc_u32_e32 v3, 29, v2
	v_sub_nc_u32_e32 v2, 30, v2
	s_delay_alu instid0(VALU_DEP_2) | instskip(NEXT) | instid1(VALU_DEP_1)
	v_lshlrev_b64_e32 v[28:29], v3, v[92:93]
	v_and_b32_e32 v3, 3, v28
.LBB6_15465:                            ;   in Loop: Header=BB6_14012 Depth=2
	s_or_b32 exec_lo, exec_lo, s28
	v_lshlrev_b32_e32 v5, 24, v92
                                        ; implicit-def: $vgpr92
	s_delay_alu instid0(VALU_DEP_1) | instskip(NEXT) | instid1(VALU_DEP_1)
	v_and_b32_e32 v5, 0x80000000, v5
	v_lshl_add_u32 v2, v2, 23, v5
	s_delay_alu instid0(VALU_DEP_1) | instskip(NEXT) | instid1(VALU_DEP_1)
	v_lshl_or_b32 v2, v3, 21, v2
                                        ; implicit-def: $vgpr3
	v_add_nc_u32_e32 v2, 0x38000000, v2
.LBB6_15466:                            ;   in Loop: Header=BB6_14012 Depth=2
	s_and_not1_saveexec_b32 s11, s11
; %bb.15467:                            ;   in Loop: Header=BB6_14012 Depth=2
	v_bfe_i32 v2, v92, 0, 8
	s_delay_alu instid0(VALU_DEP_1) | instskip(SKIP_1) | instid1(VALU_DEP_1)
	v_cmp_lt_i16_e32 vcc_lo, -1, v2
	v_mov_b32_e32 v2, 0x7f800000
	v_cndmask_b32_e32 v2, 0xff800000, v2, vcc_lo
	v_cmp_eq_u32_e32 vcc_lo, 0, v3
	s_delay_alu instid0(VALU_DEP_2)
	v_cndmask_b32_e32 v2, 0x7f800001, v2, vcc_lo
; %bb.15468:                            ;   in Loop: Header=BB6_14012 Depth=2
	s_or_b32 exec_lo, exec_lo, s11
.LBB6_15469:                            ;   in Loop: Header=BB6_14012 Depth=2
	s_delay_alu instid0(SALU_CYCLE_1)
	s_or_b32 exec_lo, exec_lo, s10
.LBB6_15470:                            ;   in Loop: Header=BB6_14012 Depth=2
	s_delay_alu instid0(SALU_CYCLE_1) | instskip(NEXT) | instid1(SALU_CYCLE_1)
	s_or_b32 exec_lo, exec_lo, s7
	s_mov_b32 s7, exec_lo
	s_wait_loadcnt_dscnt 0x1717
	v_cmpx_ne_u16_e32 0, v8
	s_cbranch_execz .LBB6_15480
; %bb.15471:                            ;   in Loop: Header=BB6_14012 Depth=2
	v_bfrev_b32_e32 v0, 1
	s_mov_b32 s10, exec_lo
	v_cmpx_ne_u16_e32 0xff80, v8
	s_cbranch_execz .LBB6_15479
; %bb.15472:                            ;   in Loop: Header=BB6_14012 Depth=2
	v_and_b32_e32 v0, 0x7c, v8
	v_and_b32_e32 v3, 3, v8
	s_delay_alu instid0(VALU_DEP_2) | instskip(SKIP_1) | instid1(SALU_CYCLE_1)
	v_cmp_ne_u32_e32 vcc_lo, 0x7c, v0
                                        ; implicit-def: $vgpr0
	s_and_saveexec_b32 s11, vcc_lo
	s_xor_b32 s11, exec_lo, s11
	s_cbranch_execz .LBB6_15476
; %bb.15473:                            ;   in Loop: Header=BB6_14012 Depth=2
	v_and_b32_e32 v0, 0xff, v8
	s_mov_b32 s28, exec_lo
	s_delay_alu instid0(VALU_DEP_1) | instskip(NEXT) | instid1(VALU_DEP_1)
	v_bfe_u32 v0, v0, 2, 5
	v_cmpx_eq_u32_e32 0, v0
	s_cbranch_execz .LBB6_15475
; %bb.15474:                            ;   in Loop: Header=BB6_14012 Depth=2
	v_clz_i32_u32_e32 v0, v3
	s_delay_alu instid0(VALU_DEP_1) | instskip(SKIP_1) | instid1(VALU_DEP_2)
	v_min_u32_e32 v0, 32, v0
	v_mov_b32_e32 v9, v1
	v_subrev_nc_u32_e32 v3, 29, v0
	v_sub_nc_u32_e32 v0, 30, v0
	s_delay_alu instid0(VALU_DEP_2) | instskip(NEXT) | instid1(VALU_DEP_1)
	v_lshlrev_b64_e32 v[28:29], v3, v[8:9]
	v_and_b32_e32 v3, 3, v28
.LBB6_15475:                            ;   in Loop: Header=BB6_14012 Depth=2
	s_or_b32 exec_lo, exec_lo, s28
	v_bfe_i32 v5, v8, 0, 16
                                        ; implicit-def: $vgpr8
	s_delay_alu instid0(VALU_DEP_1) | instskip(NEXT) | instid1(VALU_DEP_1)
	v_and_b32_e32 v5, 0x80000000, v5
	v_lshl_add_u32 v0, v0, 23, v5
	s_delay_alu instid0(VALU_DEP_1) | instskip(NEXT) | instid1(VALU_DEP_1)
	v_lshl_or_b32 v0, v3, 21, v0
                                        ; implicit-def: $vgpr3
	v_add_nc_u32_e32 v0, 0x38000000, v0
.LBB6_15476:                            ;   in Loop: Header=BB6_14012 Depth=2
	s_and_not1_saveexec_b32 s11, s11
; %bb.15477:                            ;   in Loop: Header=BB6_14012 Depth=2
	v_cmp_lt_i16_e32 vcc_lo, -1, v8
	v_mov_b32_e32 v0, 0x7f800000
	s_delay_alu instid0(VALU_DEP_1) | instskip(SKIP_1) | instid1(VALU_DEP_2)
	v_cndmask_b32_e32 v0, 0xff800000, v0, vcc_lo
	v_cmp_eq_u32_e32 vcc_lo, 0, v3
	v_cndmask_b32_e32 v0, 0x7f800001, v0, vcc_lo
; %bb.15478:                            ;   in Loop: Header=BB6_14012 Depth=2
	s_or_b32 exec_lo, exec_lo, s11
.LBB6_15479:                            ;   in Loop: Header=BB6_14012 Depth=2
	s_delay_alu instid0(SALU_CYCLE_1)
	s_or_b32 exec_lo, exec_lo, s10
.LBB6_15480:                            ;   in Loop: Header=BB6_14012 Depth=2
	s_delay_alu instid0(SALU_CYCLE_1) | instskip(NEXT) | instid1(VALU_DEP_1)
	s_or_b32 exec_lo, exec_lo, s7
	v_dual_add_f32 v2, v2, v0 :: v_dual_mov_b32 v9, v1
	s_delay_alu instid0(VALU_DEP_1) | instskip(SKIP_1) | instid1(VALU_DEP_2)
	v_and_b32_e32 v8, 0x7f800000, v2
	v_and_b32_e32 v0, 0x7fffff, v2
	v_cmp_ne_u64_e32 vcc_lo, 0x7f800000, v[8:9]
                                        ; implicit-def: $vgpr8
	s_and_saveexec_b32 s7, vcc_lo
	s_delay_alu instid0(SALU_CYCLE_1)
	s_xor_b32 s10, exec_lo, s7
	s_cbranch_execz .LBB6_15498
; %bb.15481:                            ;   in Loop: Header=BB6_14012 Depth=2
	v_and_b32_e32 v8, 0x7fffffff, v2
	v_dual_mov_b32 v9, v1 :: v_dual_lshrrev_b32 v3, 24, v2
	s_delay_alu instid0(VALU_DEP_1) | instskip(NEXT) | instid1(VALU_DEP_2)
	v_cmp_gt_u64_e32 vcc_lo, 0x47600001, v[8:9]
	v_and_b32_e32 v5, 0x80, v3
                                        ; implicit-def: $vgpr8
	s_and_saveexec_b32 s7, vcc_lo
	s_delay_alu instid0(SALU_CYCLE_1)
	s_xor_b32 s11, exec_lo, s7
	s_cbranch_execz .LBB6_15495
; %bb.15482:                            ;   in Loop: Header=BB6_14012 Depth=2
	v_mov_b32_e32 v8, 0
	s_mov_b32 s28, exec_lo
	v_cmpx_ne_u32_e32 0, v2
	s_cbranch_execz .LBB6_15494
; %bb.15483:                            ;   in Loop: Header=BB6_14012 Depth=2
	v_bfe_u32 v7, v2, 23, 8
	v_or_b32_e32 v8, 0x800000, v0
	s_mov_b32 s29, exec_lo
	s_delay_alu instid0(VALU_DEP_2) | instskip(SKIP_1) | instid1(VALU_DEP_2)
	v_dual_mov_b32 v9, v1 :: v_dual_sub_nc_u32 v2, 0x71, v7
	v_cmp_gt_u32_e32 vcc_lo, 0x72, v7
	v_cndmask_b32_e32 v2, 0, v2, vcc_lo
	v_cmp_eq_u32_e32 vcc_lo, 0, v7
	s_delay_alu instid0(VALU_DEP_2) | instskip(NEXT) | instid1(VALU_DEP_1)
	v_cndmask_b32_e64 v17, v2, 0x70, vcc_lo
	v_dual_cndmask_b32 v8, v8, v0, vcc_lo :: v_dual_add_nc_u32 v2, 21, v17
	v_add_nc_u32_e32 v19, 20, v17
	s_delay_alu instid0(VALU_DEP_2) | instskip(NEXT) | instid1(VALU_DEP_2)
	v_lshlrev_b64_e64 v[2:3], v2, -1
	v_lshlrev_b64_e64 v[28:29], v19, 1
	s_delay_alu instid0(VALU_DEP_2) | instskip(NEXT) | instid1(VALU_DEP_3)
	v_bfi_b32 v33, v3, 0, 0
	v_bfi_b32 v32, v2, 0, v8
	v_lshrrev_b64 v[2:3], v17, v[8:9]
	s_delay_alu instid0(VALU_DEP_1) | instskip(NEXT) | instid1(VALU_DEP_3)
	v_mov_b64_e32 v[8:9], v[2:3]
	v_cmpx_eq_u64_e64 v[32:33], v[28:29]
; %bb.15484:                            ;   in Loop: Header=BB6_14012 Depth=2
	v_bfe_u32 v8, v2, 21, 1
	v_mov_b32_e32 v9, v1
	s_delay_alu instid0(VALU_DEP_1) | instskip(NEXT) | instid1(VALU_DEP_1)
	v_add_nc_u64_e32 v[8:9], v[2:3], v[8:9]
	v_add_nc_u64_e32 v[8:9], -1, v[8:9]
; %bb.15485:                            ;   in Loop: Header=BB6_14012 Depth=2
	s_or_b32 exec_lo, exec_lo, s29
	v_add_nc_u32_e32 v0, 0xffffff81, v7
	s_delay_alu instid0(VALU_DEP_2) | instskip(SKIP_2) | instid1(VALU_DEP_3)
	v_and_b32_e32 v7, 0x1fffff, v8
	v_lshrrev_b32_e32 v3, 23, v2
	s_mov_b32 s7, exec_lo
	v_cndmask_b32_e64 v0, v0, 0xffffff82, vcc_lo
	s_delay_alu instid0(VALU_DEP_1) | instskip(SKIP_1) | instid1(VALU_DEP_2)
	v_add3_u32 v8, v17, v0, v3
	v_add_nc_u32_e32 v0, v7, v2
                                        ; implicit-def: $vgpr2_vgpr3
                                        ; implicit-def: $vgpr7
	v_add_nc_u32_e32 v9, 14, v8
	s_delay_alu instid0(VALU_DEP_1)
	v_cmpx_ne_u32_e32 0, v9
	s_xor_b32 s7, exec_lo, s7
; %bb.15486:                            ;   in Loop: Header=BB6_14012 Depth=2
	s_delay_alu instid0(VALU_DEP_3) | instskip(SKIP_1) | instid1(VALU_DEP_1)
	v_cmp_lt_u64_e32 vcc_lo, 0xffffff, v[0:1]
	v_add_nc_u32_e32 v2, 15, v8
	v_cndmask_b32_e32 v7, v9, v2, vcc_lo
	v_cndmask_b32_e64 v2, 0, 1, vcc_lo
	s_delay_alu instid0(VALU_DEP_1)
	v_lshrrev_b64 v[2:3], v2, v[0:1]
; %bb.15487:                            ;   in Loop: Header=BB6_14012 Depth=2
	s_and_not1_saveexec_b32 s7, s7
; %bb.15488:                            ;   in Loop: Header=BB6_14012 Depth=2
	v_mov_b64_e32 v[2:3], v[0:1]
	v_bfe_u32 v7, v0, 23, 1
; %bb.15489:                            ;   in Loop: Header=BB6_14012 Depth=2
	s_or_b32 exec_lo, exec_lo, s7
	s_delay_alu instid0(VALU_DEP_2) | instskip(NEXT) | instid1(VALU_DEP_2)
	v_lshrrev_b64 v[2:3], 21, v[2:3]
	v_cmp_gt_i32_e32 vcc_lo, 32, v7
	v_cmp_ne_u32_e64 s7, 0, v7
                                        ; implicit-def: $vgpr8
	s_delay_alu instid0(VALU_DEP_3) | instskip(NEXT) | instid1(VALU_DEP_1)
	v_dual_cndmask_b32 v3, 0, v3 :: v_dual_cndmask_b32 v2, 3, v2
	v_cmp_ne_u64_e32 vcc_lo, 0, v[2:3]
	s_or_b32 s7, s7, vcc_lo
	s_delay_alu instid0(SALU_CYCLE_1) | instskip(NEXT) | instid1(SALU_CYCLE_1)
	s_and_saveexec_b32 s29, s7
	s_xor_b32 s7, exec_lo, s29
; %bb.15490:                            ;   in Loop: Header=BB6_14012 Depth=2
	v_min_i32_e32 v0, 31, v7
	s_delay_alu instid0(VALU_DEP_1) | instskip(NEXT) | instid1(VALU_DEP_1)
	v_lshl_or_b32 v0, v0, 2, v5
                                        ; implicit-def: $vgpr5
	v_and_or_b32 v8, v2, 3, v0
; %bb.15491:                            ;   in Loop: Header=BB6_14012 Depth=2
	s_and_not1_saveexec_b32 s7, s7
; %bb.15492:                            ;   in Loop: Header=BB6_14012 Depth=2
	v_mov_b32_e32 v8, v5
; %bb.15493:                            ;   in Loop: Header=BB6_14012 Depth=2
	s_or_b32 exec_lo, exec_lo, s7
.LBB6_15494:                            ;   in Loop: Header=BB6_14012 Depth=2
	s_delay_alu instid0(SALU_CYCLE_1)
	s_or_b32 exec_lo, exec_lo, s28
                                        ; implicit-def: $vgpr5
.LBB6_15495:                            ;   in Loop: Header=BB6_14012 Depth=2
	s_and_not1_saveexec_b32 s7, s11
; %bb.15496:                            ;   in Loop: Header=BB6_14012 Depth=2
	v_or_b32_e32 v8, 0x7b, v5
; %bb.15497:                            ;   in Loop: Header=BB6_14012 Depth=2
	s_or_b32 exec_lo, exec_lo, s7
                                        ; implicit-def: $vgpr2
.LBB6_15498:                            ;   in Loop: Header=BB6_14012 Depth=2
	s_and_not1_saveexec_b32 s7, s10
	s_cbranch_execz .LBB6_15504
; %bb.15499:                            ;   in Loop: Header=BB6_14012 Depth=2
	s_mov_b32 s10, exec_lo
                                        ; implicit-def: $vgpr8
	v_cmpx_ne_u64_e32 0, v[0:1]
	s_xor_b32 s10, exec_lo, s10
; %bb.15500:                            ;   in Loop: Header=BB6_14012 Depth=2
	v_lshrrev_b32_e32 v0, 24, v2
                                        ; implicit-def: $vgpr2
	s_delay_alu instid0(VALU_DEP_1)
	v_or_b32_e32 v8, 0x7f, v0
; %bb.15501:                            ;   in Loop: Header=BB6_14012 Depth=2
	s_and_not1_saveexec_b32 s10, s10
; %bb.15502:                            ;   in Loop: Header=BB6_14012 Depth=2
	v_cmp_lt_i32_e32 vcc_lo, -1, v2
	v_cndmask_b32_e64 v8, -4, 0x7c, vcc_lo
; %bb.15503:                            ;   in Loop: Header=BB6_14012 Depth=2
	s_or_b32 exec_lo, exec_lo, s10
.LBB6_15504:                            ;   in Loop: Header=BB6_14012 Depth=2
	s_delay_alu instid0(SALU_CYCLE_1) | instskip(SKIP_3) | instid1(VALU_DEP_2)
	s_or_b32 exec_lo, exec_lo, s7
	v_and_b32_e32 v5, 0xff, v90
	v_dual_mov_b32 v0, 0 :: v_dual_mov_b32 v2, 0
	s_mov_b32 s7, exec_lo
	v_cmpx_ne_u16_e32 0, v5
	s_cbranch_execz .LBB6_15514
; %bb.15505:                            ;   in Loop: Header=BB6_14012 Depth=2
	v_bfrev_b32_e32 v2, 1
	s_mov_b32 s10, exec_lo
	v_cmpx_ne_u16_e32 0x80, v5
	s_cbranch_execz .LBB6_15513
; %bb.15506:                            ;   in Loop: Header=BB6_14012 Depth=2
	v_and_b32_e32 v2, 0x7c, v90
	v_and_b32_e32 v3, 3, v90
	s_delay_alu instid0(VALU_DEP_2) | instskip(SKIP_1) | instid1(SALU_CYCLE_1)
	v_cmp_ne_u32_e32 vcc_lo, 0x7c, v2
                                        ; implicit-def: $vgpr2
	s_and_saveexec_b32 s11, vcc_lo
	s_xor_b32 s11, exec_lo, s11
	s_cbranch_execz .LBB6_15510
; %bb.15507:                            ;   in Loop: Header=BB6_14012 Depth=2
	v_bfe_u32 v2, v5, 2, 5
	s_mov_b32 s28, exec_lo
	s_delay_alu instid0(VALU_DEP_1)
	v_cmpx_eq_u32_e32 0, v2
	s_cbranch_execz .LBB6_15509
; %bb.15508:                            ;   in Loop: Header=BB6_14012 Depth=2
	v_clz_i32_u32_e32 v2, v3
	s_delay_alu instid0(VALU_DEP_1) | instskip(SKIP_1) | instid1(VALU_DEP_2)
	v_min_u32_e32 v2, 32, v2
	v_mov_b32_e32 v91, v1
	v_subrev_nc_u32_e32 v3, 29, v2
	v_sub_nc_u32_e32 v2, 30, v2
	s_delay_alu instid0(VALU_DEP_2) | instskip(NEXT) | instid1(VALU_DEP_1)
	v_lshlrev_b64_e32 v[28:29], v3, v[90:91]
	v_and_b32_e32 v3, 3, v28
.LBB6_15509:                            ;   in Loop: Header=BB6_14012 Depth=2
	s_or_b32 exec_lo, exec_lo, s28
	v_lshlrev_b32_e32 v5, 24, v90
                                        ; implicit-def: $vgpr90
	s_delay_alu instid0(VALU_DEP_1) | instskip(NEXT) | instid1(VALU_DEP_1)
	v_and_b32_e32 v5, 0x80000000, v5
	v_lshl_add_u32 v2, v2, 23, v5
	s_delay_alu instid0(VALU_DEP_1) | instskip(NEXT) | instid1(VALU_DEP_1)
	v_lshl_or_b32 v2, v3, 21, v2
                                        ; implicit-def: $vgpr3
	v_add_nc_u32_e32 v2, 0x38000000, v2
.LBB6_15510:                            ;   in Loop: Header=BB6_14012 Depth=2
	s_and_not1_saveexec_b32 s11, s11
; %bb.15511:                            ;   in Loop: Header=BB6_14012 Depth=2
	v_bfe_i32 v2, v90, 0, 8
	s_delay_alu instid0(VALU_DEP_1) | instskip(SKIP_1) | instid1(VALU_DEP_1)
	v_cmp_lt_i16_e32 vcc_lo, -1, v2
	v_mov_b32_e32 v2, 0x7f800000
	v_cndmask_b32_e32 v2, 0xff800000, v2, vcc_lo
	v_cmp_eq_u32_e32 vcc_lo, 0, v3
	s_delay_alu instid0(VALU_DEP_2)
	v_cndmask_b32_e32 v2, 0x7f800001, v2, vcc_lo
; %bb.15512:                            ;   in Loop: Header=BB6_14012 Depth=2
	s_or_b32 exec_lo, exec_lo, s11
.LBB6_15513:                            ;   in Loop: Header=BB6_14012 Depth=2
	s_delay_alu instid0(SALU_CYCLE_1)
	s_or_b32 exec_lo, exec_lo, s10
.LBB6_15514:                            ;   in Loop: Header=BB6_14012 Depth=2
	s_delay_alu instid0(SALU_CYCLE_1) | instskip(NEXT) | instid1(SALU_CYCLE_1)
	s_or_b32 exec_lo, exec_lo, s7
	s_mov_b32 s7, exec_lo
	s_wait_loadcnt_dscnt 0x1616
	v_cmpx_ne_u16_e32 0, v6
	s_cbranch_execz .LBB6_15524
; %bb.15515:                            ;   in Loop: Header=BB6_14012 Depth=2
	v_bfrev_b32_e32 v0, 1
	s_mov_b32 s10, exec_lo
	v_cmpx_ne_u16_e32 0xff80, v6
	s_cbranch_execz .LBB6_15523
; %bb.15516:                            ;   in Loop: Header=BB6_14012 Depth=2
	v_and_b32_e32 v0, 0x7c, v6
	v_and_b32_e32 v3, 3, v6
	s_delay_alu instid0(VALU_DEP_2) | instskip(SKIP_1) | instid1(SALU_CYCLE_1)
	v_cmp_ne_u32_e32 vcc_lo, 0x7c, v0
                                        ; implicit-def: $vgpr0
	s_and_saveexec_b32 s11, vcc_lo
	s_xor_b32 s11, exec_lo, s11
	s_cbranch_execz .LBB6_15520
; %bb.15517:                            ;   in Loop: Header=BB6_14012 Depth=2
	v_and_b32_e32 v0, 0xff, v6
	s_mov_b32 s28, exec_lo
	s_delay_alu instid0(VALU_DEP_1) | instskip(NEXT) | instid1(VALU_DEP_1)
	v_bfe_u32 v0, v0, 2, 5
	v_cmpx_eq_u32_e32 0, v0
	s_cbranch_execz .LBB6_15519
; %bb.15518:                            ;   in Loop: Header=BB6_14012 Depth=2
	v_clz_i32_u32_e32 v0, v3
	s_delay_alu instid0(VALU_DEP_1) | instskip(SKIP_1) | instid1(VALU_DEP_2)
	v_min_u32_e32 v0, 32, v0
	v_mov_b32_e32 v7, v1
	v_subrev_nc_u32_e32 v3, 29, v0
	v_sub_nc_u32_e32 v0, 30, v0
	s_delay_alu instid0(VALU_DEP_2) | instskip(NEXT) | instid1(VALU_DEP_1)
	v_lshlrev_b64_e32 v[28:29], v3, v[6:7]
	v_and_b32_e32 v3, 3, v28
.LBB6_15519:                            ;   in Loop: Header=BB6_14012 Depth=2
	s_or_b32 exec_lo, exec_lo, s28
	v_bfe_i32 v5, v6, 0, 16
                                        ; implicit-def: $vgpr6
	s_delay_alu instid0(VALU_DEP_1) | instskip(NEXT) | instid1(VALU_DEP_1)
	v_and_b32_e32 v5, 0x80000000, v5
	v_lshl_add_u32 v0, v0, 23, v5
	s_delay_alu instid0(VALU_DEP_1) | instskip(NEXT) | instid1(VALU_DEP_1)
	v_lshl_or_b32 v0, v3, 21, v0
                                        ; implicit-def: $vgpr3
	v_add_nc_u32_e32 v0, 0x38000000, v0
.LBB6_15520:                            ;   in Loop: Header=BB6_14012 Depth=2
	s_and_not1_saveexec_b32 s11, s11
; %bb.15521:                            ;   in Loop: Header=BB6_14012 Depth=2
	v_cmp_lt_i16_e32 vcc_lo, -1, v6
	v_mov_b32_e32 v0, 0x7f800000
	s_delay_alu instid0(VALU_DEP_1) | instskip(SKIP_1) | instid1(VALU_DEP_2)
	v_cndmask_b32_e32 v0, 0xff800000, v0, vcc_lo
	v_cmp_eq_u32_e32 vcc_lo, 0, v3
	v_cndmask_b32_e32 v0, 0x7f800001, v0, vcc_lo
; %bb.15522:                            ;   in Loop: Header=BB6_14012 Depth=2
	s_or_b32 exec_lo, exec_lo, s11
.LBB6_15523:                            ;   in Loop: Header=BB6_14012 Depth=2
	s_delay_alu instid0(SALU_CYCLE_1)
	s_or_b32 exec_lo, exec_lo, s10
.LBB6_15524:                            ;   in Loop: Header=BB6_14012 Depth=2
	s_delay_alu instid0(SALU_CYCLE_1) | instskip(NEXT) | instid1(VALU_DEP_1)
	s_or_b32 exec_lo, exec_lo, s7
	v_dual_add_f32 v2, v2, v0 :: v_dual_mov_b32 v7, v1
                                        ; implicit-def: $vgpr9
	s_mov_b32 s7, exec_lo
	s_delay_alu instid0(VALU_DEP_1) | instskip(SKIP_1) | instid1(VALU_DEP_2)
	v_and_b32_e32 v6, 0x7f800000, v2
	v_and_b32_e32 v0, 0x7fffff, v2
	v_cmpx_ne_u64_e32 0x7f800000, v[6:7]
	s_xor_b32 s10, exec_lo, s7
	s_cbranch_execz .LBB6_15542
; %bb.15525:                            ;   in Loop: Header=BB6_14012 Depth=2
	v_dual_mov_b32 v7, v1 :: v_dual_lshrrev_b32 v3, 24, v2
	v_and_b32_e32 v6, 0x7fffffff, v2
                                        ; implicit-def: $vgpr9
	s_mov_b32 s7, exec_lo
	s_delay_alu instid0(VALU_DEP_2) | instskip(NEXT) | instid1(VALU_DEP_2)
	v_and_b32_e32 v5, 0x80, v3
	v_cmpx_gt_u64_e32 0x47600001, v[6:7]
	s_xor_b32 s11, exec_lo, s7
	s_cbranch_execz .LBB6_15539
; %bb.15526:                            ;   in Loop: Header=BB6_14012 Depth=2
	v_mov_b32_e32 v9, 0
	s_mov_b32 s28, exec_lo
	v_cmpx_ne_u32_e32 0, v2
	s_cbranch_execz .LBB6_15538
; %bb.15527:                            ;   in Loop: Header=BB6_14012 Depth=2
	v_bfe_u32 v9, v2, 23, 8
	v_or_b32_e32 v6, 0x800000, v0
	s_mov_b32 s29, exec_lo
	s_delay_alu instid0(VALU_DEP_2) | instskip(SKIP_1) | instid1(VALU_DEP_2)
	v_dual_mov_b32 v7, v1 :: v_dual_sub_nc_u32 v2, 0x71, v9
	v_cmp_gt_u32_e32 vcc_lo, 0x72, v9
	v_cndmask_b32_e32 v2, 0, v2, vcc_lo
	v_cmp_eq_u32_e32 vcc_lo, 0, v9
	s_delay_alu instid0(VALU_DEP_2) | instskip(NEXT) | instid1(VALU_DEP_1)
	v_cndmask_b32_e64 v17, v2, 0x70, vcc_lo
	v_dual_cndmask_b32 v6, v6, v0, vcc_lo :: v_dual_add_nc_u32 v2, 21, v17
	v_add_nc_u32_e32 v19, 20, v17
	s_delay_alu instid0(VALU_DEP_2) | instskip(NEXT) | instid1(VALU_DEP_2)
	v_lshlrev_b64_e64 v[2:3], v2, -1
	v_lshlrev_b64_e64 v[28:29], v19, 1
	s_delay_alu instid0(VALU_DEP_2) | instskip(NEXT) | instid1(VALU_DEP_3)
	v_bfi_b32 v33, v3, 0, 0
	v_bfi_b32 v32, v2, 0, v6
	v_lshrrev_b64 v[2:3], v17, v[6:7]
	s_delay_alu instid0(VALU_DEP_1) | instskip(NEXT) | instid1(VALU_DEP_3)
	v_mov_b64_e32 v[6:7], v[2:3]
	v_cmpx_eq_u64_e64 v[32:33], v[28:29]
; %bb.15528:                            ;   in Loop: Header=BB6_14012 Depth=2
	v_bfe_u32 v6, v2, 21, 1
	v_mov_b32_e32 v7, v1
	s_delay_alu instid0(VALU_DEP_1) | instskip(NEXT) | instid1(VALU_DEP_1)
	v_add_nc_u64_e32 v[6:7], v[2:3], v[6:7]
	v_add_nc_u64_e32 v[6:7], -1, v[6:7]
; %bb.15529:                            ;   in Loop: Header=BB6_14012 Depth=2
	s_or_b32 exec_lo, exec_lo, s29
	v_add_nc_u32_e32 v0, 0xffffff81, v9
	s_delay_alu instid0(VALU_DEP_2) | instskip(SKIP_2) | instid1(VALU_DEP_3)
	v_and_b32_e32 v6, 0x1fffff, v6
	v_lshrrev_b32_e32 v3, 23, v2
	s_mov_b32 s7, exec_lo
	v_cndmask_b32_e64 v0, v0, 0xffffff82, vcc_lo
	s_delay_alu instid0(VALU_DEP_1) | instskip(SKIP_1) | instid1(VALU_DEP_2)
	v_add3_u32 v7, v17, v0, v3
	v_add_nc_u32_e32 v0, v6, v2
                                        ; implicit-def: $vgpr2_vgpr3
                                        ; implicit-def: $vgpr6
	v_add_nc_u32_e32 v9, 14, v7
	s_delay_alu instid0(VALU_DEP_1)
	v_cmpx_ne_u32_e32 0, v9
	s_xor_b32 s7, exec_lo, s7
; %bb.15530:                            ;   in Loop: Header=BB6_14012 Depth=2
	s_delay_alu instid0(VALU_DEP_3) | instskip(SKIP_1) | instid1(VALU_DEP_1)
	v_cmp_lt_u64_e32 vcc_lo, 0xffffff, v[0:1]
	v_add_nc_u32_e32 v2, 15, v7
	v_cndmask_b32_e32 v6, v9, v2, vcc_lo
	v_cndmask_b32_e64 v2, 0, 1, vcc_lo
	s_delay_alu instid0(VALU_DEP_1)
	v_lshrrev_b64 v[2:3], v2, v[0:1]
; %bb.15531:                            ;   in Loop: Header=BB6_14012 Depth=2
	s_and_not1_saveexec_b32 s7, s7
; %bb.15532:                            ;   in Loop: Header=BB6_14012 Depth=2
	v_mov_b64_e32 v[2:3], v[0:1]
	v_bfe_u32 v6, v0, 23, 1
; %bb.15533:                            ;   in Loop: Header=BB6_14012 Depth=2
	s_or_b32 exec_lo, exec_lo, s7
	s_delay_alu instid0(VALU_DEP_2) | instskip(NEXT) | instid1(VALU_DEP_2)
	v_lshrrev_b64 v[2:3], 21, v[2:3]
	v_cmp_gt_i32_e32 vcc_lo, 32, v6
	v_cmp_ne_u32_e64 s7, 0, v6
                                        ; implicit-def: $vgpr9
	s_delay_alu instid0(VALU_DEP_3) | instskip(NEXT) | instid1(VALU_DEP_1)
	v_dual_cndmask_b32 v3, 0, v3 :: v_dual_cndmask_b32 v2, 3, v2
	v_cmp_ne_u64_e32 vcc_lo, 0, v[2:3]
	s_or_b32 s7, s7, vcc_lo
	s_delay_alu instid0(SALU_CYCLE_1) | instskip(NEXT) | instid1(SALU_CYCLE_1)
	s_and_saveexec_b32 s29, s7
	s_xor_b32 s7, exec_lo, s29
; %bb.15534:                            ;   in Loop: Header=BB6_14012 Depth=2
	v_min_i32_e32 v0, 31, v6
	s_delay_alu instid0(VALU_DEP_1) | instskip(NEXT) | instid1(VALU_DEP_1)
	v_lshl_or_b32 v0, v0, 2, v5
                                        ; implicit-def: $vgpr5
	v_and_or_b32 v9, v2, 3, v0
; %bb.15535:                            ;   in Loop: Header=BB6_14012 Depth=2
	s_and_not1_saveexec_b32 s7, s7
; %bb.15536:                            ;   in Loop: Header=BB6_14012 Depth=2
	v_mov_b32_e32 v9, v5
; %bb.15537:                            ;   in Loop: Header=BB6_14012 Depth=2
	s_or_b32 exec_lo, exec_lo, s7
.LBB6_15538:                            ;   in Loop: Header=BB6_14012 Depth=2
	s_delay_alu instid0(SALU_CYCLE_1)
	s_or_b32 exec_lo, exec_lo, s28
                                        ; implicit-def: $vgpr5
.LBB6_15539:                            ;   in Loop: Header=BB6_14012 Depth=2
	s_and_not1_saveexec_b32 s7, s11
; %bb.15540:                            ;   in Loop: Header=BB6_14012 Depth=2
	v_or_b32_e32 v9, 0x7b, v5
; %bb.15541:                            ;   in Loop: Header=BB6_14012 Depth=2
	s_or_b32 exec_lo, exec_lo, s7
                                        ; implicit-def: $vgpr2
.LBB6_15542:                            ;   in Loop: Header=BB6_14012 Depth=2
	s_and_not1_saveexec_b32 s7, s10
	s_cbranch_execz .LBB6_15548
; %bb.15543:                            ;   in Loop: Header=BB6_14012 Depth=2
	s_mov_b32 s10, exec_lo
                                        ; implicit-def: $vgpr9
	v_cmpx_ne_u64_e32 0, v[0:1]
	s_xor_b32 s10, exec_lo, s10
; %bb.15544:                            ;   in Loop: Header=BB6_14012 Depth=2
	v_lshrrev_b32_e32 v0, 24, v2
                                        ; implicit-def: $vgpr2
	s_delay_alu instid0(VALU_DEP_1)
	v_or_b32_e32 v9, 0x7f, v0
; %bb.15545:                            ;   in Loop: Header=BB6_14012 Depth=2
	s_and_not1_saveexec_b32 s10, s10
; %bb.15546:                            ;   in Loop: Header=BB6_14012 Depth=2
	v_cmp_lt_i32_e32 vcc_lo, -1, v2
	v_cndmask_b32_e64 v9, -4, 0x7c, vcc_lo
; %bb.15547:                            ;   in Loop: Header=BB6_14012 Depth=2
	s_or_b32 exec_lo, exec_lo, s10
.LBB6_15548:                            ;   in Loop: Header=BB6_14012 Depth=2
	s_delay_alu instid0(SALU_CYCLE_1) | instskip(SKIP_3) | instid1(VALU_DEP_2)
	s_or_b32 exec_lo, exec_lo, s7
	v_and_b32_e32 v5, 0xff, v88
	v_dual_mov_b32 v0, 0 :: v_dual_mov_b32 v2, 0
	s_mov_b32 s7, exec_lo
	v_cmpx_ne_u16_e32 0, v5
	s_cbranch_execz .LBB6_15558
; %bb.15549:                            ;   in Loop: Header=BB6_14012 Depth=2
	v_bfrev_b32_e32 v2, 1
	s_mov_b32 s10, exec_lo
	v_cmpx_ne_u16_e32 0x80, v5
	s_cbranch_execz .LBB6_15557
; %bb.15550:                            ;   in Loop: Header=BB6_14012 Depth=2
	v_and_b32_e32 v2, 0x7c, v88
	v_and_b32_e32 v3, 3, v88
	s_delay_alu instid0(VALU_DEP_2) | instskip(SKIP_1) | instid1(SALU_CYCLE_1)
	v_cmp_ne_u32_e32 vcc_lo, 0x7c, v2
                                        ; implicit-def: $vgpr2
	s_and_saveexec_b32 s11, vcc_lo
	s_xor_b32 s11, exec_lo, s11
	s_cbranch_execz .LBB6_15554
; %bb.15551:                            ;   in Loop: Header=BB6_14012 Depth=2
	v_bfe_u32 v2, v5, 2, 5
	s_mov_b32 s28, exec_lo
	s_delay_alu instid0(VALU_DEP_1)
	v_cmpx_eq_u32_e32 0, v2
	s_cbranch_execz .LBB6_15553
; %bb.15552:                            ;   in Loop: Header=BB6_14012 Depth=2
	v_clz_i32_u32_e32 v2, v3
	s_delay_alu instid0(VALU_DEP_1) | instskip(SKIP_1) | instid1(VALU_DEP_2)
	v_min_u32_e32 v2, 32, v2
	v_mov_b32_e32 v89, v1
	v_subrev_nc_u32_e32 v3, 29, v2
	v_sub_nc_u32_e32 v2, 30, v2
	s_delay_alu instid0(VALU_DEP_2) | instskip(NEXT) | instid1(VALU_DEP_1)
	v_lshlrev_b64_e32 v[6:7], v3, v[88:89]
	v_and_b32_e32 v3, 3, v6
.LBB6_15553:                            ;   in Loop: Header=BB6_14012 Depth=2
	s_or_b32 exec_lo, exec_lo, s28
	v_lshlrev_b32_e32 v5, 24, v88
                                        ; implicit-def: $vgpr88
	s_delay_alu instid0(VALU_DEP_1) | instskip(NEXT) | instid1(VALU_DEP_1)
	v_and_b32_e32 v5, 0x80000000, v5
	v_lshl_add_u32 v2, v2, 23, v5
	s_delay_alu instid0(VALU_DEP_1) | instskip(NEXT) | instid1(VALU_DEP_1)
	v_lshl_or_b32 v2, v3, 21, v2
                                        ; implicit-def: $vgpr3
	v_add_nc_u32_e32 v2, 0x38000000, v2
.LBB6_15554:                            ;   in Loop: Header=BB6_14012 Depth=2
	s_and_not1_saveexec_b32 s11, s11
; %bb.15555:                            ;   in Loop: Header=BB6_14012 Depth=2
	v_bfe_i32 v2, v88, 0, 8
	s_delay_alu instid0(VALU_DEP_1) | instskip(SKIP_1) | instid1(VALU_DEP_1)
	v_cmp_lt_i16_e32 vcc_lo, -1, v2
	v_mov_b32_e32 v2, 0x7f800000
	v_cndmask_b32_e32 v2, 0xff800000, v2, vcc_lo
	v_cmp_eq_u32_e32 vcc_lo, 0, v3
	s_delay_alu instid0(VALU_DEP_2)
	v_cndmask_b32_e32 v2, 0x7f800001, v2, vcc_lo
; %bb.15556:                            ;   in Loop: Header=BB6_14012 Depth=2
	s_or_b32 exec_lo, exec_lo, s11
.LBB6_15557:                            ;   in Loop: Header=BB6_14012 Depth=2
	s_delay_alu instid0(SALU_CYCLE_1)
	s_or_b32 exec_lo, exec_lo, s10
.LBB6_15558:                            ;   in Loop: Header=BB6_14012 Depth=2
	s_delay_alu instid0(SALU_CYCLE_1) | instskip(NEXT) | instid1(SALU_CYCLE_1)
	s_or_b32 exec_lo, exec_lo, s7
	s_mov_b32 s7, exec_lo
	s_wait_loadcnt_dscnt 0x1515
	v_cmpx_ne_u16_e32 0, v70
	s_cbranch_execz .LBB6_15568
; %bb.15559:                            ;   in Loop: Header=BB6_14012 Depth=2
	v_bfrev_b32_e32 v0, 1
	s_mov_b32 s10, exec_lo
	v_cmpx_ne_u16_e32 0xff80, v70
	s_cbranch_execz .LBB6_15567
; %bb.15560:                            ;   in Loop: Header=BB6_14012 Depth=2
	v_and_b32_e32 v0, 0x7c, v70
	v_and_b32_e32 v3, 3, v70
	s_delay_alu instid0(VALU_DEP_2) | instskip(SKIP_1) | instid1(SALU_CYCLE_1)
	v_cmp_ne_u32_e32 vcc_lo, 0x7c, v0
                                        ; implicit-def: $vgpr0
	s_and_saveexec_b32 s11, vcc_lo
	s_xor_b32 s11, exec_lo, s11
	s_cbranch_execz .LBB6_15564
; %bb.15561:                            ;   in Loop: Header=BB6_14012 Depth=2
	v_and_b32_e32 v0, 0xff, v70
	s_mov_b32 s28, exec_lo
	s_delay_alu instid0(VALU_DEP_1) | instskip(NEXT) | instid1(VALU_DEP_1)
	v_bfe_u32 v0, v0, 2, 5
	v_cmpx_eq_u32_e32 0, v0
	s_cbranch_execz .LBB6_15563
; %bb.15562:                            ;   in Loop: Header=BB6_14012 Depth=2
	v_clz_i32_u32_e32 v0, v3
	s_delay_alu instid0(VALU_DEP_1) | instskip(SKIP_1) | instid1(VALU_DEP_2)
	v_min_u32_e32 v0, 32, v0
	v_mov_b32_e32 v71, v1
	v_subrev_nc_u32_e32 v3, 29, v0
	v_sub_nc_u32_e32 v0, 30, v0
	s_delay_alu instid0(VALU_DEP_2) | instskip(NEXT) | instid1(VALU_DEP_1)
	v_lshlrev_b64_e32 v[6:7], v3, v[70:71]
	v_and_b32_e32 v3, 3, v6
.LBB6_15563:                            ;   in Loop: Header=BB6_14012 Depth=2
	s_or_b32 exec_lo, exec_lo, s28
	v_bfe_i32 v5, v70, 0, 16
                                        ; implicit-def: $vgpr70
	s_delay_alu instid0(VALU_DEP_1) | instskip(NEXT) | instid1(VALU_DEP_1)
	v_and_b32_e32 v5, 0x80000000, v5
	v_lshl_add_u32 v0, v0, 23, v5
	s_delay_alu instid0(VALU_DEP_1) | instskip(NEXT) | instid1(VALU_DEP_1)
	v_lshl_or_b32 v0, v3, 21, v0
                                        ; implicit-def: $vgpr3
	v_add_nc_u32_e32 v0, 0x38000000, v0
.LBB6_15564:                            ;   in Loop: Header=BB6_14012 Depth=2
	s_and_not1_saveexec_b32 s11, s11
; %bb.15565:                            ;   in Loop: Header=BB6_14012 Depth=2
	v_cmp_lt_i16_e32 vcc_lo, -1, v70
	v_mov_b32_e32 v0, 0x7f800000
	s_delay_alu instid0(VALU_DEP_1) | instskip(SKIP_1) | instid1(VALU_DEP_2)
	v_cndmask_b32_e32 v0, 0xff800000, v0, vcc_lo
	v_cmp_eq_u32_e32 vcc_lo, 0, v3
	v_cndmask_b32_e32 v0, 0x7f800001, v0, vcc_lo
; %bb.15566:                            ;   in Loop: Header=BB6_14012 Depth=2
	s_or_b32 exec_lo, exec_lo, s11
.LBB6_15567:                            ;   in Loop: Header=BB6_14012 Depth=2
	s_delay_alu instid0(SALU_CYCLE_1)
	s_or_b32 exec_lo, exec_lo, s10
.LBB6_15568:                            ;   in Loop: Header=BB6_14012 Depth=2
	s_delay_alu instid0(SALU_CYCLE_1) | instskip(NEXT) | instid1(VALU_DEP_1)
	s_or_b32 exec_lo, exec_lo, s7
	v_dual_add_f32 v2, v2, v0 :: v_dual_mov_b32 v7, v1
                                        ; implicit-def: $vgpr17
	s_mov_b32 s7, exec_lo
	s_delay_alu instid0(VALU_DEP_1) | instskip(SKIP_1) | instid1(VALU_DEP_2)
	v_and_b32_e32 v6, 0x7f800000, v2
	v_and_b32_e32 v0, 0x7fffff, v2
	v_cmpx_ne_u64_e32 0x7f800000, v[6:7]
	s_xor_b32 s10, exec_lo, s7
	s_cbranch_execz .LBB6_15586
; %bb.15569:                            ;   in Loop: Header=BB6_14012 Depth=2
	v_dual_mov_b32 v7, v1 :: v_dual_lshrrev_b32 v3, 24, v2
	v_and_b32_e32 v6, 0x7fffffff, v2
                                        ; implicit-def: $vgpr17
	s_mov_b32 s7, exec_lo
	s_delay_alu instid0(VALU_DEP_2) | instskip(NEXT) | instid1(VALU_DEP_2)
	v_and_b32_e32 v5, 0x80, v3
	v_cmpx_gt_u64_e32 0x47600001, v[6:7]
	s_xor_b32 s11, exec_lo, s7
	s_cbranch_execz .LBB6_15583
; %bb.15570:                            ;   in Loop: Header=BB6_14012 Depth=2
	v_mov_b32_e32 v17, 0
	s_mov_b32 s28, exec_lo
	v_cmpx_ne_u32_e32 0, v2
	s_cbranch_execz .LBB6_15582
; %bb.15571:                            ;   in Loop: Header=BB6_14012 Depth=2
	v_bfe_u32 v17, v2, 23, 8
	v_or_b32_e32 v6, 0x800000, v0
	s_mov_b32 s29, exec_lo
	s_delay_alu instid0(VALU_DEP_2) | instskip(SKIP_1) | instid1(VALU_DEP_2)
	v_dual_mov_b32 v7, v1 :: v_dual_sub_nc_u32 v2, 0x71, v17
	v_cmp_gt_u32_e32 vcc_lo, 0x72, v17
	v_cndmask_b32_e32 v2, 0, v2, vcc_lo
	v_cmp_eq_u32_e32 vcc_lo, 0, v17
	s_delay_alu instid0(VALU_DEP_2) | instskip(NEXT) | instid1(VALU_DEP_1)
	v_cndmask_b32_e64 v19, v2, 0x70, vcc_lo
	v_dual_cndmask_b32 v6, v6, v0, vcc_lo :: v_dual_add_nc_u32 v2, 21, v19
	v_add_nc_u32_e32 v25, 20, v19
	s_delay_alu instid0(VALU_DEP_2) | instskip(NEXT) | instid1(VALU_DEP_2)
	v_lshlrev_b64_e64 v[2:3], v2, -1
	v_lshlrev_b64_e64 v[28:29], v25, 1
	s_delay_alu instid0(VALU_DEP_2) | instskip(NEXT) | instid1(VALU_DEP_3)
	v_bfi_b32 v33, v3, 0, 0
	v_bfi_b32 v32, v2, 0, v6
	v_lshrrev_b64 v[2:3], v19, v[6:7]
	s_delay_alu instid0(VALU_DEP_1) | instskip(NEXT) | instid1(VALU_DEP_3)
	v_mov_b64_e32 v[6:7], v[2:3]
	v_cmpx_eq_u64_e64 v[32:33], v[28:29]
; %bb.15572:                            ;   in Loop: Header=BB6_14012 Depth=2
	v_bfe_u32 v6, v2, 21, 1
	v_mov_b32_e32 v7, v1
	s_delay_alu instid0(VALU_DEP_1) | instskip(NEXT) | instid1(VALU_DEP_1)
	v_add_nc_u64_e32 v[6:7], v[2:3], v[6:7]
	v_add_nc_u64_e32 v[6:7], -1, v[6:7]
; %bb.15573:                            ;   in Loop: Header=BB6_14012 Depth=2
	s_or_b32 exec_lo, exec_lo, s29
	v_add_nc_u32_e32 v0, 0xffffff81, v17
	s_delay_alu instid0(VALU_DEP_2) | instskip(SKIP_2) | instid1(VALU_DEP_3)
	v_and_b32_e32 v6, 0x1fffff, v6
	v_lshrrev_b32_e32 v3, 23, v2
	s_mov_b32 s7, exec_lo
	v_cndmask_b32_e64 v0, v0, 0xffffff82, vcc_lo
	s_delay_alu instid0(VALU_DEP_1) | instskip(SKIP_1) | instid1(VALU_DEP_2)
	v_add3_u32 v7, v19, v0, v3
	v_add_nc_u32_e32 v0, v6, v2
                                        ; implicit-def: $vgpr2_vgpr3
                                        ; implicit-def: $vgpr6
	v_add_nc_u32_e32 v17, 14, v7
	s_delay_alu instid0(VALU_DEP_1)
	v_cmpx_ne_u32_e32 0, v17
	s_xor_b32 s7, exec_lo, s7
; %bb.15574:                            ;   in Loop: Header=BB6_14012 Depth=2
	s_delay_alu instid0(VALU_DEP_3) | instskip(SKIP_1) | instid1(VALU_DEP_1)
	v_cmp_lt_u64_e32 vcc_lo, 0xffffff, v[0:1]
	v_add_nc_u32_e32 v2, 15, v7
	v_cndmask_b32_e32 v6, v17, v2, vcc_lo
	v_cndmask_b32_e64 v2, 0, 1, vcc_lo
	s_delay_alu instid0(VALU_DEP_1)
	v_lshrrev_b64 v[2:3], v2, v[0:1]
; %bb.15575:                            ;   in Loop: Header=BB6_14012 Depth=2
	s_and_not1_saveexec_b32 s7, s7
; %bb.15576:                            ;   in Loop: Header=BB6_14012 Depth=2
	v_mov_b64_e32 v[2:3], v[0:1]
	v_bfe_u32 v6, v0, 23, 1
; %bb.15577:                            ;   in Loop: Header=BB6_14012 Depth=2
	s_or_b32 exec_lo, exec_lo, s7
	s_delay_alu instid0(VALU_DEP_2) | instskip(NEXT) | instid1(VALU_DEP_2)
	v_lshrrev_b64 v[2:3], 21, v[2:3]
	v_cmp_gt_i32_e32 vcc_lo, 32, v6
	v_cmp_ne_u32_e64 s7, 0, v6
                                        ; implicit-def: $vgpr17
	s_delay_alu instid0(VALU_DEP_3) | instskip(NEXT) | instid1(VALU_DEP_1)
	v_dual_cndmask_b32 v3, 0, v3 :: v_dual_cndmask_b32 v2, 3, v2
	v_cmp_ne_u64_e32 vcc_lo, 0, v[2:3]
	s_or_b32 s7, s7, vcc_lo
	s_delay_alu instid0(SALU_CYCLE_1) | instskip(NEXT) | instid1(SALU_CYCLE_1)
	s_and_saveexec_b32 s29, s7
	s_xor_b32 s7, exec_lo, s29
; %bb.15578:                            ;   in Loop: Header=BB6_14012 Depth=2
	v_min_i32_e32 v0, 31, v6
	s_delay_alu instid0(VALU_DEP_1) | instskip(NEXT) | instid1(VALU_DEP_1)
	v_lshl_or_b32 v0, v0, 2, v5
                                        ; implicit-def: $vgpr5
	v_and_or_b32 v17, v2, 3, v0
; %bb.15579:                            ;   in Loop: Header=BB6_14012 Depth=2
	s_and_not1_saveexec_b32 s7, s7
; %bb.15580:                            ;   in Loop: Header=BB6_14012 Depth=2
	v_mov_b32_e32 v17, v5
; %bb.15581:                            ;   in Loop: Header=BB6_14012 Depth=2
	s_or_b32 exec_lo, exec_lo, s7
.LBB6_15582:                            ;   in Loop: Header=BB6_14012 Depth=2
	s_delay_alu instid0(SALU_CYCLE_1)
	s_or_b32 exec_lo, exec_lo, s28
                                        ; implicit-def: $vgpr5
.LBB6_15583:                            ;   in Loop: Header=BB6_14012 Depth=2
	s_and_not1_saveexec_b32 s7, s11
; %bb.15584:                            ;   in Loop: Header=BB6_14012 Depth=2
	v_or_b32_e32 v17, 0x7b, v5
; %bb.15585:                            ;   in Loop: Header=BB6_14012 Depth=2
	s_or_b32 exec_lo, exec_lo, s7
                                        ; implicit-def: $vgpr2
.LBB6_15586:                            ;   in Loop: Header=BB6_14012 Depth=2
	s_and_not1_saveexec_b32 s7, s10
	s_cbranch_execz .LBB6_15592
; %bb.15587:                            ;   in Loop: Header=BB6_14012 Depth=2
	s_mov_b32 s10, exec_lo
                                        ; implicit-def: $vgpr17
	v_cmpx_ne_u64_e32 0, v[0:1]
	s_xor_b32 s10, exec_lo, s10
; %bb.15588:                            ;   in Loop: Header=BB6_14012 Depth=2
	v_lshrrev_b32_e32 v0, 24, v2
                                        ; implicit-def: $vgpr2
	s_delay_alu instid0(VALU_DEP_1)
	v_or_b32_e32 v17, 0x7f, v0
; %bb.15589:                            ;   in Loop: Header=BB6_14012 Depth=2
	s_and_not1_saveexec_b32 s10, s10
; %bb.15590:                            ;   in Loop: Header=BB6_14012 Depth=2
	v_cmp_lt_i32_e32 vcc_lo, -1, v2
	v_cndmask_b32_e64 v17, -4, 0x7c, vcc_lo
; %bb.15591:                            ;   in Loop: Header=BB6_14012 Depth=2
	s_or_b32 exec_lo, exec_lo, s10
.LBB6_15592:                            ;   in Loop: Header=BB6_14012 Depth=2
	s_delay_alu instid0(SALU_CYCLE_1) | instskip(SKIP_3) | instid1(VALU_DEP_2)
	s_or_b32 exec_lo, exec_lo, s7
	v_and_b32_e32 v5, 0xff, v78
	v_dual_mov_b32 v0, 0 :: v_dual_mov_b32 v2, 0
	s_mov_b32 s7, exec_lo
	v_cmpx_ne_u16_e32 0, v5
	s_cbranch_execz .LBB6_15602
; %bb.15593:                            ;   in Loop: Header=BB6_14012 Depth=2
	v_bfrev_b32_e32 v2, 1
	s_mov_b32 s10, exec_lo
	v_cmpx_ne_u16_e32 0x80, v5
	s_cbranch_execz .LBB6_15601
; %bb.15594:                            ;   in Loop: Header=BB6_14012 Depth=2
	v_and_b32_e32 v2, 0x7c, v78
	v_and_b32_e32 v3, 3, v78
	s_delay_alu instid0(VALU_DEP_2) | instskip(SKIP_1) | instid1(SALU_CYCLE_1)
	v_cmp_ne_u32_e32 vcc_lo, 0x7c, v2
                                        ; implicit-def: $vgpr2
	s_and_saveexec_b32 s11, vcc_lo
	s_xor_b32 s11, exec_lo, s11
	s_cbranch_execz .LBB6_15598
; %bb.15595:                            ;   in Loop: Header=BB6_14012 Depth=2
	v_bfe_u32 v2, v5, 2, 5
	s_mov_b32 s28, exec_lo
	s_delay_alu instid0(VALU_DEP_1)
	v_cmpx_eq_u32_e32 0, v2
	s_cbranch_execz .LBB6_15597
; %bb.15596:                            ;   in Loop: Header=BB6_14012 Depth=2
	v_clz_i32_u32_e32 v2, v3
	s_delay_alu instid0(VALU_DEP_1) | instskip(SKIP_1) | instid1(VALU_DEP_2)
	v_min_u32_e32 v2, 32, v2
	v_mov_b32_e32 v79, v1
	v_subrev_nc_u32_e32 v3, 29, v2
	v_sub_nc_u32_e32 v2, 30, v2
	s_delay_alu instid0(VALU_DEP_2) | instskip(NEXT) | instid1(VALU_DEP_1)
	v_lshlrev_b64_e32 v[6:7], v3, v[78:79]
	v_and_b32_e32 v3, 3, v6
.LBB6_15597:                            ;   in Loop: Header=BB6_14012 Depth=2
	s_or_b32 exec_lo, exec_lo, s28
	v_lshlrev_b32_e32 v5, 24, v78
                                        ; implicit-def: $vgpr78
	s_delay_alu instid0(VALU_DEP_1) | instskip(NEXT) | instid1(VALU_DEP_1)
	v_and_b32_e32 v5, 0x80000000, v5
	v_lshl_add_u32 v2, v2, 23, v5
	s_delay_alu instid0(VALU_DEP_1) | instskip(NEXT) | instid1(VALU_DEP_1)
	v_lshl_or_b32 v2, v3, 21, v2
                                        ; implicit-def: $vgpr3
	v_add_nc_u32_e32 v2, 0x38000000, v2
.LBB6_15598:                            ;   in Loop: Header=BB6_14012 Depth=2
	s_and_not1_saveexec_b32 s11, s11
; %bb.15599:                            ;   in Loop: Header=BB6_14012 Depth=2
	v_bfe_i32 v2, v78, 0, 8
	s_delay_alu instid0(VALU_DEP_1) | instskip(SKIP_1) | instid1(VALU_DEP_1)
	v_cmp_lt_i16_e32 vcc_lo, -1, v2
	v_mov_b32_e32 v2, 0x7f800000
	v_cndmask_b32_e32 v2, 0xff800000, v2, vcc_lo
	v_cmp_eq_u32_e32 vcc_lo, 0, v3
	s_delay_alu instid0(VALU_DEP_2)
	v_cndmask_b32_e32 v2, 0x7f800001, v2, vcc_lo
; %bb.15600:                            ;   in Loop: Header=BB6_14012 Depth=2
	s_or_b32 exec_lo, exec_lo, s11
.LBB6_15601:                            ;   in Loop: Header=BB6_14012 Depth=2
	s_delay_alu instid0(SALU_CYCLE_1)
	s_or_b32 exec_lo, exec_lo, s10
.LBB6_15602:                            ;   in Loop: Header=BB6_14012 Depth=2
	s_delay_alu instid0(SALU_CYCLE_1) | instskip(NEXT) | instid1(SALU_CYCLE_1)
	s_or_b32 exec_lo, exec_lo, s7
	s_mov_b32 s7, exec_lo
	s_wait_loadcnt_dscnt 0x1414
	v_cmpx_ne_u16_e32 0, v38
	s_cbranch_execz .LBB6_15612
; %bb.15603:                            ;   in Loop: Header=BB6_14012 Depth=2
	v_bfrev_b32_e32 v0, 1
	s_mov_b32 s10, exec_lo
	v_cmpx_ne_u16_e32 0xff80, v38
	s_cbranch_execz .LBB6_15611
; %bb.15604:                            ;   in Loop: Header=BB6_14012 Depth=2
	v_and_b32_e32 v0, 0x7c, v38
	v_and_b32_e32 v3, 3, v38
	s_delay_alu instid0(VALU_DEP_2) | instskip(SKIP_1) | instid1(SALU_CYCLE_1)
	v_cmp_ne_u32_e32 vcc_lo, 0x7c, v0
                                        ; implicit-def: $vgpr0
	s_and_saveexec_b32 s11, vcc_lo
	s_xor_b32 s11, exec_lo, s11
	s_cbranch_execz .LBB6_15608
; %bb.15605:                            ;   in Loop: Header=BB6_14012 Depth=2
	v_and_b32_e32 v0, 0xff, v38
	s_mov_b32 s28, exec_lo
	s_delay_alu instid0(VALU_DEP_1) | instskip(NEXT) | instid1(VALU_DEP_1)
	v_bfe_u32 v0, v0, 2, 5
	v_cmpx_eq_u32_e32 0, v0
	s_cbranch_execz .LBB6_15607
; %bb.15606:                            ;   in Loop: Header=BB6_14012 Depth=2
	v_clz_i32_u32_e32 v0, v3
	s_delay_alu instid0(VALU_DEP_1) | instskip(SKIP_1) | instid1(VALU_DEP_2)
	v_min_u32_e32 v0, 32, v0
	v_mov_b32_e32 v39, v1
	v_subrev_nc_u32_e32 v3, 29, v0
	v_sub_nc_u32_e32 v0, 30, v0
	s_delay_alu instid0(VALU_DEP_2) | instskip(NEXT) | instid1(VALU_DEP_1)
	v_lshlrev_b64_e32 v[6:7], v3, v[38:39]
	v_and_b32_e32 v3, 3, v6
.LBB6_15607:                            ;   in Loop: Header=BB6_14012 Depth=2
	s_or_b32 exec_lo, exec_lo, s28
	v_bfe_i32 v5, v38, 0, 16
                                        ; implicit-def: $vgpr38
	s_delay_alu instid0(VALU_DEP_1) | instskip(NEXT) | instid1(VALU_DEP_1)
	v_and_b32_e32 v5, 0x80000000, v5
	v_lshl_add_u32 v0, v0, 23, v5
	s_delay_alu instid0(VALU_DEP_1) | instskip(NEXT) | instid1(VALU_DEP_1)
	v_lshl_or_b32 v0, v3, 21, v0
                                        ; implicit-def: $vgpr3
	v_add_nc_u32_e32 v0, 0x38000000, v0
.LBB6_15608:                            ;   in Loop: Header=BB6_14012 Depth=2
	s_and_not1_saveexec_b32 s11, s11
; %bb.15609:                            ;   in Loop: Header=BB6_14012 Depth=2
	v_cmp_lt_i16_e32 vcc_lo, -1, v38
	v_mov_b32_e32 v0, 0x7f800000
	s_delay_alu instid0(VALU_DEP_1) | instskip(SKIP_1) | instid1(VALU_DEP_2)
	v_cndmask_b32_e32 v0, 0xff800000, v0, vcc_lo
	v_cmp_eq_u32_e32 vcc_lo, 0, v3
	v_cndmask_b32_e32 v0, 0x7f800001, v0, vcc_lo
; %bb.15610:                            ;   in Loop: Header=BB6_14012 Depth=2
	s_or_b32 exec_lo, exec_lo, s11
.LBB6_15611:                            ;   in Loop: Header=BB6_14012 Depth=2
	s_delay_alu instid0(SALU_CYCLE_1)
	s_or_b32 exec_lo, exec_lo, s10
.LBB6_15612:                            ;   in Loop: Header=BB6_14012 Depth=2
	s_delay_alu instid0(SALU_CYCLE_1) | instskip(NEXT) | instid1(VALU_DEP_1)
	s_or_b32 exec_lo, exec_lo, s7
	v_dual_add_f32 v2, v2, v0 :: v_dual_mov_b32 v7, v1
                                        ; implicit-def: $vgpr25
	s_mov_b32 s7, exec_lo
	s_delay_alu instid0(VALU_DEP_1) | instskip(SKIP_1) | instid1(VALU_DEP_2)
	v_and_b32_e32 v6, 0x7f800000, v2
	v_and_b32_e32 v0, 0x7fffff, v2
	v_cmpx_ne_u64_e32 0x7f800000, v[6:7]
	s_xor_b32 s10, exec_lo, s7
	s_cbranch_execz .LBB6_15630
; %bb.15613:                            ;   in Loop: Header=BB6_14012 Depth=2
	v_dual_mov_b32 v7, v1 :: v_dual_lshrrev_b32 v3, 24, v2
	v_and_b32_e32 v6, 0x7fffffff, v2
                                        ; implicit-def: $vgpr25
	s_mov_b32 s7, exec_lo
	s_delay_alu instid0(VALU_DEP_2) | instskip(NEXT) | instid1(VALU_DEP_2)
	v_and_b32_e32 v5, 0x80, v3
	v_cmpx_gt_u64_e32 0x47600001, v[6:7]
	s_xor_b32 s11, exec_lo, s7
	s_cbranch_execz .LBB6_15627
; %bb.15614:                            ;   in Loop: Header=BB6_14012 Depth=2
	v_mov_b32_e32 v25, 0
	s_mov_b32 s28, exec_lo
	v_cmpx_ne_u32_e32 0, v2
	s_cbranch_execz .LBB6_15626
; %bb.15615:                            ;   in Loop: Header=BB6_14012 Depth=2
	v_bfe_u32 v19, v2, 23, 8
	v_or_b32_e32 v6, 0x800000, v0
	s_mov_b32 s29, exec_lo
	s_delay_alu instid0(VALU_DEP_2) | instskip(SKIP_1) | instid1(VALU_DEP_2)
	v_dual_mov_b32 v7, v1 :: v_dual_sub_nc_u32 v2, 0x71, v19
	v_cmp_gt_u32_e32 vcc_lo, 0x72, v19
	v_cndmask_b32_e32 v2, 0, v2, vcc_lo
	v_cmp_eq_u32_e32 vcc_lo, 0, v19
	s_delay_alu instid0(VALU_DEP_2) | instskip(NEXT) | instid1(VALU_DEP_1)
	v_cndmask_b32_e64 v25, v2, 0x70, vcc_lo
	v_dual_cndmask_b32 v6, v6, v0, vcc_lo :: v_dual_add_nc_u32 v2, 21, v25
	v_add_nc_u32_e32 v27, 20, v25
	s_delay_alu instid0(VALU_DEP_2) | instskip(NEXT) | instid1(VALU_DEP_2)
	v_lshlrev_b64_e64 v[2:3], v2, -1
	v_lshlrev_b64_e64 v[28:29], v27, 1
	s_delay_alu instid0(VALU_DEP_2) | instskip(NEXT) | instid1(VALU_DEP_3)
	v_bfi_b32 v33, v3, 0, 0
	v_bfi_b32 v32, v2, 0, v6
	v_lshrrev_b64 v[2:3], v25, v[6:7]
	s_delay_alu instid0(VALU_DEP_1) | instskip(NEXT) | instid1(VALU_DEP_3)
	v_mov_b64_e32 v[6:7], v[2:3]
	v_cmpx_eq_u64_e64 v[32:33], v[28:29]
; %bb.15616:                            ;   in Loop: Header=BB6_14012 Depth=2
	v_bfe_u32 v6, v2, 21, 1
	v_mov_b32_e32 v7, v1
	s_delay_alu instid0(VALU_DEP_1) | instskip(NEXT) | instid1(VALU_DEP_1)
	v_add_nc_u64_e32 v[6:7], v[2:3], v[6:7]
	v_add_nc_u64_e32 v[6:7], -1, v[6:7]
; %bb.15617:                            ;   in Loop: Header=BB6_14012 Depth=2
	s_or_b32 exec_lo, exec_lo, s29
	v_add_nc_u32_e32 v0, 0xffffff81, v19
	s_delay_alu instid0(VALU_DEP_2) | instskip(SKIP_2) | instid1(VALU_DEP_3)
	v_and_b32_e32 v6, 0x1fffff, v6
	v_lshrrev_b32_e32 v3, 23, v2
	s_mov_b32 s7, exec_lo
	v_cndmask_b32_e64 v0, v0, 0xffffff82, vcc_lo
	s_delay_alu instid0(VALU_DEP_1) | instskip(SKIP_1) | instid1(VALU_DEP_2)
	v_add3_u32 v7, v25, v0, v3
	v_add_nc_u32_e32 v0, v6, v2
                                        ; implicit-def: $vgpr2_vgpr3
                                        ; implicit-def: $vgpr6
	v_add_nc_u32_e32 v19, 14, v7
	s_delay_alu instid0(VALU_DEP_1)
	v_cmpx_ne_u32_e32 0, v19
	s_xor_b32 s7, exec_lo, s7
; %bb.15618:                            ;   in Loop: Header=BB6_14012 Depth=2
	s_delay_alu instid0(VALU_DEP_3) | instskip(SKIP_1) | instid1(VALU_DEP_1)
	v_cmp_lt_u64_e32 vcc_lo, 0xffffff, v[0:1]
	v_add_nc_u32_e32 v2, 15, v7
	v_cndmask_b32_e32 v6, v19, v2, vcc_lo
	v_cndmask_b32_e64 v2, 0, 1, vcc_lo
	s_delay_alu instid0(VALU_DEP_1)
	v_lshrrev_b64 v[2:3], v2, v[0:1]
; %bb.15619:                            ;   in Loop: Header=BB6_14012 Depth=2
	s_and_not1_saveexec_b32 s7, s7
; %bb.15620:                            ;   in Loop: Header=BB6_14012 Depth=2
	v_mov_b64_e32 v[2:3], v[0:1]
	v_bfe_u32 v6, v0, 23, 1
; %bb.15621:                            ;   in Loop: Header=BB6_14012 Depth=2
	s_or_b32 exec_lo, exec_lo, s7
	s_delay_alu instid0(VALU_DEP_2) | instskip(NEXT) | instid1(VALU_DEP_2)
	v_lshrrev_b64 v[2:3], 21, v[2:3]
	v_cmp_gt_i32_e32 vcc_lo, 32, v6
	v_cmp_ne_u32_e64 s7, 0, v6
                                        ; implicit-def: $vgpr25
	s_delay_alu instid0(VALU_DEP_3) | instskip(NEXT) | instid1(VALU_DEP_1)
	v_dual_cndmask_b32 v3, 0, v3 :: v_dual_cndmask_b32 v2, 3, v2
	v_cmp_ne_u64_e32 vcc_lo, 0, v[2:3]
	s_or_b32 s7, s7, vcc_lo
	s_delay_alu instid0(SALU_CYCLE_1) | instskip(NEXT) | instid1(SALU_CYCLE_1)
	s_and_saveexec_b32 s29, s7
	s_xor_b32 s7, exec_lo, s29
; %bb.15622:                            ;   in Loop: Header=BB6_14012 Depth=2
	v_min_i32_e32 v0, 31, v6
	s_delay_alu instid0(VALU_DEP_1) | instskip(NEXT) | instid1(VALU_DEP_1)
	v_lshl_or_b32 v0, v0, 2, v5
                                        ; implicit-def: $vgpr5
	v_and_or_b32 v25, v2, 3, v0
; %bb.15623:                            ;   in Loop: Header=BB6_14012 Depth=2
	s_and_not1_saveexec_b32 s7, s7
; %bb.15624:                            ;   in Loop: Header=BB6_14012 Depth=2
	v_mov_b32_e32 v25, v5
; %bb.15625:                            ;   in Loop: Header=BB6_14012 Depth=2
	s_or_b32 exec_lo, exec_lo, s7
.LBB6_15626:                            ;   in Loop: Header=BB6_14012 Depth=2
	s_delay_alu instid0(SALU_CYCLE_1)
	s_or_b32 exec_lo, exec_lo, s28
                                        ; implicit-def: $vgpr5
.LBB6_15627:                            ;   in Loop: Header=BB6_14012 Depth=2
	s_and_not1_saveexec_b32 s7, s11
; %bb.15628:                            ;   in Loop: Header=BB6_14012 Depth=2
	v_or_b32_e32 v25, 0x7b, v5
; %bb.15629:                            ;   in Loop: Header=BB6_14012 Depth=2
	s_or_b32 exec_lo, exec_lo, s7
                                        ; implicit-def: $vgpr2
.LBB6_15630:                            ;   in Loop: Header=BB6_14012 Depth=2
	s_and_not1_saveexec_b32 s7, s10
	s_cbranch_execz .LBB6_15636
; %bb.15631:                            ;   in Loop: Header=BB6_14012 Depth=2
	s_mov_b32 s10, exec_lo
                                        ; implicit-def: $vgpr25
	v_cmpx_ne_u64_e32 0, v[0:1]
	s_xor_b32 s10, exec_lo, s10
; %bb.15632:                            ;   in Loop: Header=BB6_14012 Depth=2
	v_lshrrev_b32_e32 v0, 24, v2
                                        ; implicit-def: $vgpr2
	s_delay_alu instid0(VALU_DEP_1)
	v_or_b32_e32 v25, 0x7f, v0
; %bb.15633:                            ;   in Loop: Header=BB6_14012 Depth=2
	s_and_not1_saveexec_b32 s10, s10
; %bb.15634:                            ;   in Loop: Header=BB6_14012 Depth=2
	v_cmp_lt_i32_e32 vcc_lo, -1, v2
	v_cndmask_b32_e64 v25, -4, 0x7c, vcc_lo
; %bb.15635:                            ;   in Loop: Header=BB6_14012 Depth=2
	s_or_b32 exec_lo, exec_lo, s10
.LBB6_15636:                            ;   in Loop: Header=BB6_14012 Depth=2
	s_delay_alu instid0(SALU_CYCLE_1) | instskip(SKIP_3) | instid1(VALU_DEP_2)
	s_or_b32 exec_lo, exec_lo, s7
	v_and_b32_e32 v5, 0xff, v74
	v_dual_mov_b32 v0, 0 :: v_dual_mov_b32 v2, 0
	s_mov_b32 s7, exec_lo
	v_cmpx_ne_u16_e32 0, v5
	s_cbranch_execz .LBB6_15646
; %bb.15637:                            ;   in Loop: Header=BB6_14012 Depth=2
	v_bfrev_b32_e32 v2, 1
	s_mov_b32 s10, exec_lo
	v_cmpx_ne_u16_e32 0x80, v5
	s_cbranch_execz .LBB6_15645
; %bb.15638:                            ;   in Loop: Header=BB6_14012 Depth=2
	v_and_b32_e32 v2, 0x7c, v74
	v_and_b32_e32 v3, 3, v74
	s_delay_alu instid0(VALU_DEP_2) | instskip(SKIP_1) | instid1(SALU_CYCLE_1)
	v_cmp_ne_u32_e32 vcc_lo, 0x7c, v2
                                        ; implicit-def: $vgpr2
	s_and_saveexec_b32 s11, vcc_lo
	s_xor_b32 s11, exec_lo, s11
	s_cbranch_execz .LBB6_15642
; %bb.15639:                            ;   in Loop: Header=BB6_14012 Depth=2
	v_bfe_u32 v2, v5, 2, 5
	s_mov_b32 s28, exec_lo
	s_delay_alu instid0(VALU_DEP_1)
	v_cmpx_eq_u32_e32 0, v2
	s_cbranch_execz .LBB6_15641
; %bb.15640:                            ;   in Loop: Header=BB6_14012 Depth=2
	v_clz_i32_u32_e32 v2, v3
	s_delay_alu instid0(VALU_DEP_1) | instskip(SKIP_1) | instid1(VALU_DEP_2)
	v_min_u32_e32 v2, 32, v2
	v_mov_b32_e32 v75, v1
	v_subrev_nc_u32_e32 v3, 29, v2
	v_sub_nc_u32_e32 v2, 30, v2
	s_delay_alu instid0(VALU_DEP_2) | instskip(NEXT) | instid1(VALU_DEP_1)
	v_lshlrev_b64_e32 v[6:7], v3, v[74:75]
	v_and_b32_e32 v3, 3, v6
.LBB6_15641:                            ;   in Loop: Header=BB6_14012 Depth=2
	s_or_b32 exec_lo, exec_lo, s28
	v_lshlrev_b32_e32 v5, 24, v74
                                        ; implicit-def: $vgpr74
	s_delay_alu instid0(VALU_DEP_1) | instskip(NEXT) | instid1(VALU_DEP_1)
	v_and_b32_e32 v5, 0x80000000, v5
	v_lshl_add_u32 v2, v2, 23, v5
	s_delay_alu instid0(VALU_DEP_1) | instskip(NEXT) | instid1(VALU_DEP_1)
	v_lshl_or_b32 v2, v3, 21, v2
                                        ; implicit-def: $vgpr3
	v_add_nc_u32_e32 v2, 0x38000000, v2
.LBB6_15642:                            ;   in Loop: Header=BB6_14012 Depth=2
	s_and_not1_saveexec_b32 s11, s11
; %bb.15643:                            ;   in Loop: Header=BB6_14012 Depth=2
	v_bfe_i32 v2, v74, 0, 8
	s_delay_alu instid0(VALU_DEP_1) | instskip(SKIP_1) | instid1(VALU_DEP_1)
	v_cmp_lt_i16_e32 vcc_lo, -1, v2
	v_mov_b32_e32 v2, 0x7f800000
	v_cndmask_b32_e32 v2, 0xff800000, v2, vcc_lo
	v_cmp_eq_u32_e32 vcc_lo, 0, v3
	s_delay_alu instid0(VALU_DEP_2)
	v_cndmask_b32_e32 v2, 0x7f800001, v2, vcc_lo
; %bb.15644:                            ;   in Loop: Header=BB6_14012 Depth=2
	s_or_b32 exec_lo, exec_lo, s11
.LBB6_15645:                            ;   in Loop: Header=BB6_14012 Depth=2
	s_delay_alu instid0(SALU_CYCLE_1)
	s_or_b32 exec_lo, exec_lo, s10
.LBB6_15646:                            ;   in Loop: Header=BB6_14012 Depth=2
	s_delay_alu instid0(SALU_CYCLE_1) | instskip(NEXT) | instid1(SALU_CYCLE_1)
	s_or_b32 exec_lo, exec_lo, s7
	s_mov_b32 s7, exec_lo
	s_wait_loadcnt_dscnt 0x1313
	v_cmpx_ne_u16_e32 0, v84
	s_cbranch_execz .LBB6_15656
; %bb.15647:                            ;   in Loop: Header=BB6_14012 Depth=2
	v_bfrev_b32_e32 v0, 1
	s_mov_b32 s10, exec_lo
	v_cmpx_ne_u16_e32 0xff80, v84
	s_cbranch_execz .LBB6_15655
; %bb.15648:                            ;   in Loop: Header=BB6_14012 Depth=2
	v_and_b32_e32 v0, 0x7c, v84
	v_and_b32_e32 v3, 3, v84
	s_delay_alu instid0(VALU_DEP_2) | instskip(SKIP_1) | instid1(SALU_CYCLE_1)
	v_cmp_ne_u32_e32 vcc_lo, 0x7c, v0
                                        ; implicit-def: $vgpr0
	s_and_saveexec_b32 s11, vcc_lo
	s_xor_b32 s11, exec_lo, s11
	s_cbranch_execz .LBB6_15652
; %bb.15649:                            ;   in Loop: Header=BB6_14012 Depth=2
	v_and_b32_e32 v0, 0xff, v84
	s_mov_b32 s28, exec_lo
	s_delay_alu instid0(VALU_DEP_1) | instskip(NEXT) | instid1(VALU_DEP_1)
	v_bfe_u32 v0, v0, 2, 5
	v_cmpx_eq_u32_e32 0, v0
	s_cbranch_execz .LBB6_15651
; %bb.15650:                            ;   in Loop: Header=BB6_14012 Depth=2
	v_clz_i32_u32_e32 v0, v3
	s_delay_alu instid0(VALU_DEP_1) | instskip(SKIP_1) | instid1(VALU_DEP_2)
	v_min_u32_e32 v0, 32, v0
	v_mov_b32_e32 v85, v1
	v_subrev_nc_u32_e32 v3, 29, v0
	v_sub_nc_u32_e32 v0, 30, v0
	s_delay_alu instid0(VALU_DEP_2) | instskip(NEXT) | instid1(VALU_DEP_1)
	v_lshlrev_b64_e32 v[6:7], v3, v[84:85]
	v_and_b32_e32 v3, 3, v6
.LBB6_15651:                            ;   in Loop: Header=BB6_14012 Depth=2
	s_or_b32 exec_lo, exec_lo, s28
	v_bfe_i32 v5, v84, 0, 16
                                        ; implicit-def: $vgpr84
	s_delay_alu instid0(VALU_DEP_1) | instskip(NEXT) | instid1(VALU_DEP_1)
	v_and_b32_e32 v5, 0x80000000, v5
	v_lshl_add_u32 v0, v0, 23, v5
	s_delay_alu instid0(VALU_DEP_1) | instskip(NEXT) | instid1(VALU_DEP_1)
	v_lshl_or_b32 v0, v3, 21, v0
                                        ; implicit-def: $vgpr3
	v_add_nc_u32_e32 v0, 0x38000000, v0
.LBB6_15652:                            ;   in Loop: Header=BB6_14012 Depth=2
	s_and_not1_saveexec_b32 s11, s11
; %bb.15653:                            ;   in Loop: Header=BB6_14012 Depth=2
	v_cmp_lt_i16_e32 vcc_lo, -1, v84
	v_mov_b32_e32 v0, 0x7f800000
	s_delay_alu instid0(VALU_DEP_1) | instskip(SKIP_1) | instid1(VALU_DEP_2)
	v_cndmask_b32_e32 v0, 0xff800000, v0, vcc_lo
	v_cmp_eq_u32_e32 vcc_lo, 0, v3
	v_cndmask_b32_e32 v0, 0x7f800001, v0, vcc_lo
; %bb.15654:                            ;   in Loop: Header=BB6_14012 Depth=2
	s_or_b32 exec_lo, exec_lo, s11
.LBB6_15655:                            ;   in Loop: Header=BB6_14012 Depth=2
	s_delay_alu instid0(SALU_CYCLE_1)
	s_or_b32 exec_lo, exec_lo, s10
.LBB6_15656:                            ;   in Loop: Header=BB6_14012 Depth=2
	s_delay_alu instid0(SALU_CYCLE_1) | instskip(NEXT) | instid1(VALU_DEP_1)
	s_or_b32 exec_lo, exec_lo, s7
	v_dual_add_f32 v2, v2, v0 :: v_dual_mov_b32 v7, v1
                                        ; implicit-def: $vgpr28
	s_mov_b32 s7, exec_lo
	s_delay_alu instid0(VALU_DEP_1) | instskip(SKIP_1) | instid1(VALU_DEP_2)
	v_and_b32_e32 v6, 0x7f800000, v2
	v_and_b32_e32 v0, 0x7fffff, v2
	v_cmpx_ne_u64_e32 0x7f800000, v[6:7]
	s_xor_b32 s10, exec_lo, s7
	s_cbranch_execz .LBB6_15674
; %bb.15657:                            ;   in Loop: Header=BB6_14012 Depth=2
	v_dual_mov_b32 v7, v1 :: v_dual_lshrrev_b32 v3, 24, v2
	v_and_b32_e32 v6, 0x7fffffff, v2
                                        ; implicit-def: $vgpr28
	s_mov_b32 s7, exec_lo
	s_delay_alu instid0(VALU_DEP_2) | instskip(NEXT) | instid1(VALU_DEP_2)
	v_and_b32_e32 v5, 0x80, v3
	v_cmpx_gt_u64_e32 0x47600001, v[6:7]
	s_xor_b32 s11, exec_lo, s7
	s_cbranch_execz .LBB6_15671
; %bb.15658:                            ;   in Loop: Header=BB6_14012 Depth=2
	v_mov_b32_e32 v28, 0
	s_mov_b32 s28, exec_lo
	v_cmpx_ne_u32_e32 0, v2
	s_cbranch_execz .LBB6_15670
; %bb.15659:                            ;   in Loop: Header=BB6_14012 Depth=2
	v_bfe_u32 v19, v2, 23, 8
	v_or_b32_e32 v6, 0x800000, v0
	s_mov_b32 s29, exec_lo
	s_delay_alu instid0(VALU_DEP_2) | instskip(SKIP_1) | instid1(VALU_DEP_2)
	v_dual_mov_b32 v7, v1 :: v_dual_sub_nc_u32 v2, 0x71, v19
	v_cmp_gt_u32_e32 vcc_lo, 0x72, v19
	v_cndmask_b32_e32 v2, 0, v2, vcc_lo
	v_cmp_eq_u32_e32 vcc_lo, 0, v19
	s_delay_alu instid0(VALU_DEP_2) | instskip(NEXT) | instid1(VALU_DEP_1)
	v_cndmask_b32_e64 v27, v2, 0x70, vcc_lo
	v_dual_cndmask_b32 v6, v6, v0, vcc_lo :: v_dual_add_nc_u32 v2, 21, v27
	v_add_nc_u32_e32 v28, 20, v27
	s_delay_alu instid0(VALU_DEP_2) | instskip(NEXT) | instid1(VALU_DEP_2)
	v_lshlrev_b64_e64 v[2:3], v2, -1
	v_lshlrev_b64_e64 v[28:29], v28, 1
	s_delay_alu instid0(VALU_DEP_2) | instskip(NEXT) | instid1(VALU_DEP_3)
	v_bfi_b32 v33, v3, 0, 0
	v_bfi_b32 v32, v2, 0, v6
	v_lshrrev_b64 v[2:3], v27, v[6:7]
	s_delay_alu instid0(VALU_DEP_1) | instskip(NEXT) | instid1(VALU_DEP_3)
	v_mov_b64_e32 v[6:7], v[2:3]
	v_cmpx_eq_u64_e64 v[32:33], v[28:29]
; %bb.15660:                            ;   in Loop: Header=BB6_14012 Depth=2
	v_bfe_u32 v6, v2, 21, 1
	v_mov_b32_e32 v7, v1
	s_delay_alu instid0(VALU_DEP_1) | instskip(NEXT) | instid1(VALU_DEP_1)
	v_add_nc_u64_e32 v[6:7], v[2:3], v[6:7]
	v_add_nc_u64_e32 v[6:7], -1, v[6:7]
; %bb.15661:                            ;   in Loop: Header=BB6_14012 Depth=2
	s_or_b32 exec_lo, exec_lo, s29
	v_add_nc_u32_e32 v0, 0xffffff81, v19
	s_delay_alu instid0(VALU_DEP_2) | instskip(SKIP_2) | instid1(VALU_DEP_3)
	v_and_b32_e32 v6, 0x1fffff, v6
	v_lshrrev_b32_e32 v3, 23, v2
	s_mov_b32 s7, exec_lo
	v_cndmask_b32_e64 v0, v0, 0xffffff82, vcc_lo
	s_delay_alu instid0(VALU_DEP_1) | instskip(SKIP_1) | instid1(VALU_DEP_2)
	v_add3_u32 v7, v27, v0, v3
	v_add_nc_u32_e32 v0, v6, v2
                                        ; implicit-def: $vgpr2_vgpr3
                                        ; implicit-def: $vgpr6
	v_add_nc_u32_e32 v19, 14, v7
	s_delay_alu instid0(VALU_DEP_1)
	v_cmpx_ne_u32_e32 0, v19
	s_xor_b32 s7, exec_lo, s7
; %bb.15662:                            ;   in Loop: Header=BB6_14012 Depth=2
	s_delay_alu instid0(VALU_DEP_3) | instskip(SKIP_1) | instid1(VALU_DEP_1)
	v_cmp_lt_u64_e32 vcc_lo, 0xffffff, v[0:1]
	v_add_nc_u32_e32 v2, 15, v7
	v_cndmask_b32_e32 v6, v19, v2, vcc_lo
	v_cndmask_b32_e64 v2, 0, 1, vcc_lo
	s_delay_alu instid0(VALU_DEP_1)
	v_lshrrev_b64 v[2:3], v2, v[0:1]
; %bb.15663:                            ;   in Loop: Header=BB6_14012 Depth=2
	s_and_not1_saveexec_b32 s7, s7
; %bb.15664:                            ;   in Loop: Header=BB6_14012 Depth=2
	v_mov_b64_e32 v[2:3], v[0:1]
	v_bfe_u32 v6, v0, 23, 1
; %bb.15665:                            ;   in Loop: Header=BB6_14012 Depth=2
	s_or_b32 exec_lo, exec_lo, s7
	s_delay_alu instid0(VALU_DEP_2) | instskip(NEXT) | instid1(VALU_DEP_2)
	v_lshrrev_b64 v[2:3], 21, v[2:3]
	v_cmp_gt_i32_e32 vcc_lo, 32, v6
	v_cmp_ne_u32_e64 s7, 0, v6
                                        ; implicit-def: $vgpr28
	s_delay_alu instid0(VALU_DEP_3) | instskip(NEXT) | instid1(VALU_DEP_1)
	v_dual_cndmask_b32 v3, 0, v3 :: v_dual_cndmask_b32 v2, 3, v2
	v_cmp_ne_u64_e32 vcc_lo, 0, v[2:3]
	s_or_b32 s7, s7, vcc_lo
	s_delay_alu instid0(SALU_CYCLE_1) | instskip(NEXT) | instid1(SALU_CYCLE_1)
	s_and_saveexec_b32 s29, s7
	s_xor_b32 s7, exec_lo, s29
; %bb.15666:                            ;   in Loop: Header=BB6_14012 Depth=2
	v_min_i32_e32 v0, 31, v6
	s_delay_alu instid0(VALU_DEP_1) | instskip(NEXT) | instid1(VALU_DEP_1)
	v_lshl_or_b32 v0, v0, 2, v5
                                        ; implicit-def: $vgpr5
	v_and_or_b32 v28, v2, 3, v0
; %bb.15667:                            ;   in Loop: Header=BB6_14012 Depth=2
	s_and_not1_saveexec_b32 s7, s7
; %bb.15668:                            ;   in Loop: Header=BB6_14012 Depth=2
	v_mov_b32_e32 v28, v5
; %bb.15669:                            ;   in Loop: Header=BB6_14012 Depth=2
	s_or_b32 exec_lo, exec_lo, s7
.LBB6_15670:                            ;   in Loop: Header=BB6_14012 Depth=2
	s_delay_alu instid0(SALU_CYCLE_1)
	s_or_b32 exec_lo, exec_lo, s28
                                        ; implicit-def: $vgpr5
.LBB6_15671:                            ;   in Loop: Header=BB6_14012 Depth=2
	s_and_not1_saveexec_b32 s7, s11
; %bb.15672:                            ;   in Loop: Header=BB6_14012 Depth=2
	v_or_b32_e32 v28, 0x7b, v5
; %bb.15673:                            ;   in Loop: Header=BB6_14012 Depth=2
	s_or_b32 exec_lo, exec_lo, s7
                                        ; implicit-def: $vgpr2
.LBB6_15674:                            ;   in Loop: Header=BB6_14012 Depth=2
	s_and_not1_saveexec_b32 s7, s10
	s_cbranch_execz .LBB6_15680
; %bb.15675:                            ;   in Loop: Header=BB6_14012 Depth=2
	s_mov_b32 s10, exec_lo
                                        ; implicit-def: $vgpr28
	v_cmpx_ne_u64_e32 0, v[0:1]
	s_xor_b32 s10, exec_lo, s10
; %bb.15676:                            ;   in Loop: Header=BB6_14012 Depth=2
	v_lshrrev_b32_e32 v0, 24, v2
                                        ; implicit-def: $vgpr2
	s_delay_alu instid0(VALU_DEP_1)
	v_or_b32_e32 v28, 0x7f, v0
; %bb.15677:                            ;   in Loop: Header=BB6_14012 Depth=2
	s_and_not1_saveexec_b32 s10, s10
; %bb.15678:                            ;   in Loop: Header=BB6_14012 Depth=2
	v_cmp_lt_i32_e32 vcc_lo, -1, v2
	v_cndmask_b32_e64 v28, -4, 0x7c, vcc_lo
; %bb.15679:                            ;   in Loop: Header=BB6_14012 Depth=2
	s_or_b32 exec_lo, exec_lo, s10
.LBB6_15680:                            ;   in Loop: Header=BB6_14012 Depth=2
	s_delay_alu instid0(SALU_CYCLE_1) | instskip(SKIP_3) | instid1(VALU_DEP_2)
	s_or_b32 exec_lo, exec_lo, s7
	v_and_b32_e32 v5, 0xff, v72
	v_dual_mov_b32 v0, 0 :: v_dual_mov_b32 v2, 0
	s_mov_b32 s7, exec_lo
	v_cmpx_ne_u16_e32 0, v5
	s_cbranch_execz .LBB6_15690
; %bb.15681:                            ;   in Loop: Header=BB6_14012 Depth=2
	v_bfrev_b32_e32 v2, 1
	s_mov_b32 s10, exec_lo
	v_cmpx_ne_u16_e32 0x80, v5
	s_cbranch_execz .LBB6_15689
; %bb.15682:                            ;   in Loop: Header=BB6_14012 Depth=2
	v_and_b32_e32 v2, 0x7c, v72
	v_and_b32_e32 v3, 3, v72
	s_delay_alu instid0(VALU_DEP_2) | instskip(SKIP_1) | instid1(SALU_CYCLE_1)
	v_cmp_ne_u32_e32 vcc_lo, 0x7c, v2
                                        ; implicit-def: $vgpr2
	s_and_saveexec_b32 s11, vcc_lo
	s_xor_b32 s11, exec_lo, s11
	s_cbranch_execz .LBB6_15686
; %bb.15683:                            ;   in Loop: Header=BB6_14012 Depth=2
	v_bfe_u32 v2, v5, 2, 5
	s_mov_b32 s28, exec_lo
	s_delay_alu instid0(VALU_DEP_1)
	v_cmpx_eq_u32_e32 0, v2
	s_cbranch_execz .LBB6_15685
; %bb.15684:                            ;   in Loop: Header=BB6_14012 Depth=2
	v_clz_i32_u32_e32 v2, v3
	s_delay_alu instid0(VALU_DEP_1) | instskip(SKIP_1) | instid1(VALU_DEP_2)
	v_min_u32_e32 v2, 32, v2
	v_mov_b32_e32 v73, v1
	v_subrev_nc_u32_e32 v3, 29, v2
	v_sub_nc_u32_e32 v2, 30, v2
	s_delay_alu instid0(VALU_DEP_2) | instskip(NEXT) | instid1(VALU_DEP_1)
	v_lshlrev_b64_e32 v[6:7], v3, v[72:73]
	v_and_b32_e32 v3, 3, v6
.LBB6_15685:                            ;   in Loop: Header=BB6_14012 Depth=2
	s_or_b32 exec_lo, exec_lo, s28
	v_lshlrev_b32_e32 v5, 24, v72
                                        ; implicit-def: $vgpr72
	s_delay_alu instid0(VALU_DEP_1) | instskip(NEXT) | instid1(VALU_DEP_1)
	v_and_b32_e32 v5, 0x80000000, v5
	v_lshl_add_u32 v2, v2, 23, v5
	s_delay_alu instid0(VALU_DEP_1) | instskip(NEXT) | instid1(VALU_DEP_1)
	v_lshl_or_b32 v2, v3, 21, v2
                                        ; implicit-def: $vgpr3
	v_add_nc_u32_e32 v2, 0x38000000, v2
.LBB6_15686:                            ;   in Loop: Header=BB6_14012 Depth=2
	s_and_not1_saveexec_b32 s11, s11
; %bb.15687:                            ;   in Loop: Header=BB6_14012 Depth=2
	v_bfe_i32 v2, v72, 0, 8
	s_delay_alu instid0(VALU_DEP_1) | instskip(SKIP_1) | instid1(VALU_DEP_1)
	v_cmp_lt_i16_e32 vcc_lo, -1, v2
	v_mov_b32_e32 v2, 0x7f800000
	v_cndmask_b32_e32 v2, 0xff800000, v2, vcc_lo
	v_cmp_eq_u32_e32 vcc_lo, 0, v3
	s_delay_alu instid0(VALU_DEP_2)
	v_cndmask_b32_e32 v2, 0x7f800001, v2, vcc_lo
; %bb.15688:                            ;   in Loop: Header=BB6_14012 Depth=2
	s_or_b32 exec_lo, exec_lo, s11
.LBB6_15689:                            ;   in Loop: Header=BB6_14012 Depth=2
	s_delay_alu instid0(SALU_CYCLE_1)
	s_or_b32 exec_lo, exec_lo, s10
.LBB6_15690:                            ;   in Loop: Header=BB6_14012 Depth=2
	s_delay_alu instid0(SALU_CYCLE_1) | instskip(NEXT) | instid1(SALU_CYCLE_1)
	s_or_b32 exec_lo, exec_lo, s7
	s_mov_b32 s7, exec_lo
	s_wait_loadcnt_dscnt 0x1212
	v_cmpx_ne_u16_e32 0, v54
	s_cbranch_execz .LBB6_15700
; %bb.15691:                            ;   in Loop: Header=BB6_14012 Depth=2
	v_bfrev_b32_e32 v0, 1
	s_mov_b32 s10, exec_lo
	v_cmpx_ne_u16_e32 0xff80, v54
	s_cbranch_execz .LBB6_15699
; %bb.15692:                            ;   in Loop: Header=BB6_14012 Depth=2
	v_and_b32_e32 v0, 0x7c, v54
	v_and_b32_e32 v3, 3, v54
	s_delay_alu instid0(VALU_DEP_2) | instskip(SKIP_1) | instid1(SALU_CYCLE_1)
	v_cmp_ne_u32_e32 vcc_lo, 0x7c, v0
                                        ; implicit-def: $vgpr0
	s_and_saveexec_b32 s11, vcc_lo
	s_xor_b32 s11, exec_lo, s11
	s_cbranch_execz .LBB6_15696
; %bb.15693:                            ;   in Loop: Header=BB6_14012 Depth=2
	v_and_b32_e32 v0, 0xff, v54
	s_mov_b32 s28, exec_lo
	s_delay_alu instid0(VALU_DEP_1) | instskip(NEXT) | instid1(VALU_DEP_1)
	v_bfe_u32 v0, v0, 2, 5
	v_cmpx_eq_u32_e32 0, v0
	s_cbranch_execz .LBB6_15695
; %bb.15694:                            ;   in Loop: Header=BB6_14012 Depth=2
	v_clz_i32_u32_e32 v0, v3
	s_delay_alu instid0(VALU_DEP_1) | instskip(SKIP_1) | instid1(VALU_DEP_2)
	v_min_u32_e32 v0, 32, v0
	v_mov_b32_e32 v55, v1
	v_subrev_nc_u32_e32 v3, 29, v0
	v_sub_nc_u32_e32 v0, 30, v0
	s_delay_alu instid0(VALU_DEP_2) | instskip(NEXT) | instid1(VALU_DEP_1)
	v_lshlrev_b64_e32 v[6:7], v3, v[54:55]
	v_and_b32_e32 v3, 3, v6
.LBB6_15695:                            ;   in Loop: Header=BB6_14012 Depth=2
	s_or_b32 exec_lo, exec_lo, s28
	v_bfe_i32 v5, v54, 0, 16
                                        ; implicit-def: $vgpr54
	s_delay_alu instid0(VALU_DEP_1) | instskip(NEXT) | instid1(VALU_DEP_1)
	v_and_b32_e32 v5, 0x80000000, v5
	v_lshl_add_u32 v0, v0, 23, v5
	s_delay_alu instid0(VALU_DEP_1) | instskip(NEXT) | instid1(VALU_DEP_1)
	v_lshl_or_b32 v0, v3, 21, v0
                                        ; implicit-def: $vgpr3
	v_add_nc_u32_e32 v0, 0x38000000, v0
.LBB6_15696:                            ;   in Loop: Header=BB6_14012 Depth=2
	s_and_not1_saveexec_b32 s11, s11
; %bb.15697:                            ;   in Loop: Header=BB6_14012 Depth=2
	v_cmp_lt_i16_e32 vcc_lo, -1, v54
	v_mov_b32_e32 v0, 0x7f800000
	s_delay_alu instid0(VALU_DEP_1) | instskip(SKIP_1) | instid1(VALU_DEP_2)
	v_cndmask_b32_e32 v0, 0xff800000, v0, vcc_lo
	v_cmp_eq_u32_e32 vcc_lo, 0, v3
	v_cndmask_b32_e32 v0, 0x7f800001, v0, vcc_lo
; %bb.15698:                            ;   in Loop: Header=BB6_14012 Depth=2
	s_or_b32 exec_lo, exec_lo, s11
.LBB6_15699:                            ;   in Loop: Header=BB6_14012 Depth=2
	s_delay_alu instid0(SALU_CYCLE_1)
	s_or_b32 exec_lo, exec_lo, s10
.LBB6_15700:                            ;   in Loop: Header=BB6_14012 Depth=2
	s_delay_alu instid0(SALU_CYCLE_1) | instskip(NEXT) | instid1(VALU_DEP_1)
	s_or_b32 exec_lo, exec_lo, s7
	v_dual_add_f32 v2, v2, v0 :: v_dual_mov_b32 v7, v1
                                        ; implicit-def: $vgpr29
	s_mov_b32 s7, exec_lo
	s_delay_alu instid0(VALU_DEP_1) | instskip(SKIP_1) | instid1(VALU_DEP_2)
	v_and_b32_e32 v6, 0x7f800000, v2
	v_and_b32_e32 v0, 0x7fffff, v2
	v_cmpx_ne_u64_e32 0x7f800000, v[6:7]
	s_xor_b32 s10, exec_lo, s7
	s_cbranch_execz .LBB6_15718
; %bb.15701:                            ;   in Loop: Header=BB6_14012 Depth=2
	v_dual_mov_b32 v7, v1 :: v_dual_lshrrev_b32 v3, 24, v2
	v_and_b32_e32 v6, 0x7fffffff, v2
                                        ; implicit-def: $vgpr29
	s_mov_b32 s7, exec_lo
	s_delay_alu instid0(VALU_DEP_2) | instskip(NEXT) | instid1(VALU_DEP_2)
	v_and_b32_e32 v5, 0x80, v3
	v_cmpx_gt_u64_e32 0x47600001, v[6:7]
	s_xor_b32 s11, exec_lo, s7
	s_cbranch_execz .LBB6_15715
; %bb.15702:                            ;   in Loop: Header=BB6_14012 Depth=2
	v_mov_b32_e32 v29, 0
	s_mov_b32 s28, exec_lo
	v_cmpx_ne_u32_e32 0, v2
	s_cbranch_execz .LBB6_15714
; %bb.15703:                            ;   in Loop: Header=BB6_14012 Depth=2
	v_bfe_u32 v19, v2, 23, 8
	v_or_b32_e32 v6, 0x800000, v0
	s_mov_b32 s29, exec_lo
	s_delay_alu instid0(VALU_DEP_2) | instskip(SKIP_1) | instid1(VALU_DEP_2)
	v_dual_mov_b32 v7, v1 :: v_dual_sub_nc_u32 v2, 0x71, v19
	v_cmp_gt_u32_e32 vcc_lo, 0x72, v19
	v_cndmask_b32_e32 v2, 0, v2, vcc_lo
	v_cmp_eq_u32_e32 vcc_lo, 0, v19
	s_delay_alu instid0(VALU_DEP_2) | instskip(NEXT) | instid1(VALU_DEP_1)
	v_cndmask_b32_e64 v27, v2, 0x70, vcc_lo
	v_dual_cndmask_b32 v6, v6, v0, vcc_lo :: v_dual_add_nc_u32 v2, 21, v27
	v_add_nc_u32_e32 v29, 20, v27
	s_delay_alu instid0(VALU_DEP_2) | instskip(NEXT) | instid1(VALU_DEP_2)
	v_lshlrev_b64_e64 v[2:3], v2, -1
	v_lshlrev_b64_e64 v[32:33], v29, 1
	s_delay_alu instid0(VALU_DEP_2) | instskip(NEXT) | instid1(VALU_DEP_3)
	v_bfi_b32 v39, v3, 0, 0
	v_bfi_b32 v38, v2, 0, v6
	v_lshrrev_b64 v[2:3], v27, v[6:7]
	s_delay_alu instid0(VALU_DEP_1) | instskip(NEXT) | instid1(VALU_DEP_3)
	v_mov_b64_e32 v[6:7], v[2:3]
	v_cmpx_eq_u64_e64 v[38:39], v[32:33]
; %bb.15704:                            ;   in Loop: Header=BB6_14012 Depth=2
	v_bfe_u32 v6, v2, 21, 1
	v_mov_b32_e32 v7, v1
	s_delay_alu instid0(VALU_DEP_1) | instskip(NEXT) | instid1(VALU_DEP_1)
	v_add_nc_u64_e32 v[6:7], v[2:3], v[6:7]
	v_add_nc_u64_e32 v[6:7], -1, v[6:7]
; %bb.15705:                            ;   in Loop: Header=BB6_14012 Depth=2
	s_or_b32 exec_lo, exec_lo, s29
	v_add_nc_u32_e32 v0, 0xffffff81, v19
	s_delay_alu instid0(VALU_DEP_2) | instskip(SKIP_2) | instid1(VALU_DEP_3)
	v_and_b32_e32 v6, 0x1fffff, v6
	v_lshrrev_b32_e32 v3, 23, v2
	s_mov_b32 s7, exec_lo
	v_cndmask_b32_e64 v0, v0, 0xffffff82, vcc_lo
	s_delay_alu instid0(VALU_DEP_1) | instskip(SKIP_1) | instid1(VALU_DEP_2)
	v_add3_u32 v7, v27, v0, v3
	v_add_nc_u32_e32 v0, v6, v2
                                        ; implicit-def: $vgpr2_vgpr3
                                        ; implicit-def: $vgpr6
	v_add_nc_u32_e32 v19, 14, v7
	s_delay_alu instid0(VALU_DEP_1)
	v_cmpx_ne_u32_e32 0, v19
	s_xor_b32 s7, exec_lo, s7
; %bb.15706:                            ;   in Loop: Header=BB6_14012 Depth=2
	s_delay_alu instid0(VALU_DEP_3) | instskip(SKIP_1) | instid1(VALU_DEP_1)
	v_cmp_lt_u64_e32 vcc_lo, 0xffffff, v[0:1]
	v_add_nc_u32_e32 v2, 15, v7
	v_cndmask_b32_e32 v6, v19, v2, vcc_lo
	v_cndmask_b32_e64 v2, 0, 1, vcc_lo
	s_delay_alu instid0(VALU_DEP_1)
	v_lshrrev_b64 v[2:3], v2, v[0:1]
; %bb.15707:                            ;   in Loop: Header=BB6_14012 Depth=2
	s_and_not1_saveexec_b32 s7, s7
; %bb.15708:                            ;   in Loop: Header=BB6_14012 Depth=2
	v_mov_b64_e32 v[2:3], v[0:1]
	v_bfe_u32 v6, v0, 23, 1
; %bb.15709:                            ;   in Loop: Header=BB6_14012 Depth=2
	s_or_b32 exec_lo, exec_lo, s7
	s_delay_alu instid0(VALU_DEP_2) | instskip(NEXT) | instid1(VALU_DEP_2)
	v_lshrrev_b64 v[2:3], 21, v[2:3]
	v_cmp_gt_i32_e32 vcc_lo, 32, v6
	v_cmp_ne_u32_e64 s7, 0, v6
                                        ; implicit-def: $vgpr29
	s_delay_alu instid0(VALU_DEP_3) | instskip(NEXT) | instid1(VALU_DEP_1)
	v_dual_cndmask_b32 v3, 0, v3 :: v_dual_cndmask_b32 v2, 3, v2
	v_cmp_ne_u64_e32 vcc_lo, 0, v[2:3]
	s_or_b32 s7, s7, vcc_lo
	s_delay_alu instid0(SALU_CYCLE_1) | instskip(NEXT) | instid1(SALU_CYCLE_1)
	s_and_saveexec_b32 s29, s7
	s_xor_b32 s7, exec_lo, s29
; %bb.15710:                            ;   in Loop: Header=BB6_14012 Depth=2
	v_min_i32_e32 v0, 31, v6
	s_delay_alu instid0(VALU_DEP_1) | instskip(NEXT) | instid1(VALU_DEP_1)
	v_lshl_or_b32 v0, v0, 2, v5
                                        ; implicit-def: $vgpr5
	v_and_or_b32 v29, v2, 3, v0
; %bb.15711:                            ;   in Loop: Header=BB6_14012 Depth=2
	s_and_not1_saveexec_b32 s7, s7
; %bb.15712:                            ;   in Loop: Header=BB6_14012 Depth=2
	v_mov_b32_e32 v29, v5
; %bb.15713:                            ;   in Loop: Header=BB6_14012 Depth=2
	s_or_b32 exec_lo, exec_lo, s7
.LBB6_15714:                            ;   in Loop: Header=BB6_14012 Depth=2
	s_delay_alu instid0(SALU_CYCLE_1)
	s_or_b32 exec_lo, exec_lo, s28
                                        ; implicit-def: $vgpr5
.LBB6_15715:                            ;   in Loop: Header=BB6_14012 Depth=2
	s_and_not1_saveexec_b32 s7, s11
; %bb.15716:                            ;   in Loop: Header=BB6_14012 Depth=2
	v_or_b32_e32 v29, 0x7b, v5
; %bb.15717:                            ;   in Loop: Header=BB6_14012 Depth=2
	s_or_b32 exec_lo, exec_lo, s7
                                        ; implicit-def: $vgpr2
.LBB6_15718:                            ;   in Loop: Header=BB6_14012 Depth=2
	s_and_not1_saveexec_b32 s7, s10
	s_cbranch_execz .LBB6_15724
; %bb.15719:                            ;   in Loop: Header=BB6_14012 Depth=2
	s_mov_b32 s10, exec_lo
                                        ; implicit-def: $vgpr29
	v_cmpx_ne_u64_e32 0, v[0:1]
	s_xor_b32 s10, exec_lo, s10
; %bb.15720:                            ;   in Loop: Header=BB6_14012 Depth=2
	v_lshrrev_b32_e32 v0, 24, v2
                                        ; implicit-def: $vgpr2
	s_delay_alu instid0(VALU_DEP_1)
	v_or_b32_e32 v29, 0x7f, v0
; %bb.15721:                            ;   in Loop: Header=BB6_14012 Depth=2
	s_and_not1_saveexec_b32 s10, s10
; %bb.15722:                            ;   in Loop: Header=BB6_14012 Depth=2
	v_cmp_lt_i32_e32 vcc_lo, -1, v2
	v_cndmask_b32_e64 v29, -4, 0x7c, vcc_lo
; %bb.15723:                            ;   in Loop: Header=BB6_14012 Depth=2
	s_or_b32 exec_lo, exec_lo, s10
.LBB6_15724:                            ;   in Loop: Header=BB6_14012 Depth=2
	s_delay_alu instid0(SALU_CYCLE_1) | instskip(SKIP_3) | instid1(VALU_DEP_2)
	s_or_b32 exec_lo, exec_lo, s7
	v_and_b32_e32 v5, 0xff, v62
	v_dual_mov_b32 v0, 0 :: v_dual_mov_b32 v2, 0
	s_mov_b32 s7, exec_lo
	v_cmpx_ne_u16_e32 0, v5
	s_cbranch_execz .LBB6_15734
; %bb.15725:                            ;   in Loop: Header=BB6_14012 Depth=2
	v_bfrev_b32_e32 v2, 1
	s_mov_b32 s10, exec_lo
	v_cmpx_ne_u16_e32 0x80, v5
	s_cbranch_execz .LBB6_15733
; %bb.15726:                            ;   in Loop: Header=BB6_14012 Depth=2
	v_and_b32_e32 v2, 0x7c, v62
	v_and_b32_e32 v3, 3, v62
	s_delay_alu instid0(VALU_DEP_2) | instskip(SKIP_1) | instid1(SALU_CYCLE_1)
	v_cmp_ne_u32_e32 vcc_lo, 0x7c, v2
                                        ; implicit-def: $vgpr2
	s_and_saveexec_b32 s11, vcc_lo
	s_xor_b32 s11, exec_lo, s11
	s_cbranch_execz .LBB6_15730
; %bb.15727:                            ;   in Loop: Header=BB6_14012 Depth=2
	v_bfe_u32 v2, v5, 2, 5
	s_mov_b32 s28, exec_lo
	s_delay_alu instid0(VALU_DEP_1)
	v_cmpx_eq_u32_e32 0, v2
	s_cbranch_execz .LBB6_15729
; %bb.15728:                            ;   in Loop: Header=BB6_14012 Depth=2
	v_clz_i32_u32_e32 v2, v3
	s_delay_alu instid0(VALU_DEP_1) | instskip(SKIP_1) | instid1(VALU_DEP_2)
	v_min_u32_e32 v2, 32, v2
	v_mov_b32_e32 v63, v1
	v_subrev_nc_u32_e32 v3, 29, v2
	v_sub_nc_u32_e32 v2, 30, v2
	s_delay_alu instid0(VALU_DEP_2) | instskip(NEXT) | instid1(VALU_DEP_1)
	v_lshlrev_b64_e32 v[6:7], v3, v[62:63]
	v_and_b32_e32 v3, 3, v6
.LBB6_15729:                            ;   in Loop: Header=BB6_14012 Depth=2
	s_or_b32 exec_lo, exec_lo, s28
	v_lshlrev_b32_e32 v5, 24, v62
                                        ; implicit-def: $vgpr62
	s_delay_alu instid0(VALU_DEP_1) | instskip(NEXT) | instid1(VALU_DEP_1)
	v_and_b32_e32 v5, 0x80000000, v5
	v_lshl_add_u32 v2, v2, 23, v5
	s_delay_alu instid0(VALU_DEP_1) | instskip(NEXT) | instid1(VALU_DEP_1)
	v_lshl_or_b32 v2, v3, 21, v2
                                        ; implicit-def: $vgpr3
	v_add_nc_u32_e32 v2, 0x38000000, v2
.LBB6_15730:                            ;   in Loop: Header=BB6_14012 Depth=2
	s_and_not1_saveexec_b32 s11, s11
; %bb.15731:                            ;   in Loop: Header=BB6_14012 Depth=2
	v_bfe_i32 v2, v62, 0, 8
	s_delay_alu instid0(VALU_DEP_1) | instskip(SKIP_1) | instid1(VALU_DEP_1)
	v_cmp_lt_i16_e32 vcc_lo, -1, v2
	v_mov_b32_e32 v2, 0x7f800000
	v_cndmask_b32_e32 v2, 0xff800000, v2, vcc_lo
	v_cmp_eq_u32_e32 vcc_lo, 0, v3
	s_delay_alu instid0(VALU_DEP_2)
	v_cndmask_b32_e32 v2, 0x7f800001, v2, vcc_lo
; %bb.15732:                            ;   in Loop: Header=BB6_14012 Depth=2
	s_or_b32 exec_lo, exec_lo, s11
.LBB6_15733:                            ;   in Loop: Header=BB6_14012 Depth=2
	s_delay_alu instid0(SALU_CYCLE_1)
	s_or_b32 exec_lo, exec_lo, s10
.LBB6_15734:                            ;   in Loop: Header=BB6_14012 Depth=2
	s_delay_alu instid0(SALU_CYCLE_1) | instskip(NEXT) | instid1(SALU_CYCLE_1)
	s_or_b32 exec_lo, exec_lo, s7
	s_mov_b32 s7, exec_lo
	s_wait_loadcnt_dscnt 0x1111
	v_cmpx_ne_u16_e32 0, v66
	s_cbranch_execz .LBB6_15744
; %bb.15735:                            ;   in Loop: Header=BB6_14012 Depth=2
	v_bfrev_b32_e32 v0, 1
	s_mov_b32 s10, exec_lo
	v_cmpx_ne_u16_e32 0xff80, v66
	s_cbranch_execz .LBB6_15743
; %bb.15736:                            ;   in Loop: Header=BB6_14012 Depth=2
	v_and_b32_e32 v0, 0x7c, v66
	v_and_b32_e32 v3, 3, v66
	s_delay_alu instid0(VALU_DEP_2) | instskip(SKIP_1) | instid1(SALU_CYCLE_1)
	v_cmp_ne_u32_e32 vcc_lo, 0x7c, v0
                                        ; implicit-def: $vgpr0
	s_and_saveexec_b32 s11, vcc_lo
	s_xor_b32 s11, exec_lo, s11
	s_cbranch_execz .LBB6_15740
; %bb.15737:                            ;   in Loop: Header=BB6_14012 Depth=2
	v_and_b32_e32 v0, 0xff, v66
	s_mov_b32 s28, exec_lo
	s_delay_alu instid0(VALU_DEP_1) | instskip(NEXT) | instid1(VALU_DEP_1)
	v_bfe_u32 v0, v0, 2, 5
	v_cmpx_eq_u32_e32 0, v0
	s_cbranch_execz .LBB6_15739
; %bb.15738:                            ;   in Loop: Header=BB6_14012 Depth=2
	v_clz_i32_u32_e32 v0, v3
	s_delay_alu instid0(VALU_DEP_1) | instskip(SKIP_1) | instid1(VALU_DEP_2)
	v_min_u32_e32 v0, 32, v0
	v_mov_b32_e32 v67, v1
	v_subrev_nc_u32_e32 v3, 29, v0
	v_sub_nc_u32_e32 v0, 30, v0
	s_delay_alu instid0(VALU_DEP_2) | instskip(NEXT) | instid1(VALU_DEP_1)
	v_lshlrev_b64_e32 v[6:7], v3, v[66:67]
	v_and_b32_e32 v3, 3, v6
.LBB6_15739:                            ;   in Loop: Header=BB6_14012 Depth=2
	s_or_b32 exec_lo, exec_lo, s28
	v_bfe_i32 v5, v66, 0, 16
                                        ; implicit-def: $vgpr66
	s_delay_alu instid0(VALU_DEP_1) | instskip(NEXT) | instid1(VALU_DEP_1)
	v_and_b32_e32 v5, 0x80000000, v5
	v_lshl_add_u32 v0, v0, 23, v5
	s_delay_alu instid0(VALU_DEP_1) | instskip(NEXT) | instid1(VALU_DEP_1)
	v_lshl_or_b32 v0, v3, 21, v0
                                        ; implicit-def: $vgpr3
	v_add_nc_u32_e32 v0, 0x38000000, v0
.LBB6_15740:                            ;   in Loop: Header=BB6_14012 Depth=2
	s_and_not1_saveexec_b32 s11, s11
; %bb.15741:                            ;   in Loop: Header=BB6_14012 Depth=2
	v_cmp_lt_i16_e32 vcc_lo, -1, v66
	v_mov_b32_e32 v0, 0x7f800000
	s_delay_alu instid0(VALU_DEP_1) | instskip(SKIP_1) | instid1(VALU_DEP_2)
	v_cndmask_b32_e32 v0, 0xff800000, v0, vcc_lo
	v_cmp_eq_u32_e32 vcc_lo, 0, v3
	v_cndmask_b32_e32 v0, 0x7f800001, v0, vcc_lo
; %bb.15742:                            ;   in Loop: Header=BB6_14012 Depth=2
	s_or_b32 exec_lo, exec_lo, s11
.LBB6_15743:                            ;   in Loop: Header=BB6_14012 Depth=2
	s_delay_alu instid0(SALU_CYCLE_1)
	s_or_b32 exec_lo, exec_lo, s10
.LBB6_15744:                            ;   in Loop: Header=BB6_14012 Depth=2
	s_delay_alu instid0(SALU_CYCLE_1) | instskip(NEXT) | instid1(VALU_DEP_1)
	s_or_b32 exec_lo, exec_lo, s7
	v_dual_add_f32 v2, v2, v0 :: v_dual_mov_b32 v7, v1
                                        ; implicit-def: $vgpr31
	s_mov_b32 s7, exec_lo
	s_delay_alu instid0(VALU_DEP_1) | instskip(SKIP_1) | instid1(VALU_DEP_2)
	v_and_b32_e32 v6, 0x7f800000, v2
	v_and_b32_e32 v0, 0x7fffff, v2
	v_cmpx_ne_u64_e32 0x7f800000, v[6:7]
	s_xor_b32 s10, exec_lo, s7
	s_cbranch_execz .LBB6_15762
; %bb.15745:                            ;   in Loop: Header=BB6_14012 Depth=2
	v_dual_mov_b32 v7, v1 :: v_dual_lshrrev_b32 v3, 24, v2
	v_and_b32_e32 v6, 0x7fffffff, v2
                                        ; implicit-def: $vgpr31
	s_mov_b32 s7, exec_lo
	s_delay_alu instid0(VALU_DEP_2) | instskip(NEXT) | instid1(VALU_DEP_2)
	v_and_b32_e32 v5, 0x80, v3
	v_cmpx_gt_u64_e32 0x47600001, v[6:7]
	s_xor_b32 s11, exec_lo, s7
	s_cbranch_execz .LBB6_15759
; %bb.15746:                            ;   in Loop: Header=BB6_14012 Depth=2
	v_mov_b32_e32 v31, 0
	s_mov_b32 s28, exec_lo
	v_cmpx_ne_u32_e32 0, v2
	s_cbranch_execz .LBB6_15758
; %bb.15747:                            ;   in Loop: Header=BB6_14012 Depth=2
	v_bfe_u32 v19, v2, 23, 8
	v_or_b32_e32 v6, 0x800000, v0
	s_mov_b32 s29, exec_lo
	s_delay_alu instid0(VALU_DEP_2) | instskip(SKIP_1) | instid1(VALU_DEP_2)
	v_dual_mov_b32 v7, v1 :: v_dual_sub_nc_u32 v2, 0x71, v19
	v_cmp_gt_u32_e32 vcc_lo, 0x72, v19
	v_cndmask_b32_e32 v2, 0, v2, vcc_lo
	v_cmp_eq_u32_e32 vcc_lo, 0, v19
	s_delay_alu instid0(VALU_DEP_2) | instskip(NEXT) | instid1(VALU_DEP_1)
	v_cndmask_b32_e64 v27, v2, 0x70, vcc_lo
	v_dual_cndmask_b32 v6, v6, v0, vcc_lo :: v_dual_add_nc_u32 v2, 21, v27
	v_add_nc_u32_e32 v31, 20, v27
	s_delay_alu instid0(VALU_DEP_2) | instskip(NEXT) | instid1(VALU_DEP_2)
	v_lshlrev_b64_e64 v[2:3], v2, -1
	v_lshlrev_b64_e64 v[32:33], v31, 1
	s_delay_alu instid0(VALU_DEP_2) | instskip(NEXT) | instid1(VALU_DEP_3)
	v_bfi_b32 v39, v3, 0, 0
	v_bfi_b32 v38, v2, 0, v6
	v_lshrrev_b64 v[2:3], v27, v[6:7]
	s_delay_alu instid0(VALU_DEP_1) | instskip(NEXT) | instid1(VALU_DEP_3)
	v_mov_b64_e32 v[6:7], v[2:3]
	v_cmpx_eq_u64_e64 v[38:39], v[32:33]
; %bb.15748:                            ;   in Loop: Header=BB6_14012 Depth=2
	v_bfe_u32 v6, v2, 21, 1
	v_mov_b32_e32 v7, v1
	s_delay_alu instid0(VALU_DEP_1) | instskip(NEXT) | instid1(VALU_DEP_1)
	v_add_nc_u64_e32 v[6:7], v[2:3], v[6:7]
	v_add_nc_u64_e32 v[6:7], -1, v[6:7]
; %bb.15749:                            ;   in Loop: Header=BB6_14012 Depth=2
	s_or_b32 exec_lo, exec_lo, s29
	v_add_nc_u32_e32 v0, 0xffffff81, v19
	s_delay_alu instid0(VALU_DEP_2) | instskip(SKIP_2) | instid1(VALU_DEP_3)
	v_and_b32_e32 v6, 0x1fffff, v6
	v_lshrrev_b32_e32 v3, 23, v2
	s_mov_b32 s7, exec_lo
	v_cndmask_b32_e64 v0, v0, 0xffffff82, vcc_lo
	s_delay_alu instid0(VALU_DEP_1) | instskip(SKIP_1) | instid1(VALU_DEP_2)
	v_add3_u32 v7, v27, v0, v3
	v_add_nc_u32_e32 v0, v6, v2
                                        ; implicit-def: $vgpr2_vgpr3
                                        ; implicit-def: $vgpr6
	v_add_nc_u32_e32 v19, 14, v7
	s_delay_alu instid0(VALU_DEP_1)
	v_cmpx_ne_u32_e32 0, v19
	s_xor_b32 s7, exec_lo, s7
; %bb.15750:                            ;   in Loop: Header=BB6_14012 Depth=2
	s_delay_alu instid0(VALU_DEP_3) | instskip(SKIP_1) | instid1(VALU_DEP_1)
	v_cmp_lt_u64_e32 vcc_lo, 0xffffff, v[0:1]
	v_add_nc_u32_e32 v2, 15, v7
	v_cndmask_b32_e32 v6, v19, v2, vcc_lo
	v_cndmask_b32_e64 v2, 0, 1, vcc_lo
	s_delay_alu instid0(VALU_DEP_1)
	v_lshrrev_b64 v[2:3], v2, v[0:1]
; %bb.15751:                            ;   in Loop: Header=BB6_14012 Depth=2
	s_and_not1_saveexec_b32 s7, s7
; %bb.15752:                            ;   in Loop: Header=BB6_14012 Depth=2
	v_mov_b64_e32 v[2:3], v[0:1]
	v_bfe_u32 v6, v0, 23, 1
; %bb.15753:                            ;   in Loop: Header=BB6_14012 Depth=2
	s_or_b32 exec_lo, exec_lo, s7
	s_delay_alu instid0(VALU_DEP_2) | instskip(NEXT) | instid1(VALU_DEP_2)
	v_lshrrev_b64 v[2:3], 21, v[2:3]
	v_cmp_gt_i32_e32 vcc_lo, 32, v6
	v_cmp_ne_u32_e64 s7, 0, v6
                                        ; implicit-def: $vgpr31
	s_delay_alu instid0(VALU_DEP_3) | instskip(NEXT) | instid1(VALU_DEP_1)
	v_dual_cndmask_b32 v3, 0, v3 :: v_dual_cndmask_b32 v2, 3, v2
	v_cmp_ne_u64_e32 vcc_lo, 0, v[2:3]
	s_or_b32 s7, s7, vcc_lo
	s_delay_alu instid0(SALU_CYCLE_1) | instskip(NEXT) | instid1(SALU_CYCLE_1)
	s_and_saveexec_b32 s29, s7
	s_xor_b32 s7, exec_lo, s29
; %bb.15754:                            ;   in Loop: Header=BB6_14012 Depth=2
	v_min_i32_e32 v0, 31, v6
	s_delay_alu instid0(VALU_DEP_1) | instskip(NEXT) | instid1(VALU_DEP_1)
	v_lshl_or_b32 v0, v0, 2, v5
                                        ; implicit-def: $vgpr5
	v_and_or_b32 v31, v2, 3, v0
; %bb.15755:                            ;   in Loop: Header=BB6_14012 Depth=2
	s_and_not1_saveexec_b32 s7, s7
; %bb.15756:                            ;   in Loop: Header=BB6_14012 Depth=2
	v_mov_b32_e32 v31, v5
; %bb.15757:                            ;   in Loop: Header=BB6_14012 Depth=2
	s_or_b32 exec_lo, exec_lo, s7
.LBB6_15758:                            ;   in Loop: Header=BB6_14012 Depth=2
	s_delay_alu instid0(SALU_CYCLE_1)
	s_or_b32 exec_lo, exec_lo, s28
                                        ; implicit-def: $vgpr5
.LBB6_15759:                            ;   in Loop: Header=BB6_14012 Depth=2
	s_and_not1_saveexec_b32 s7, s11
; %bb.15760:                            ;   in Loop: Header=BB6_14012 Depth=2
	v_or_b32_e32 v31, 0x7b, v5
; %bb.15761:                            ;   in Loop: Header=BB6_14012 Depth=2
	s_or_b32 exec_lo, exec_lo, s7
                                        ; implicit-def: $vgpr2
.LBB6_15762:                            ;   in Loop: Header=BB6_14012 Depth=2
	s_and_not1_saveexec_b32 s7, s10
	s_cbranch_execz .LBB6_15768
; %bb.15763:                            ;   in Loop: Header=BB6_14012 Depth=2
	s_mov_b32 s10, exec_lo
                                        ; implicit-def: $vgpr31
	v_cmpx_ne_u64_e32 0, v[0:1]
	s_xor_b32 s10, exec_lo, s10
; %bb.15764:                            ;   in Loop: Header=BB6_14012 Depth=2
	v_lshrrev_b32_e32 v0, 24, v2
                                        ; implicit-def: $vgpr2
	s_delay_alu instid0(VALU_DEP_1)
	v_or_b32_e32 v31, 0x7f, v0
; %bb.15765:                            ;   in Loop: Header=BB6_14012 Depth=2
	s_and_not1_saveexec_b32 s10, s10
; %bb.15766:                            ;   in Loop: Header=BB6_14012 Depth=2
	v_cmp_lt_i32_e32 vcc_lo, -1, v2
	v_cndmask_b32_e64 v31, -4, 0x7c, vcc_lo
; %bb.15767:                            ;   in Loop: Header=BB6_14012 Depth=2
	s_or_b32 exec_lo, exec_lo, s10
.LBB6_15768:                            ;   in Loop: Header=BB6_14012 Depth=2
	s_delay_alu instid0(SALU_CYCLE_1) | instskip(SKIP_3) | instid1(VALU_DEP_2)
	s_or_b32 exec_lo, exec_lo, s7
	v_and_b32_e32 v5, 0xff, v60
	v_dual_mov_b32 v0, 0 :: v_dual_mov_b32 v2, 0
	s_mov_b32 s7, exec_lo
	v_cmpx_ne_u16_e32 0, v5
	s_cbranch_execz .LBB6_15778
; %bb.15769:                            ;   in Loop: Header=BB6_14012 Depth=2
	v_bfrev_b32_e32 v2, 1
	s_mov_b32 s10, exec_lo
	v_cmpx_ne_u16_e32 0x80, v5
	s_cbranch_execz .LBB6_15777
; %bb.15770:                            ;   in Loop: Header=BB6_14012 Depth=2
	v_and_b32_e32 v2, 0x7c, v60
	v_and_b32_e32 v3, 3, v60
	s_delay_alu instid0(VALU_DEP_2) | instskip(SKIP_1) | instid1(SALU_CYCLE_1)
	v_cmp_ne_u32_e32 vcc_lo, 0x7c, v2
                                        ; implicit-def: $vgpr2
	s_and_saveexec_b32 s11, vcc_lo
	s_xor_b32 s11, exec_lo, s11
	s_cbranch_execz .LBB6_15774
; %bb.15771:                            ;   in Loop: Header=BB6_14012 Depth=2
	v_bfe_u32 v2, v5, 2, 5
	s_mov_b32 s28, exec_lo
	s_delay_alu instid0(VALU_DEP_1)
	v_cmpx_eq_u32_e32 0, v2
	s_cbranch_execz .LBB6_15773
; %bb.15772:                            ;   in Loop: Header=BB6_14012 Depth=2
	v_clz_i32_u32_e32 v2, v3
	s_delay_alu instid0(VALU_DEP_1) | instskip(SKIP_1) | instid1(VALU_DEP_2)
	v_min_u32_e32 v2, 32, v2
	v_mov_b32_e32 v61, v1
	v_subrev_nc_u32_e32 v3, 29, v2
	v_sub_nc_u32_e32 v2, 30, v2
	s_delay_alu instid0(VALU_DEP_2) | instskip(NEXT) | instid1(VALU_DEP_1)
	v_lshlrev_b64_e32 v[6:7], v3, v[60:61]
	v_and_b32_e32 v3, 3, v6
.LBB6_15773:                            ;   in Loop: Header=BB6_14012 Depth=2
	s_or_b32 exec_lo, exec_lo, s28
	v_lshlrev_b32_e32 v5, 24, v60
                                        ; implicit-def: $vgpr60
	s_delay_alu instid0(VALU_DEP_1) | instskip(NEXT) | instid1(VALU_DEP_1)
	v_and_b32_e32 v5, 0x80000000, v5
	v_lshl_add_u32 v2, v2, 23, v5
	s_delay_alu instid0(VALU_DEP_1) | instskip(NEXT) | instid1(VALU_DEP_1)
	v_lshl_or_b32 v2, v3, 21, v2
                                        ; implicit-def: $vgpr3
	v_add_nc_u32_e32 v2, 0x38000000, v2
.LBB6_15774:                            ;   in Loop: Header=BB6_14012 Depth=2
	s_and_not1_saveexec_b32 s11, s11
; %bb.15775:                            ;   in Loop: Header=BB6_14012 Depth=2
	v_bfe_i32 v2, v60, 0, 8
	s_delay_alu instid0(VALU_DEP_1) | instskip(SKIP_1) | instid1(VALU_DEP_1)
	v_cmp_lt_i16_e32 vcc_lo, -1, v2
	v_mov_b32_e32 v2, 0x7f800000
	v_cndmask_b32_e32 v2, 0xff800000, v2, vcc_lo
	v_cmp_eq_u32_e32 vcc_lo, 0, v3
	s_delay_alu instid0(VALU_DEP_2)
	v_cndmask_b32_e32 v2, 0x7f800001, v2, vcc_lo
; %bb.15776:                            ;   in Loop: Header=BB6_14012 Depth=2
	s_or_b32 exec_lo, exec_lo, s11
.LBB6_15777:                            ;   in Loop: Header=BB6_14012 Depth=2
	s_delay_alu instid0(SALU_CYCLE_1)
	s_or_b32 exec_lo, exec_lo, s10
.LBB6_15778:                            ;   in Loop: Header=BB6_14012 Depth=2
	s_delay_alu instid0(SALU_CYCLE_1) | instskip(NEXT) | instid1(SALU_CYCLE_1)
	s_or_b32 exec_lo, exec_lo, s7
	s_mov_b32 s7, exec_lo
	s_wait_loadcnt_dscnt 0x1010
	v_cmpx_ne_u16_e32 0, v80
	s_cbranch_execz .LBB6_15788
; %bb.15779:                            ;   in Loop: Header=BB6_14012 Depth=2
	v_bfrev_b32_e32 v0, 1
	s_mov_b32 s10, exec_lo
	v_cmpx_ne_u16_e32 0xff80, v80
	s_cbranch_execz .LBB6_15787
; %bb.15780:                            ;   in Loop: Header=BB6_14012 Depth=2
	v_and_b32_e32 v0, 0x7c, v80
	v_and_b32_e32 v3, 3, v80
	s_delay_alu instid0(VALU_DEP_2) | instskip(SKIP_1) | instid1(SALU_CYCLE_1)
	v_cmp_ne_u32_e32 vcc_lo, 0x7c, v0
                                        ; implicit-def: $vgpr0
	s_and_saveexec_b32 s11, vcc_lo
	s_xor_b32 s11, exec_lo, s11
	s_cbranch_execz .LBB6_15784
; %bb.15781:                            ;   in Loop: Header=BB6_14012 Depth=2
	v_and_b32_e32 v0, 0xff, v80
	s_mov_b32 s28, exec_lo
	s_delay_alu instid0(VALU_DEP_1) | instskip(NEXT) | instid1(VALU_DEP_1)
	v_bfe_u32 v0, v0, 2, 5
	v_cmpx_eq_u32_e32 0, v0
	s_cbranch_execz .LBB6_15783
; %bb.15782:                            ;   in Loop: Header=BB6_14012 Depth=2
	v_clz_i32_u32_e32 v0, v3
	s_delay_alu instid0(VALU_DEP_1) | instskip(SKIP_1) | instid1(VALU_DEP_2)
	v_min_u32_e32 v0, 32, v0
	v_mov_b32_e32 v81, v1
	v_subrev_nc_u32_e32 v3, 29, v0
	v_sub_nc_u32_e32 v0, 30, v0
	s_delay_alu instid0(VALU_DEP_2) | instskip(NEXT) | instid1(VALU_DEP_1)
	v_lshlrev_b64_e32 v[6:7], v3, v[80:81]
	v_and_b32_e32 v3, 3, v6
.LBB6_15783:                            ;   in Loop: Header=BB6_14012 Depth=2
	s_or_b32 exec_lo, exec_lo, s28
	v_bfe_i32 v5, v80, 0, 16
                                        ; implicit-def: $vgpr80
	s_delay_alu instid0(VALU_DEP_1) | instskip(NEXT) | instid1(VALU_DEP_1)
	v_and_b32_e32 v5, 0x80000000, v5
	v_lshl_add_u32 v0, v0, 23, v5
	s_delay_alu instid0(VALU_DEP_1) | instskip(NEXT) | instid1(VALU_DEP_1)
	v_lshl_or_b32 v0, v3, 21, v0
                                        ; implicit-def: $vgpr3
	v_add_nc_u32_e32 v0, 0x38000000, v0
.LBB6_15784:                            ;   in Loop: Header=BB6_14012 Depth=2
	s_and_not1_saveexec_b32 s11, s11
; %bb.15785:                            ;   in Loop: Header=BB6_14012 Depth=2
	v_cmp_lt_i16_e32 vcc_lo, -1, v80
	v_mov_b32_e32 v0, 0x7f800000
	s_delay_alu instid0(VALU_DEP_1) | instskip(SKIP_1) | instid1(VALU_DEP_2)
	v_cndmask_b32_e32 v0, 0xff800000, v0, vcc_lo
	v_cmp_eq_u32_e32 vcc_lo, 0, v3
	v_cndmask_b32_e32 v0, 0x7f800001, v0, vcc_lo
; %bb.15786:                            ;   in Loop: Header=BB6_14012 Depth=2
	s_or_b32 exec_lo, exec_lo, s11
.LBB6_15787:                            ;   in Loop: Header=BB6_14012 Depth=2
	s_delay_alu instid0(SALU_CYCLE_1)
	s_or_b32 exec_lo, exec_lo, s10
.LBB6_15788:                            ;   in Loop: Header=BB6_14012 Depth=2
	s_delay_alu instid0(SALU_CYCLE_1) | instskip(NEXT) | instid1(VALU_DEP_1)
	s_or_b32 exec_lo, exec_lo, s7
	v_dual_add_f32 v2, v2, v0 :: v_dual_mov_b32 v7, v1
                                        ; implicit-def: $vgpr32
	s_mov_b32 s7, exec_lo
	s_delay_alu instid0(VALU_DEP_1) | instskip(SKIP_1) | instid1(VALU_DEP_2)
	v_and_b32_e32 v6, 0x7f800000, v2
	v_and_b32_e32 v0, 0x7fffff, v2
	v_cmpx_ne_u64_e32 0x7f800000, v[6:7]
	s_xor_b32 s10, exec_lo, s7
	s_cbranch_execz .LBB6_15806
; %bb.15789:                            ;   in Loop: Header=BB6_14012 Depth=2
	v_dual_mov_b32 v7, v1 :: v_dual_lshrrev_b32 v3, 24, v2
	v_and_b32_e32 v6, 0x7fffffff, v2
                                        ; implicit-def: $vgpr32
	s_mov_b32 s7, exec_lo
	s_delay_alu instid0(VALU_DEP_2) | instskip(NEXT) | instid1(VALU_DEP_2)
	v_and_b32_e32 v5, 0x80, v3
	v_cmpx_gt_u64_e32 0x47600001, v[6:7]
	s_xor_b32 s11, exec_lo, s7
	s_cbranch_execz .LBB6_15803
; %bb.15790:                            ;   in Loop: Header=BB6_14012 Depth=2
	v_mov_b32_e32 v32, 0
	s_mov_b32 s28, exec_lo
	v_cmpx_ne_u32_e32 0, v2
	s_cbranch_execz .LBB6_15802
; %bb.15791:                            ;   in Loop: Header=BB6_14012 Depth=2
	v_bfe_u32 v19, v2, 23, 8
	v_or_b32_e32 v6, 0x800000, v0
	s_mov_b32 s29, exec_lo
	s_delay_alu instid0(VALU_DEP_2) | instskip(SKIP_1) | instid1(VALU_DEP_2)
	v_dual_mov_b32 v7, v1 :: v_dual_sub_nc_u32 v2, 0x71, v19
	v_cmp_gt_u32_e32 vcc_lo, 0x72, v19
	v_cndmask_b32_e32 v2, 0, v2, vcc_lo
	v_cmp_eq_u32_e32 vcc_lo, 0, v19
	s_delay_alu instid0(VALU_DEP_2) | instskip(NEXT) | instid1(VALU_DEP_1)
	v_cndmask_b32_e64 v27, v2, 0x70, vcc_lo
	v_dual_cndmask_b32 v6, v6, v0, vcc_lo :: v_dual_add_nc_u32 v2, 21, v27
	v_add_nc_u32_e32 v32, 20, v27
	s_delay_alu instid0(VALU_DEP_2) | instskip(NEXT) | instid1(VALU_DEP_2)
	v_lshlrev_b64_e64 v[2:3], v2, -1
	v_lshlrev_b64_e64 v[32:33], v32, 1
	s_delay_alu instid0(VALU_DEP_2) | instskip(NEXT) | instid1(VALU_DEP_3)
	v_bfi_b32 v39, v3, 0, 0
	v_bfi_b32 v38, v2, 0, v6
	v_lshrrev_b64 v[2:3], v27, v[6:7]
	s_delay_alu instid0(VALU_DEP_1) | instskip(NEXT) | instid1(VALU_DEP_3)
	v_mov_b64_e32 v[6:7], v[2:3]
	v_cmpx_eq_u64_e64 v[38:39], v[32:33]
; %bb.15792:                            ;   in Loop: Header=BB6_14012 Depth=2
	v_bfe_u32 v6, v2, 21, 1
	v_mov_b32_e32 v7, v1
	s_delay_alu instid0(VALU_DEP_1) | instskip(NEXT) | instid1(VALU_DEP_1)
	v_add_nc_u64_e32 v[6:7], v[2:3], v[6:7]
	v_add_nc_u64_e32 v[6:7], -1, v[6:7]
; %bb.15793:                            ;   in Loop: Header=BB6_14012 Depth=2
	s_or_b32 exec_lo, exec_lo, s29
	v_add_nc_u32_e32 v0, 0xffffff81, v19
	s_delay_alu instid0(VALU_DEP_2) | instskip(SKIP_2) | instid1(VALU_DEP_3)
	v_and_b32_e32 v6, 0x1fffff, v6
	v_lshrrev_b32_e32 v3, 23, v2
	s_mov_b32 s7, exec_lo
	v_cndmask_b32_e64 v0, v0, 0xffffff82, vcc_lo
	s_delay_alu instid0(VALU_DEP_1) | instskip(SKIP_1) | instid1(VALU_DEP_2)
	v_add3_u32 v7, v27, v0, v3
	v_add_nc_u32_e32 v0, v6, v2
                                        ; implicit-def: $vgpr2_vgpr3
                                        ; implicit-def: $vgpr6
	v_add_nc_u32_e32 v19, 14, v7
	s_delay_alu instid0(VALU_DEP_1)
	v_cmpx_ne_u32_e32 0, v19
	s_xor_b32 s7, exec_lo, s7
; %bb.15794:                            ;   in Loop: Header=BB6_14012 Depth=2
	s_delay_alu instid0(VALU_DEP_3) | instskip(SKIP_1) | instid1(VALU_DEP_1)
	v_cmp_lt_u64_e32 vcc_lo, 0xffffff, v[0:1]
	v_add_nc_u32_e32 v2, 15, v7
	v_cndmask_b32_e32 v6, v19, v2, vcc_lo
	v_cndmask_b32_e64 v2, 0, 1, vcc_lo
	s_delay_alu instid0(VALU_DEP_1)
	v_lshrrev_b64 v[2:3], v2, v[0:1]
; %bb.15795:                            ;   in Loop: Header=BB6_14012 Depth=2
	s_and_not1_saveexec_b32 s7, s7
; %bb.15796:                            ;   in Loop: Header=BB6_14012 Depth=2
	v_mov_b64_e32 v[2:3], v[0:1]
	v_bfe_u32 v6, v0, 23, 1
; %bb.15797:                            ;   in Loop: Header=BB6_14012 Depth=2
	s_or_b32 exec_lo, exec_lo, s7
	s_delay_alu instid0(VALU_DEP_2) | instskip(NEXT) | instid1(VALU_DEP_2)
	v_lshrrev_b64 v[2:3], 21, v[2:3]
	v_cmp_gt_i32_e32 vcc_lo, 32, v6
	v_cmp_ne_u32_e64 s7, 0, v6
                                        ; implicit-def: $vgpr32
	s_delay_alu instid0(VALU_DEP_3) | instskip(NEXT) | instid1(VALU_DEP_1)
	v_dual_cndmask_b32 v3, 0, v3 :: v_dual_cndmask_b32 v2, 3, v2
	v_cmp_ne_u64_e32 vcc_lo, 0, v[2:3]
	s_or_b32 s7, s7, vcc_lo
	s_delay_alu instid0(SALU_CYCLE_1) | instskip(NEXT) | instid1(SALU_CYCLE_1)
	s_and_saveexec_b32 s29, s7
	s_xor_b32 s7, exec_lo, s29
; %bb.15798:                            ;   in Loop: Header=BB6_14012 Depth=2
	v_min_i32_e32 v0, 31, v6
	s_delay_alu instid0(VALU_DEP_1) | instskip(NEXT) | instid1(VALU_DEP_1)
	v_lshl_or_b32 v0, v0, 2, v5
                                        ; implicit-def: $vgpr5
	v_and_or_b32 v32, v2, 3, v0
; %bb.15799:                            ;   in Loop: Header=BB6_14012 Depth=2
	s_and_not1_saveexec_b32 s7, s7
; %bb.15800:                            ;   in Loop: Header=BB6_14012 Depth=2
	v_mov_b32_e32 v32, v5
; %bb.15801:                            ;   in Loop: Header=BB6_14012 Depth=2
	s_or_b32 exec_lo, exec_lo, s7
.LBB6_15802:                            ;   in Loop: Header=BB6_14012 Depth=2
	s_delay_alu instid0(SALU_CYCLE_1)
	s_or_b32 exec_lo, exec_lo, s28
                                        ; implicit-def: $vgpr5
.LBB6_15803:                            ;   in Loop: Header=BB6_14012 Depth=2
	s_and_not1_saveexec_b32 s7, s11
; %bb.15804:                            ;   in Loop: Header=BB6_14012 Depth=2
	v_or_b32_e32 v32, 0x7b, v5
; %bb.15805:                            ;   in Loop: Header=BB6_14012 Depth=2
	s_or_b32 exec_lo, exec_lo, s7
                                        ; implicit-def: $vgpr2
.LBB6_15806:                            ;   in Loop: Header=BB6_14012 Depth=2
	s_and_not1_saveexec_b32 s7, s10
	s_cbranch_execz .LBB6_15812
; %bb.15807:                            ;   in Loop: Header=BB6_14012 Depth=2
	s_mov_b32 s10, exec_lo
                                        ; implicit-def: $vgpr32
	v_cmpx_ne_u64_e32 0, v[0:1]
	s_xor_b32 s10, exec_lo, s10
; %bb.15808:                            ;   in Loop: Header=BB6_14012 Depth=2
	v_lshrrev_b32_e32 v0, 24, v2
                                        ; implicit-def: $vgpr2
	s_delay_alu instid0(VALU_DEP_1)
	v_or_b32_e32 v32, 0x7f, v0
; %bb.15809:                            ;   in Loop: Header=BB6_14012 Depth=2
	s_and_not1_saveexec_b32 s10, s10
; %bb.15810:                            ;   in Loop: Header=BB6_14012 Depth=2
	v_cmp_lt_i32_e32 vcc_lo, -1, v2
	v_cndmask_b32_e64 v32, -4, 0x7c, vcc_lo
; %bb.15811:                            ;   in Loop: Header=BB6_14012 Depth=2
	s_or_b32 exec_lo, exec_lo, s10
.LBB6_15812:                            ;   in Loop: Header=BB6_14012 Depth=2
	s_delay_alu instid0(SALU_CYCLE_1) | instskip(SKIP_3) | instid1(VALU_DEP_2)
	s_or_b32 exec_lo, exec_lo, s7
	v_and_b32_e32 v5, 0xff, v58
	v_dual_mov_b32 v0, 0 :: v_dual_mov_b32 v2, 0
	s_mov_b32 s7, exec_lo
	v_cmpx_ne_u16_e32 0, v5
	s_cbranch_execz .LBB6_15822
; %bb.15813:                            ;   in Loop: Header=BB6_14012 Depth=2
	v_bfrev_b32_e32 v2, 1
	s_mov_b32 s10, exec_lo
	v_cmpx_ne_u16_e32 0x80, v5
	s_cbranch_execz .LBB6_15821
; %bb.15814:                            ;   in Loop: Header=BB6_14012 Depth=2
	v_and_b32_e32 v2, 0x7c, v58
	v_and_b32_e32 v3, 3, v58
	s_delay_alu instid0(VALU_DEP_2) | instskip(SKIP_1) | instid1(SALU_CYCLE_1)
	v_cmp_ne_u32_e32 vcc_lo, 0x7c, v2
                                        ; implicit-def: $vgpr2
	s_and_saveexec_b32 s11, vcc_lo
	s_xor_b32 s11, exec_lo, s11
	s_cbranch_execz .LBB6_15818
; %bb.15815:                            ;   in Loop: Header=BB6_14012 Depth=2
	v_bfe_u32 v2, v5, 2, 5
	s_mov_b32 s28, exec_lo
	s_delay_alu instid0(VALU_DEP_1)
	v_cmpx_eq_u32_e32 0, v2
	s_cbranch_execz .LBB6_15817
; %bb.15816:                            ;   in Loop: Header=BB6_14012 Depth=2
	v_clz_i32_u32_e32 v2, v3
	s_delay_alu instid0(VALU_DEP_1) | instskip(SKIP_1) | instid1(VALU_DEP_2)
	v_min_u32_e32 v2, 32, v2
	v_mov_b32_e32 v59, v1
	v_subrev_nc_u32_e32 v3, 29, v2
	v_sub_nc_u32_e32 v2, 30, v2
	s_delay_alu instid0(VALU_DEP_2) | instskip(NEXT) | instid1(VALU_DEP_1)
	v_lshlrev_b64_e32 v[6:7], v3, v[58:59]
	v_and_b32_e32 v3, 3, v6
.LBB6_15817:                            ;   in Loop: Header=BB6_14012 Depth=2
	s_or_b32 exec_lo, exec_lo, s28
	v_lshlrev_b32_e32 v5, 24, v58
                                        ; implicit-def: $vgpr58
	s_delay_alu instid0(VALU_DEP_1) | instskip(NEXT) | instid1(VALU_DEP_1)
	v_and_b32_e32 v5, 0x80000000, v5
	v_lshl_add_u32 v2, v2, 23, v5
	s_delay_alu instid0(VALU_DEP_1) | instskip(NEXT) | instid1(VALU_DEP_1)
	v_lshl_or_b32 v2, v3, 21, v2
                                        ; implicit-def: $vgpr3
	v_add_nc_u32_e32 v2, 0x38000000, v2
.LBB6_15818:                            ;   in Loop: Header=BB6_14012 Depth=2
	s_and_not1_saveexec_b32 s11, s11
; %bb.15819:                            ;   in Loop: Header=BB6_14012 Depth=2
	v_bfe_i32 v2, v58, 0, 8
	s_delay_alu instid0(VALU_DEP_1) | instskip(SKIP_1) | instid1(VALU_DEP_1)
	v_cmp_lt_i16_e32 vcc_lo, -1, v2
	v_mov_b32_e32 v2, 0x7f800000
	v_cndmask_b32_e32 v2, 0xff800000, v2, vcc_lo
	v_cmp_eq_u32_e32 vcc_lo, 0, v3
	s_delay_alu instid0(VALU_DEP_2)
	v_cndmask_b32_e32 v2, 0x7f800001, v2, vcc_lo
; %bb.15820:                            ;   in Loop: Header=BB6_14012 Depth=2
	s_or_b32 exec_lo, exec_lo, s11
.LBB6_15821:                            ;   in Loop: Header=BB6_14012 Depth=2
	s_delay_alu instid0(SALU_CYCLE_1)
	s_or_b32 exec_lo, exec_lo, s10
.LBB6_15822:                            ;   in Loop: Header=BB6_14012 Depth=2
	s_delay_alu instid0(SALU_CYCLE_1) | instskip(NEXT) | instid1(SALU_CYCLE_1)
	s_or_b32 exec_lo, exec_lo, s7
	s_mov_b32 s7, exec_lo
	s_wait_loadcnt_dscnt 0xf0f
	v_cmpx_ne_u16_e32 0, v68
	s_cbranch_execz .LBB6_15832
; %bb.15823:                            ;   in Loop: Header=BB6_14012 Depth=2
	v_bfrev_b32_e32 v0, 1
	s_mov_b32 s10, exec_lo
	v_cmpx_ne_u16_e32 0xff80, v68
	s_cbranch_execz .LBB6_15831
; %bb.15824:                            ;   in Loop: Header=BB6_14012 Depth=2
	v_and_b32_e32 v0, 0x7c, v68
	v_and_b32_e32 v3, 3, v68
	s_delay_alu instid0(VALU_DEP_2) | instskip(SKIP_1) | instid1(SALU_CYCLE_1)
	v_cmp_ne_u32_e32 vcc_lo, 0x7c, v0
                                        ; implicit-def: $vgpr0
	s_and_saveexec_b32 s11, vcc_lo
	s_xor_b32 s11, exec_lo, s11
	s_cbranch_execz .LBB6_15828
; %bb.15825:                            ;   in Loop: Header=BB6_14012 Depth=2
	v_and_b32_e32 v0, 0xff, v68
	s_mov_b32 s28, exec_lo
	s_delay_alu instid0(VALU_DEP_1) | instskip(NEXT) | instid1(VALU_DEP_1)
	v_bfe_u32 v0, v0, 2, 5
	v_cmpx_eq_u32_e32 0, v0
	s_cbranch_execz .LBB6_15827
; %bb.15826:                            ;   in Loop: Header=BB6_14012 Depth=2
	v_clz_i32_u32_e32 v0, v3
	s_delay_alu instid0(VALU_DEP_1) | instskip(SKIP_1) | instid1(VALU_DEP_2)
	v_min_u32_e32 v0, 32, v0
	v_mov_b32_e32 v69, v1
	v_subrev_nc_u32_e32 v3, 29, v0
	v_sub_nc_u32_e32 v0, 30, v0
	s_delay_alu instid0(VALU_DEP_2) | instskip(NEXT) | instid1(VALU_DEP_1)
	v_lshlrev_b64_e32 v[6:7], v3, v[68:69]
	v_and_b32_e32 v3, 3, v6
.LBB6_15827:                            ;   in Loop: Header=BB6_14012 Depth=2
	s_or_b32 exec_lo, exec_lo, s28
	v_bfe_i32 v5, v68, 0, 16
                                        ; implicit-def: $vgpr68
	s_delay_alu instid0(VALU_DEP_1) | instskip(NEXT) | instid1(VALU_DEP_1)
	v_and_b32_e32 v5, 0x80000000, v5
	v_lshl_add_u32 v0, v0, 23, v5
	s_delay_alu instid0(VALU_DEP_1) | instskip(NEXT) | instid1(VALU_DEP_1)
	v_lshl_or_b32 v0, v3, 21, v0
                                        ; implicit-def: $vgpr3
	v_add_nc_u32_e32 v0, 0x38000000, v0
.LBB6_15828:                            ;   in Loop: Header=BB6_14012 Depth=2
	s_and_not1_saveexec_b32 s11, s11
; %bb.15829:                            ;   in Loop: Header=BB6_14012 Depth=2
	v_cmp_lt_i16_e32 vcc_lo, -1, v68
	v_mov_b32_e32 v0, 0x7f800000
	s_delay_alu instid0(VALU_DEP_1) | instskip(SKIP_1) | instid1(VALU_DEP_2)
	v_cndmask_b32_e32 v0, 0xff800000, v0, vcc_lo
	v_cmp_eq_u32_e32 vcc_lo, 0, v3
	v_cndmask_b32_e32 v0, 0x7f800001, v0, vcc_lo
; %bb.15830:                            ;   in Loop: Header=BB6_14012 Depth=2
	s_or_b32 exec_lo, exec_lo, s11
.LBB6_15831:                            ;   in Loop: Header=BB6_14012 Depth=2
	s_delay_alu instid0(SALU_CYCLE_1)
	s_or_b32 exec_lo, exec_lo, s10
.LBB6_15832:                            ;   in Loop: Header=BB6_14012 Depth=2
	s_delay_alu instid0(SALU_CYCLE_1) | instskip(NEXT) | instid1(VALU_DEP_1)
	s_or_b32 exec_lo, exec_lo, s7
	v_dual_add_f32 v2, v2, v0 :: v_dual_mov_b32 v7, v1
	s_delay_alu instid0(VALU_DEP_1) | instskip(SKIP_1) | instid1(VALU_DEP_2)
	v_and_b32_e32 v6, 0x7f800000, v2
	v_and_b32_e32 v0, 0x7fffff, v2
	v_cmp_ne_u64_e32 vcc_lo, 0x7f800000, v[6:7]
                                        ; implicit-def: $vgpr6
	s_and_saveexec_b32 s7, vcc_lo
	s_delay_alu instid0(SALU_CYCLE_1)
	s_xor_b32 s10, exec_lo, s7
	s_cbranch_execz .LBB6_15850
; %bb.15833:                            ;   in Loop: Header=BB6_14012 Depth=2
	v_and_b32_e32 v6, 0x7fffffff, v2
	v_dual_mov_b32 v7, v1 :: v_dual_lshrrev_b32 v3, 24, v2
	s_delay_alu instid0(VALU_DEP_1) | instskip(NEXT) | instid1(VALU_DEP_2)
	v_cmp_gt_u64_e32 vcc_lo, 0x47600001, v[6:7]
	v_and_b32_e32 v5, 0x80, v3
                                        ; implicit-def: $vgpr6
	s_and_saveexec_b32 s7, vcc_lo
	s_delay_alu instid0(SALU_CYCLE_1)
	s_xor_b32 s11, exec_lo, s7
	s_cbranch_execz .LBB6_15847
; %bb.15834:                            ;   in Loop: Header=BB6_14012 Depth=2
	v_mov_b32_e32 v6, 0
	s_mov_b32 s28, exec_lo
	v_cmpx_ne_u32_e32 0, v2
	s_cbranch_execz .LBB6_15846
; %bb.15835:                            ;   in Loop: Header=BB6_14012 Depth=2
	v_bfe_u32 v19, v2, 23, 8
	v_or_b32_e32 v6, 0x800000, v0
	s_mov_b32 s29, exec_lo
	s_delay_alu instid0(VALU_DEP_2) | instskip(SKIP_1) | instid1(VALU_DEP_2)
	v_dual_mov_b32 v7, v1 :: v_dual_sub_nc_u32 v2, 0x71, v19
	v_cmp_gt_u32_e32 vcc_lo, 0x72, v19
	v_cndmask_b32_e32 v2, 0, v2, vcc_lo
	v_cmp_eq_u32_e32 vcc_lo, 0, v19
	s_delay_alu instid0(VALU_DEP_2) | instskip(NEXT) | instid1(VALU_DEP_1)
	v_cndmask_b32_e64 v27, v2, 0x70, vcc_lo
	v_dual_cndmask_b32 v6, v6, v0, vcc_lo :: v_dual_add_nc_u32 v2, 21, v27
	v_add_nc_u32_e32 v33, 20, v27
	s_delay_alu instid0(VALU_DEP_2) | instskip(NEXT) | instid1(VALU_DEP_2)
	v_lshlrev_b64_e64 v[2:3], v2, -1
	v_lshlrev_b64_e64 v[38:39], v33, 1
	s_delay_alu instid0(VALU_DEP_2) | instskip(NEXT) | instid1(VALU_DEP_3)
	v_bfi_b32 v49, v3, 0, 0
	v_bfi_b32 v48, v2, 0, v6
	v_lshrrev_b64 v[2:3], v27, v[6:7]
	s_delay_alu instid0(VALU_DEP_1) | instskip(NEXT) | instid1(VALU_DEP_3)
	v_mov_b64_e32 v[6:7], v[2:3]
	v_cmpx_eq_u64_e64 v[48:49], v[38:39]
; %bb.15836:                            ;   in Loop: Header=BB6_14012 Depth=2
	v_bfe_u32 v6, v2, 21, 1
	v_mov_b32_e32 v7, v1
	s_delay_alu instid0(VALU_DEP_1) | instskip(NEXT) | instid1(VALU_DEP_1)
	v_add_nc_u64_e32 v[6:7], v[2:3], v[6:7]
	v_add_nc_u64_e32 v[6:7], -1, v[6:7]
; %bb.15837:                            ;   in Loop: Header=BB6_14012 Depth=2
	s_or_b32 exec_lo, exec_lo, s29
	v_add_nc_u32_e32 v0, 0xffffff81, v19
	s_delay_alu instid0(VALU_DEP_2) | instskip(SKIP_2) | instid1(VALU_DEP_3)
	v_and_b32_e32 v7, 0x1fffff, v6
	v_lshrrev_b32_e32 v3, 23, v2
	s_mov_b32 s7, exec_lo
	v_cndmask_b32_e64 v0, v0, 0xffffff82, vcc_lo
	s_delay_alu instid0(VALU_DEP_1) | instskip(SKIP_1) | instid1(VALU_DEP_2)
	v_add3_u32 v6, v27, v0, v3
	v_add_nc_u32_e32 v0, v7, v2
                                        ; implicit-def: $vgpr2_vgpr3
                                        ; implicit-def: $vgpr7
	v_add_nc_u32_e32 v19, 14, v6
	s_delay_alu instid0(VALU_DEP_1)
	v_cmpx_ne_u32_e32 0, v19
	s_xor_b32 s7, exec_lo, s7
; %bb.15838:                            ;   in Loop: Header=BB6_14012 Depth=2
	s_delay_alu instid0(VALU_DEP_3) | instskip(SKIP_1) | instid1(VALU_DEP_1)
	v_cmp_lt_u64_e32 vcc_lo, 0xffffff, v[0:1]
	v_add_nc_u32_e32 v2, 15, v6
	v_cndmask_b32_e32 v7, v19, v2, vcc_lo
	v_cndmask_b32_e64 v2, 0, 1, vcc_lo
	s_delay_alu instid0(VALU_DEP_1)
	v_lshrrev_b64 v[2:3], v2, v[0:1]
; %bb.15839:                            ;   in Loop: Header=BB6_14012 Depth=2
	s_and_not1_saveexec_b32 s7, s7
; %bb.15840:                            ;   in Loop: Header=BB6_14012 Depth=2
	v_mov_b64_e32 v[2:3], v[0:1]
	v_bfe_u32 v7, v0, 23, 1
; %bb.15841:                            ;   in Loop: Header=BB6_14012 Depth=2
	s_or_b32 exec_lo, exec_lo, s7
	s_delay_alu instid0(VALU_DEP_2) | instskip(NEXT) | instid1(VALU_DEP_2)
	v_lshrrev_b64 v[2:3], 21, v[2:3]
	v_cmp_gt_i32_e32 vcc_lo, 32, v7
	v_cmp_ne_u32_e64 s7, 0, v7
                                        ; implicit-def: $vgpr6
	s_delay_alu instid0(VALU_DEP_3) | instskip(NEXT) | instid1(VALU_DEP_1)
	v_dual_cndmask_b32 v3, 0, v3 :: v_dual_cndmask_b32 v2, 3, v2
	v_cmp_ne_u64_e32 vcc_lo, 0, v[2:3]
	s_or_b32 s7, s7, vcc_lo
	s_delay_alu instid0(SALU_CYCLE_1) | instskip(NEXT) | instid1(SALU_CYCLE_1)
	s_and_saveexec_b32 s29, s7
	s_xor_b32 s7, exec_lo, s29
; %bb.15842:                            ;   in Loop: Header=BB6_14012 Depth=2
	v_min_i32_e32 v0, 31, v7
	s_delay_alu instid0(VALU_DEP_1) | instskip(NEXT) | instid1(VALU_DEP_1)
	v_lshl_or_b32 v0, v0, 2, v5
                                        ; implicit-def: $vgpr5
	v_and_or_b32 v6, v2, 3, v0
; %bb.15843:                            ;   in Loop: Header=BB6_14012 Depth=2
	s_and_not1_saveexec_b32 s7, s7
; %bb.15844:                            ;   in Loop: Header=BB6_14012 Depth=2
	v_mov_b32_e32 v6, v5
; %bb.15845:                            ;   in Loop: Header=BB6_14012 Depth=2
	s_or_b32 exec_lo, exec_lo, s7
.LBB6_15846:                            ;   in Loop: Header=BB6_14012 Depth=2
	s_delay_alu instid0(SALU_CYCLE_1)
	s_or_b32 exec_lo, exec_lo, s28
                                        ; implicit-def: $vgpr5
.LBB6_15847:                            ;   in Loop: Header=BB6_14012 Depth=2
	s_and_not1_saveexec_b32 s7, s11
; %bb.15848:                            ;   in Loop: Header=BB6_14012 Depth=2
	v_or_b32_e32 v6, 0x7b, v5
; %bb.15849:                            ;   in Loop: Header=BB6_14012 Depth=2
	s_or_b32 exec_lo, exec_lo, s7
                                        ; implicit-def: $vgpr2
.LBB6_15850:                            ;   in Loop: Header=BB6_14012 Depth=2
	s_and_not1_saveexec_b32 s7, s10
	s_cbranch_execz .LBB6_15856
; %bb.15851:                            ;   in Loop: Header=BB6_14012 Depth=2
	s_mov_b32 s10, exec_lo
                                        ; implicit-def: $vgpr6
	v_cmpx_ne_u64_e32 0, v[0:1]
	s_xor_b32 s10, exec_lo, s10
; %bb.15852:                            ;   in Loop: Header=BB6_14012 Depth=2
	v_lshrrev_b32_e32 v0, 24, v2
                                        ; implicit-def: $vgpr2
	s_delay_alu instid0(VALU_DEP_1)
	v_or_b32_e32 v6, 0x7f, v0
; %bb.15853:                            ;   in Loop: Header=BB6_14012 Depth=2
	s_and_not1_saveexec_b32 s10, s10
; %bb.15854:                            ;   in Loop: Header=BB6_14012 Depth=2
	v_cmp_lt_i32_e32 vcc_lo, -1, v2
	v_cndmask_b32_e64 v6, -4, 0x7c, vcc_lo
; %bb.15855:                            ;   in Loop: Header=BB6_14012 Depth=2
	s_or_b32 exec_lo, exec_lo, s10
.LBB6_15856:                            ;   in Loop: Header=BB6_14012 Depth=2
	s_delay_alu instid0(SALU_CYCLE_1) | instskip(SKIP_3) | instid1(VALU_DEP_2)
	s_or_b32 exec_lo, exec_lo, s7
	v_and_b32_e32 v5, 0xff, v46
	v_dual_mov_b32 v0, 0 :: v_dual_mov_b32 v2, 0
	s_mov_b32 s7, exec_lo
	v_cmpx_ne_u16_e32 0, v5
	s_cbranch_execz .LBB6_15866
; %bb.15857:                            ;   in Loop: Header=BB6_14012 Depth=2
	v_bfrev_b32_e32 v2, 1
	s_mov_b32 s10, exec_lo
	v_cmpx_ne_u16_e32 0x80, v5
	s_cbranch_execz .LBB6_15865
; %bb.15858:                            ;   in Loop: Header=BB6_14012 Depth=2
	v_and_b32_e32 v2, 0x7c, v46
	v_and_b32_e32 v3, 3, v46
	s_delay_alu instid0(VALU_DEP_2) | instskip(SKIP_1) | instid1(SALU_CYCLE_1)
	v_cmp_ne_u32_e32 vcc_lo, 0x7c, v2
                                        ; implicit-def: $vgpr2
	s_and_saveexec_b32 s11, vcc_lo
	s_xor_b32 s11, exec_lo, s11
	s_cbranch_execz .LBB6_15862
; %bb.15859:                            ;   in Loop: Header=BB6_14012 Depth=2
	v_bfe_u32 v2, v5, 2, 5
	s_mov_b32 s28, exec_lo
	s_delay_alu instid0(VALU_DEP_1)
	v_cmpx_eq_u32_e32 0, v2
	s_cbranch_execz .LBB6_15861
; %bb.15860:                            ;   in Loop: Header=BB6_14012 Depth=2
	v_clz_i32_u32_e32 v2, v3
	s_delay_alu instid0(VALU_DEP_1) | instskip(SKIP_1) | instid1(VALU_DEP_2)
	v_min_u32_e32 v2, 32, v2
	v_mov_b32_e32 v47, v1
	v_subrev_nc_u32_e32 v3, 29, v2
	v_sub_nc_u32_e32 v2, 30, v2
	s_delay_alu instid0(VALU_DEP_2) | instskip(NEXT) | instid1(VALU_DEP_1)
	v_lshlrev_b64_e32 v[38:39], v3, v[46:47]
	v_and_b32_e32 v3, 3, v38
.LBB6_15861:                            ;   in Loop: Header=BB6_14012 Depth=2
	s_or_b32 exec_lo, exec_lo, s28
	v_lshlrev_b32_e32 v5, 24, v46
                                        ; implicit-def: $vgpr46
	s_delay_alu instid0(VALU_DEP_1) | instskip(NEXT) | instid1(VALU_DEP_1)
	v_and_b32_e32 v5, 0x80000000, v5
	v_lshl_add_u32 v2, v2, 23, v5
	s_delay_alu instid0(VALU_DEP_1) | instskip(NEXT) | instid1(VALU_DEP_1)
	v_lshl_or_b32 v2, v3, 21, v2
                                        ; implicit-def: $vgpr3
	v_add_nc_u32_e32 v2, 0x38000000, v2
.LBB6_15862:                            ;   in Loop: Header=BB6_14012 Depth=2
	s_and_not1_saveexec_b32 s11, s11
; %bb.15863:                            ;   in Loop: Header=BB6_14012 Depth=2
	v_bfe_i32 v2, v46, 0, 8
	s_delay_alu instid0(VALU_DEP_1) | instskip(SKIP_1) | instid1(VALU_DEP_1)
	v_cmp_lt_i16_e32 vcc_lo, -1, v2
	v_mov_b32_e32 v2, 0x7f800000
	v_cndmask_b32_e32 v2, 0xff800000, v2, vcc_lo
	v_cmp_eq_u32_e32 vcc_lo, 0, v3
	s_delay_alu instid0(VALU_DEP_2)
	v_cndmask_b32_e32 v2, 0x7f800001, v2, vcc_lo
; %bb.15864:                            ;   in Loop: Header=BB6_14012 Depth=2
	s_or_b32 exec_lo, exec_lo, s11
.LBB6_15865:                            ;   in Loop: Header=BB6_14012 Depth=2
	s_delay_alu instid0(SALU_CYCLE_1)
	s_or_b32 exec_lo, exec_lo, s10
.LBB6_15866:                            ;   in Loop: Header=BB6_14012 Depth=2
	s_delay_alu instid0(SALU_CYCLE_1) | instskip(NEXT) | instid1(SALU_CYCLE_1)
	s_or_b32 exec_lo, exec_lo, s7
	s_mov_b32 s7, exec_lo
	s_wait_loadcnt_dscnt 0xe0e
	v_cmpx_ne_u16_e32 0, v4
	s_cbranch_execz .LBB6_15876
; %bb.15867:                            ;   in Loop: Header=BB6_14012 Depth=2
	v_bfrev_b32_e32 v0, 1
	s_mov_b32 s10, exec_lo
	v_cmpx_ne_u16_e32 0xff80, v4
	s_cbranch_execz .LBB6_15875
; %bb.15868:                            ;   in Loop: Header=BB6_14012 Depth=2
	v_and_b32_e32 v0, 0x7c, v4
	v_and_b32_e32 v3, 3, v4
	s_delay_alu instid0(VALU_DEP_2) | instskip(SKIP_1) | instid1(SALU_CYCLE_1)
	v_cmp_ne_u32_e32 vcc_lo, 0x7c, v0
                                        ; implicit-def: $vgpr0
	s_and_saveexec_b32 s11, vcc_lo
	s_xor_b32 s11, exec_lo, s11
	s_cbranch_execz .LBB6_15872
; %bb.15869:                            ;   in Loop: Header=BB6_14012 Depth=2
	v_and_b32_e32 v0, 0xff, v4
	s_mov_b32 s28, exec_lo
	s_delay_alu instid0(VALU_DEP_1) | instskip(NEXT) | instid1(VALU_DEP_1)
	v_bfe_u32 v0, v0, 2, 5
	v_cmpx_eq_u32_e32 0, v0
	s_cbranch_execz .LBB6_15871
; %bb.15870:                            ;   in Loop: Header=BB6_14012 Depth=2
	v_clz_i32_u32_e32 v0, v3
	s_delay_alu instid0(VALU_DEP_1) | instskip(SKIP_1) | instid1(VALU_DEP_2)
	v_min_u32_e32 v0, 32, v0
	v_mov_b32_e32 v5, v1
	v_subrev_nc_u32_e32 v3, 29, v0
	v_sub_nc_u32_e32 v0, 30, v0
	s_delay_alu instid0(VALU_DEP_2) | instskip(NEXT) | instid1(VALU_DEP_1)
	v_lshlrev_b64_e32 v[38:39], v3, v[4:5]
	v_and_b32_e32 v3, 3, v38
.LBB6_15871:                            ;   in Loop: Header=BB6_14012 Depth=2
	s_or_b32 exec_lo, exec_lo, s28
	v_bfe_i32 v4, v4, 0, 16
	s_delay_alu instid0(VALU_DEP_1) | instskip(NEXT) | instid1(VALU_DEP_1)
	v_and_b32_e32 v4, 0x80000000, v4
	v_lshl_add_u32 v0, v0, 23, v4
                                        ; implicit-def: $vgpr4
	s_delay_alu instid0(VALU_DEP_1) | instskip(NEXT) | instid1(VALU_DEP_1)
	v_lshl_or_b32 v0, v3, 21, v0
                                        ; implicit-def: $vgpr3
	v_add_nc_u32_e32 v0, 0x38000000, v0
.LBB6_15872:                            ;   in Loop: Header=BB6_14012 Depth=2
	s_and_not1_saveexec_b32 s11, s11
; %bb.15873:                            ;   in Loop: Header=BB6_14012 Depth=2
	v_cmp_lt_i16_e32 vcc_lo, -1, v4
	v_mov_b32_e32 v0, 0x7f800000
	s_delay_alu instid0(VALU_DEP_1) | instskip(SKIP_1) | instid1(VALU_DEP_2)
	v_cndmask_b32_e32 v0, 0xff800000, v0, vcc_lo
	v_cmp_eq_u32_e32 vcc_lo, 0, v3
	v_cndmask_b32_e32 v0, 0x7f800001, v0, vcc_lo
; %bb.15874:                            ;   in Loop: Header=BB6_14012 Depth=2
	s_or_b32 exec_lo, exec_lo, s11
.LBB6_15875:                            ;   in Loop: Header=BB6_14012 Depth=2
	s_delay_alu instid0(SALU_CYCLE_1)
	s_or_b32 exec_lo, exec_lo, s10
.LBB6_15876:                            ;   in Loop: Header=BB6_14012 Depth=2
	s_delay_alu instid0(SALU_CYCLE_1) | instskip(NEXT) | instid1(VALU_DEP_1)
	s_or_b32 exec_lo, exec_lo, s7
	v_dual_add_f32 v2, v2, v0 :: v_dual_mov_b32 v5, v1
                                        ; implicit-def: $vgpr7
	s_mov_b32 s7, exec_lo
	s_delay_alu instid0(VALU_DEP_1) | instskip(SKIP_1) | instid1(VALU_DEP_2)
	v_and_b32_e32 v4, 0x7f800000, v2
	v_and_b32_e32 v0, 0x7fffff, v2
	v_cmpx_ne_u64_e32 0x7f800000, v[4:5]
	s_xor_b32 s10, exec_lo, s7
	s_cbranch_execz .LBB6_15894
; %bb.15877:                            ;   in Loop: Header=BB6_14012 Depth=2
	v_dual_mov_b32 v5, v1 :: v_dual_lshrrev_b32 v3, 24, v2
	v_and_b32_e32 v4, 0x7fffffff, v2
                                        ; implicit-def: $vgpr7
	s_mov_b32 s7, exec_lo
	s_delay_alu instid0(VALU_DEP_2) | instskip(NEXT) | instid1(VALU_DEP_2)
	v_and_b32_e32 v19, 0x80, v3
	v_cmpx_gt_u64_e32 0x47600001, v[4:5]
	s_xor_b32 s11, exec_lo, s7
	s_cbranch_execz .LBB6_15891
; %bb.15878:                            ;   in Loop: Header=BB6_14012 Depth=2
	v_mov_b32_e32 v7, 0
	s_mov_b32 s28, exec_lo
	v_cmpx_ne_u32_e32 0, v2
	s_cbranch_execz .LBB6_15890
; %bb.15879:                            ;   in Loop: Header=BB6_14012 Depth=2
	v_bfe_u32 v7, v2, 23, 8
	v_or_b32_e32 v4, 0x800000, v0
	s_mov_b32 s29, exec_lo
	s_delay_alu instid0(VALU_DEP_2) | instskip(SKIP_1) | instid1(VALU_DEP_2)
	v_dual_mov_b32 v5, v1 :: v_dual_sub_nc_u32 v2, 0x71, v7
	v_cmp_gt_u32_e32 vcc_lo, 0x72, v7
	v_cndmask_b32_e32 v2, 0, v2, vcc_lo
	v_cmp_eq_u32_e32 vcc_lo, 0, v7
	s_delay_alu instid0(VALU_DEP_2) | instskip(NEXT) | instid1(VALU_DEP_1)
	v_cndmask_b32_e64 v27, v2, 0x70, vcc_lo
	v_dual_cndmask_b32 v4, v4, v0, vcc_lo :: v_dual_add_nc_u32 v2, 21, v27
	v_add_nc_u32_e32 v33, 20, v27
	s_delay_alu instid0(VALU_DEP_2) | instskip(NEXT) | instid1(VALU_DEP_2)
	v_lshlrev_b64_e64 v[2:3], v2, -1
	v_lshlrev_b64_e64 v[38:39], v33, 1
	s_delay_alu instid0(VALU_DEP_2) | instskip(NEXT) | instid1(VALU_DEP_3)
	v_bfi_b32 v49, v3, 0, 0
	v_bfi_b32 v48, v2, 0, v4
	v_lshrrev_b64 v[2:3], v27, v[4:5]
	s_delay_alu instid0(VALU_DEP_1) | instskip(NEXT) | instid1(VALU_DEP_3)
	v_mov_b64_e32 v[4:5], v[2:3]
	v_cmpx_eq_u64_e64 v[48:49], v[38:39]
; %bb.15880:                            ;   in Loop: Header=BB6_14012 Depth=2
	v_bfe_u32 v4, v2, 21, 1
	v_mov_b32_e32 v5, v1
	s_delay_alu instid0(VALU_DEP_1) | instskip(NEXT) | instid1(VALU_DEP_1)
	v_add_nc_u64_e32 v[4:5], v[2:3], v[4:5]
	v_add_nc_u64_e32 v[4:5], -1, v[4:5]
; %bb.15881:                            ;   in Loop: Header=BB6_14012 Depth=2
	s_or_b32 exec_lo, exec_lo, s29
	v_add_nc_u32_e32 v0, 0xffffff81, v7
	s_delay_alu instid0(VALU_DEP_2) | instskip(SKIP_2) | instid1(VALU_DEP_3)
	v_and_b32_e32 v4, 0x1fffff, v4
	v_lshrrev_b32_e32 v3, 23, v2
	s_mov_b32 s7, exec_lo
	v_cndmask_b32_e64 v0, v0, 0xffffff82, vcc_lo
	s_delay_alu instid0(VALU_DEP_1) | instskip(SKIP_1) | instid1(VALU_DEP_2)
	v_add3_u32 v5, v27, v0, v3
	v_add_nc_u32_e32 v0, v4, v2
                                        ; implicit-def: $vgpr2_vgpr3
                                        ; implicit-def: $vgpr4
	v_add_nc_u32_e32 v7, 14, v5
	s_delay_alu instid0(VALU_DEP_1)
	v_cmpx_ne_u32_e32 0, v7
	s_xor_b32 s7, exec_lo, s7
; %bb.15882:                            ;   in Loop: Header=BB6_14012 Depth=2
	s_delay_alu instid0(VALU_DEP_3) | instskip(SKIP_1) | instid1(VALU_DEP_1)
	v_cmp_lt_u64_e32 vcc_lo, 0xffffff, v[0:1]
	v_add_nc_u32_e32 v2, 15, v5
	v_cndmask_b32_e32 v4, v7, v2, vcc_lo
	v_cndmask_b32_e64 v2, 0, 1, vcc_lo
	s_delay_alu instid0(VALU_DEP_1)
	v_lshrrev_b64 v[2:3], v2, v[0:1]
; %bb.15883:                            ;   in Loop: Header=BB6_14012 Depth=2
	s_and_not1_saveexec_b32 s7, s7
; %bb.15884:                            ;   in Loop: Header=BB6_14012 Depth=2
	v_mov_b64_e32 v[2:3], v[0:1]
	v_bfe_u32 v4, v0, 23, 1
; %bb.15885:                            ;   in Loop: Header=BB6_14012 Depth=2
	s_or_b32 exec_lo, exec_lo, s7
	s_delay_alu instid0(VALU_DEP_2) | instskip(NEXT) | instid1(VALU_DEP_2)
	v_lshrrev_b64 v[2:3], 21, v[2:3]
	v_cmp_gt_i32_e32 vcc_lo, 32, v4
	v_cmp_ne_u32_e64 s7, 0, v4
                                        ; implicit-def: $vgpr7
	s_delay_alu instid0(VALU_DEP_3) | instskip(NEXT) | instid1(VALU_DEP_1)
	v_dual_cndmask_b32 v3, 0, v3 :: v_dual_cndmask_b32 v2, 3, v2
	v_cmp_ne_u64_e32 vcc_lo, 0, v[2:3]
	s_or_b32 s7, s7, vcc_lo
	s_delay_alu instid0(SALU_CYCLE_1) | instskip(NEXT) | instid1(SALU_CYCLE_1)
	s_and_saveexec_b32 s29, s7
	s_xor_b32 s7, exec_lo, s29
; %bb.15886:                            ;   in Loop: Header=BB6_14012 Depth=2
	v_min_i32_e32 v0, 31, v4
	s_delay_alu instid0(VALU_DEP_1) | instskip(NEXT) | instid1(VALU_DEP_1)
	v_lshl_or_b32 v0, v0, 2, v19
                                        ; implicit-def: $vgpr19
	v_and_or_b32 v7, v2, 3, v0
; %bb.15887:                            ;   in Loop: Header=BB6_14012 Depth=2
	s_and_not1_saveexec_b32 s7, s7
; %bb.15888:                            ;   in Loop: Header=BB6_14012 Depth=2
	v_mov_b32_e32 v7, v19
; %bb.15889:                            ;   in Loop: Header=BB6_14012 Depth=2
	s_or_b32 exec_lo, exec_lo, s7
.LBB6_15890:                            ;   in Loop: Header=BB6_14012 Depth=2
	s_delay_alu instid0(SALU_CYCLE_1)
	s_or_b32 exec_lo, exec_lo, s28
                                        ; implicit-def: $vgpr19
.LBB6_15891:                            ;   in Loop: Header=BB6_14012 Depth=2
	s_and_not1_saveexec_b32 s7, s11
; %bb.15892:                            ;   in Loop: Header=BB6_14012 Depth=2
	v_or_b32_e32 v7, 0x7b, v19
; %bb.15893:                            ;   in Loop: Header=BB6_14012 Depth=2
	s_or_b32 exec_lo, exec_lo, s7
                                        ; implicit-def: $vgpr2
.LBB6_15894:                            ;   in Loop: Header=BB6_14012 Depth=2
	s_and_not1_saveexec_b32 s7, s10
	s_cbranch_execz .LBB6_15900
; %bb.15895:                            ;   in Loop: Header=BB6_14012 Depth=2
	s_mov_b32 s10, exec_lo
                                        ; implicit-def: $vgpr7
	v_cmpx_ne_u64_e32 0, v[0:1]
	s_xor_b32 s10, exec_lo, s10
; %bb.15896:                            ;   in Loop: Header=BB6_14012 Depth=2
	v_lshrrev_b32_e32 v0, 24, v2
                                        ; implicit-def: $vgpr2
	s_delay_alu instid0(VALU_DEP_1)
	v_or_b32_e32 v7, 0x7f, v0
; %bb.15897:                            ;   in Loop: Header=BB6_14012 Depth=2
	s_and_not1_saveexec_b32 s10, s10
; %bb.15898:                            ;   in Loop: Header=BB6_14012 Depth=2
	v_cmp_lt_i32_e32 vcc_lo, -1, v2
	v_cndmask_b32_e64 v7, -4, 0x7c, vcc_lo
; %bb.15899:                            ;   in Loop: Header=BB6_14012 Depth=2
	s_or_b32 exec_lo, exec_lo, s10
.LBB6_15900:                            ;   in Loop: Header=BB6_14012 Depth=2
	s_delay_alu instid0(SALU_CYCLE_1) | instskip(SKIP_3) | instid1(VALU_DEP_2)
	s_or_b32 exec_lo, exec_lo, s7
	v_and_b32_e32 v4, 0xff, v44
	v_dual_mov_b32 v0, 0 :: v_dual_mov_b32 v2, 0
	s_mov_b32 s7, exec_lo
	v_cmpx_ne_u16_e32 0, v4
	s_cbranch_execz .LBB6_15910
; %bb.15901:                            ;   in Loop: Header=BB6_14012 Depth=2
	v_bfrev_b32_e32 v2, 1
	s_mov_b32 s10, exec_lo
	v_cmpx_ne_u16_e32 0x80, v4
	s_cbranch_execz .LBB6_15909
; %bb.15902:                            ;   in Loop: Header=BB6_14012 Depth=2
	v_and_b32_e32 v2, 0x7c, v44
	v_and_b32_e32 v3, 3, v44
	s_delay_alu instid0(VALU_DEP_2) | instskip(SKIP_1) | instid1(SALU_CYCLE_1)
	v_cmp_ne_u32_e32 vcc_lo, 0x7c, v2
                                        ; implicit-def: $vgpr2
	s_and_saveexec_b32 s11, vcc_lo
	s_xor_b32 s11, exec_lo, s11
	s_cbranch_execz .LBB6_15906
; %bb.15903:                            ;   in Loop: Header=BB6_14012 Depth=2
	v_bfe_u32 v2, v4, 2, 5
	s_mov_b32 s28, exec_lo
	s_delay_alu instid0(VALU_DEP_1)
	v_cmpx_eq_u32_e32 0, v2
	s_cbranch_execz .LBB6_15905
; %bb.15904:                            ;   in Loop: Header=BB6_14012 Depth=2
	v_clz_i32_u32_e32 v2, v3
	s_delay_alu instid0(VALU_DEP_1) | instskip(SKIP_1) | instid1(VALU_DEP_2)
	v_min_u32_e32 v2, 32, v2
	v_mov_b32_e32 v45, v1
	v_subrev_nc_u32_e32 v3, 29, v2
	v_sub_nc_u32_e32 v2, 30, v2
	s_delay_alu instid0(VALU_DEP_2) | instskip(NEXT) | instid1(VALU_DEP_1)
	v_lshlrev_b64_e32 v[4:5], v3, v[44:45]
	v_and_b32_e32 v3, 3, v4
.LBB6_15905:                            ;   in Loop: Header=BB6_14012 Depth=2
	s_or_b32 exec_lo, exec_lo, s28
	v_lshlrev_b32_e32 v4, 24, v44
                                        ; implicit-def: $vgpr44
	s_delay_alu instid0(VALU_DEP_1) | instskip(NEXT) | instid1(VALU_DEP_1)
	v_and_b32_e32 v4, 0x80000000, v4
	v_lshl_add_u32 v2, v2, 23, v4
	s_delay_alu instid0(VALU_DEP_1) | instskip(NEXT) | instid1(VALU_DEP_1)
	v_lshl_or_b32 v2, v3, 21, v2
                                        ; implicit-def: $vgpr3
	v_add_nc_u32_e32 v2, 0x38000000, v2
.LBB6_15906:                            ;   in Loop: Header=BB6_14012 Depth=2
	s_and_not1_saveexec_b32 s11, s11
; %bb.15907:                            ;   in Loop: Header=BB6_14012 Depth=2
	v_bfe_i32 v2, v44, 0, 8
	s_delay_alu instid0(VALU_DEP_1) | instskip(SKIP_1) | instid1(VALU_DEP_1)
	v_cmp_lt_i16_e32 vcc_lo, -1, v2
	v_mov_b32_e32 v2, 0x7f800000
	v_cndmask_b32_e32 v2, 0xff800000, v2, vcc_lo
	v_cmp_eq_u32_e32 vcc_lo, 0, v3
	s_delay_alu instid0(VALU_DEP_2)
	v_cndmask_b32_e32 v2, 0x7f800001, v2, vcc_lo
; %bb.15908:                            ;   in Loop: Header=BB6_14012 Depth=2
	s_or_b32 exec_lo, exec_lo, s11
.LBB6_15909:                            ;   in Loop: Header=BB6_14012 Depth=2
	s_delay_alu instid0(SALU_CYCLE_1)
	s_or_b32 exec_lo, exec_lo, s10
.LBB6_15910:                            ;   in Loop: Header=BB6_14012 Depth=2
	s_delay_alu instid0(SALU_CYCLE_1) | instskip(NEXT) | instid1(SALU_CYCLE_1)
	s_or_b32 exec_lo, exec_lo, s7
	s_mov_b32 s7, exec_lo
	s_wait_loadcnt_dscnt 0xd0d
	v_cmpx_ne_u16_e32 0, v50
	s_cbranch_execz .LBB6_15920
; %bb.15911:                            ;   in Loop: Header=BB6_14012 Depth=2
	v_bfrev_b32_e32 v0, 1
	s_mov_b32 s10, exec_lo
	v_cmpx_ne_u16_e32 0xff80, v50
	s_cbranch_execz .LBB6_15919
; %bb.15912:                            ;   in Loop: Header=BB6_14012 Depth=2
	v_and_b32_e32 v0, 0x7c, v50
	v_and_b32_e32 v3, 3, v50
	s_delay_alu instid0(VALU_DEP_2) | instskip(SKIP_1) | instid1(SALU_CYCLE_1)
	v_cmp_ne_u32_e32 vcc_lo, 0x7c, v0
                                        ; implicit-def: $vgpr0
	s_and_saveexec_b32 s11, vcc_lo
	s_xor_b32 s11, exec_lo, s11
	s_cbranch_execz .LBB6_15916
; %bb.15913:                            ;   in Loop: Header=BB6_14012 Depth=2
	v_and_b32_e32 v0, 0xff, v50
	s_mov_b32 s28, exec_lo
	s_delay_alu instid0(VALU_DEP_1) | instskip(NEXT) | instid1(VALU_DEP_1)
	v_bfe_u32 v0, v0, 2, 5
	v_cmpx_eq_u32_e32 0, v0
	s_cbranch_execz .LBB6_15915
; %bb.15914:                            ;   in Loop: Header=BB6_14012 Depth=2
	v_clz_i32_u32_e32 v0, v3
	s_delay_alu instid0(VALU_DEP_1) | instskip(SKIP_1) | instid1(VALU_DEP_2)
	v_min_u32_e32 v0, 32, v0
	v_mov_b32_e32 v51, v1
	v_subrev_nc_u32_e32 v3, 29, v0
	v_sub_nc_u32_e32 v0, 30, v0
	s_delay_alu instid0(VALU_DEP_2) | instskip(NEXT) | instid1(VALU_DEP_1)
	v_lshlrev_b64_e32 v[4:5], v3, v[50:51]
	v_and_b32_e32 v3, 3, v4
.LBB6_15915:                            ;   in Loop: Header=BB6_14012 Depth=2
	s_or_b32 exec_lo, exec_lo, s28
	v_bfe_i32 v4, v50, 0, 16
                                        ; implicit-def: $vgpr50
	s_delay_alu instid0(VALU_DEP_1) | instskip(NEXT) | instid1(VALU_DEP_1)
	v_and_b32_e32 v4, 0x80000000, v4
	v_lshl_add_u32 v0, v0, 23, v4
	s_delay_alu instid0(VALU_DEP_1) | instskip(NEXT) | instid1(VALU_DEP_1)
	v_lshl_or_b32 v0, v3, 21, v0
                                        ; implicit-def: $vgpr3
	v_add_nc_u32_e32 v0, 0x38000000, v0
.LBB6_15916:                            ;   in Loop: Header=BB6_14012 Depth=2
	s_and_not1_saveexec_b32 s11, s11
; %bb.15917:                            ;   in Loop: Header=BB6_14012 Depth=2
	v_cmp_lt_i16_e32 vcc_lo, -1, v50
	v_mov_b32_e32 v0, 0x7f800000
	s_delay_alu instid0(VALU_DEP_1) | instskip(SKIP_1) | instid1(VALU_DEP_2)
	v_cndmask_b32_e32 v0, 0xff800000, v0, vcc_lo
	v_cmp_eq_u32_e32 vcc_lo, 0, v3
	v_cndmask_b32_e32 v0, 0x7f800001, v0, vcc_lo
; %bb.15918:                            ;   in Loop: Header=BB6_14012 Depth=2
	s_or_b32 exec_lo, exec_lo, s11
.LBB6_15919:                            ;   in Loop: Header=BB6_14012 Depth=2
	s_delay_alu instid0(SALU_CYCLE_1)
	s_or_b32 exec_lo, exec_lo, s10
.LBB6_15920:                            ;   in Loop: Header=BB6_14012 Depth=2
	s_delay_alu instid0(SALU_CYCLE_1) | instskip(NEXT) | instid1(VALU_DEP_1)
	s_or_b32 exec_lo, exec_lo, s7
	v_dual_add_f32 v2, v2, v0 :: v_dual_mov_b32 v5, v1
                                        ; implicit-def: $vgpr33
	s_mov_b32 s7, exec_lo
	s_delay_alu instid0(VALU_DEP_1) | instskip(SKIP_1) | instid1(VALU_DEP_2)
	v_and_b32_e32 v4, 0x7f800000, v2
	v_and_b32_e32 v0, 0x7fffff, v2
	v_cmpx_ne_u64_e32 0x7f800000, v[4:5]
	s_xor_b32 s10, exec_lo, s7
	s_cbranch_execz .LBB6_15938
; %bb.15921:                            ;   in Loop: Header=BB6_14012 Depth=2
	v_dual_mov_b32 v5, v1 :: v_dual_lshrrev_b32 v3, 24, v2
	v_and_b32_e32 v4, 0x7fffffff, v2
                                        ; implicit-def: $vgpr33
	s_mov_b32 s7, exec_lo
	s_delay_alu instid0(VALU_DEP_2) | instskip(NEXT) | instid1(VALU_DEP_2)
	v_and_b32_e32 v19, 0x80, v3
	v_cmpx_gt_u64_e32 0x47600001, v[4:5]
	s_xor_b32 s11, exec_lo, s7
	s_cbranch_execz .LBB6_15935
; %bb.15922:                            ;   in Loop: Header=BB6_14012 Depth=2
	v_mov_b32_e32 v33, 0
	s_mov_b32 s28, exec_lo
	v_cmpx_ne_u32_e32 0, v2
	s_cbranch_execz .LBB6_15934
; %bb.15923:                            ;   in Loop: Header=BB6_14012 Depth=2
	v_bfe_u32 v27, v2, 23, 8
	v_or_b32_e32 v4, 0x800000, v0
	s_mov_b32 s29, exec_lo
	s_delay_alu instid0(VALU_DEP_2) | instskip(SKIP_1) | instid1(VALU_DEP_2)
	v_dual_mov_b32 v5, v1 :: v_dual_sub_nc_u32 v2, 0x71, v27
	v_cmp_gt_u32_e32 vcc_lo, 0x72, v27
	v_cndmask_b32_e32 v2, 0, v2, vcc_lo
	v_cmp_eq_u32_e32 vcc_lo, 0, v27
	s_delay_alu instid0(VALU_DEP_2) | instskip(NEXT) | instid1(VALU_DEP_1)
	v_cndmask_b32_e64 v33, v2, 0x70, vcc_lo
	v_dual_cndmask_b32 v4, v4, v0, vcc_lo :: v_dual_add_nc_u32 v2, 21, v33
	v_add_nc_u32_e32 v35, 20, v33
	s_delay_alu instid0(VALU_DEP_2) | instskip(NEXT) | instid1(VALU_DEP_2)
	v_lshlrev_b64_e64 v[2:3], v2, -1
	v_lshlrev_b64_e64 v[38:39], v35, 1
	s_delay_alu instid0(VALU_DEP_2) | instskip(NEXT) | instid1(VALU_DEP_3)
	v_bfi_b32 v49, v3, 0, 0
	v_bfi_b32 v48, v2, 0, v4
	v_lshrrev_b64 v[2:3], v33, v[4:5]
	s_delay_alu instid0(VALU_DEP_1) | instskip(NEXT) | instid1(VALU_DEP_3)
	v_mov_b64_e32 v[4:5], v[2:3]
	v_cmpx_eq_u64_e64 v[48:49], v[38:39]
; %bb.15924:                            ;   in Loop: Header=BB6_14012 Depth=2
	v_bfe_u32 v4, v2, 21, 1
	v_mov_b32_e32 v5, v1
	s_delay_alu instid0(VALU_DEP_1) | instskip(NEXT) | instid1(VALU_DEP_1)
	v_add_nc_u64_e32 v[4:5], v[2:3], v[4:5]
	v_add_nc_u64_e32 v[4:5], -1, v[4:5]
; %bb.15925:                            ;   in Loop: Header=BB6_14012 Depth=2
	s_or_b32 exec_lo, exec_lo, s29
	v_add_nc_u32_e32 v0, 0xffffff81, v27
	s_delay_alu instid0(VALU_DEP_2) | instskip(SKIP_2) | instid1(VALU_DEP_3)
	v_and_b32_e32 v4, 0x1fffff, v4
	v_lshrrev_b32_e32 v3, 23, v2
	s_mov_b32 s7, exec_lo
	v_cndmask_b32_e64 v0, v0, 0xffffff82, vcc_lo
	s_delay_alu instid0(VALU_DEP_1) | instskip(SKIP_1) | instid1(VALU_DEP_2)
	v_add3_u32 v5, v33, v0, v3
	v_add_nc_u32_e32 v0, v4, v2
                                        ; implicit-def: $vgpr2_vgpr3
                                        ; implicit-def: $vgpr4
	v_add_nc_u32_e32 v27, 14, v5
	s_delay_alu instid0(VALU_DEP_1)
	v_cmpx_ne_u32_e32 0, v27
	s_xor_b32 s7, exec_lo, s7
; %bb.15926:                            ;   in Loop: Header=BB6_14012 Depth=2
	s_delay_alu instid0(VALU_DEP_3) | instskip(SKIP_1) | instid1(VALU_DEP_1)
	v_cmp_lt_u64_e32 vcc_lo, 0xffffff, v[0:1]
	v_add_nc_u32_e32 v2, 15, v5
	v_cndmask_b32_e32 v4, v27, v2, vcc_lo
	v_cndmask_b32_e64 v2, 0, 1, vcc_lo
	s_delay_alu instid0(VALU_DEP_1)
	v_lshrrev_b64 v[2:3], v2, v[0:1]
; %bb.15927:                            ;   in Loop: Header=BB6_14012 Depth=2
	s_and_not1_saveexec_b32 s7, s7
; %bb.15928:                            ;   in Loop: Header=BB6_14012 Depth=2
	v_mov_b64_e32 v[2:3], v[0:1]
	v_bfe_u32 v4, v0, 23, 1
; %bb.15929:                            ;   in Loop: Header=BB6_14012 Depth=2
	s_or_b32 exec_lo, exec_lo, s7
	s_delay_alu instid0(VALU_DEP_2) | instskip(NEXT) | instid1(VALU_DEP_2)
	v_lshrrev_b64 v[2:3], 21, v[2:3]
	v_cmp_gt_i32_e32 vcc_lo, 32, v4
	v_cmp_ne_u32_e64 s7, 0, v4
                                        ; implicit-def: $vgpr33
	s_delay_alu instid0(VALU_DEP_3) | instskip(NEXT) | instid1(VALU_DEP_1)
	v_dual_cndmask_b32 v3, 0, v3 :: v_dual_cndmask_b32 v2, 3, v2
	v_cmp_ne_u64_e32 vcc_lo, 0, v[2:3]
	s_or_b32 s7, s7, vcc_lo
	s_delay_alu instid0(SALU_CYCLE_1) | instskip(NEXT) | instid1(SALU_CYCLE_1)
	s_and_saveexec_b32 s29, s7
	s_xor_b32 s7, exec_lo, s29
; %bb.15930:                            ;   in Loop: Header=BB6_14012 Depth=2
	v_min_i32_e32 v0, 31, v4
	s_delay_alu instid0(VALU_DEP_1) | instskip(NEXT) | instid1(VALU_DEP_1)
	v_lshl_or_b32 v0, v0, 2, v19
                                        ; implicit-def: $vgpr19
	v_and_or_b32 v33, v2, 3, v0
; %bb.15931:                            ;   in Loop: Header=BB6_14012 Depth=2
	s_and_not1_saveexec_b32 s7, s7
; %bb.15932:                            ;   in Loop: Header=BB6_14012 Depth=2
	v_mov_b32_e32 v33, v19
; %bb.15933:                            ;   in Loop: Header=BB6_14012 Depth=2
	s_or_b32 exec_lo, exec_lo, s7
.LBB6_15934:                            ;   in Loop: Header=BB6_14012 Depth=2
	s_delay_alu instid0(SALU_CYCLE_1)
	s_or_b32 exec_lo, exec_lo, s28
                                        ; implicit-def: $vgpr19
.LBB6_15935:                            ;   in Loop: Header=BB6_14012 Depth=2
	s_and_not1_saveexec_b32 s7, s11
; %bb.15936:                            ;   in Loop: Header=BB6_14012 Depth=2
	v_or_b32_e32 v33, 0x7b, v19
; %bb.15937:                            ;   in Loop: Header=BB6_14012 Depth=2
	s_or_b32 exec_lo, exec_lo, s7
                                        ; implicit-def: $vgpr2
.LBB6_15938:                            ;   in Loop: Header=BB6_14012 Depth=2
	s_and_not1_saveexec_b32 s7, s10
	s_cbranch_execz .LBB6_15944
; %bb.15939:                            ;   in Loop: Header=BB6_14012 Depth=2
	s_mov_b32 s10, exec_lo
                                        ; implicit-def: $vgpr33
	v_cmpx_ne_u64_e32 0, v[0:1]
	s_xor_b32 s10, exec_lo, s10
; %bb.15940:                            ;   in Loop: Header=BB6_14012 Depth=2
	v_lshrrev_b32_e32 v0, 24, v2
                                        ; implicit-def: $vgpr2
	s_delay_alu instid0(VALU_DEP_1)
	v_or_b32_e32 v33, 0x7f, v0
; %bb.15941:                            ;   in Loop: Header=BB6_14012 Depth=2
	s_and_not1_saveexec_b32 s10, s10
; %bb.15942:                            ;   in Loop: Header=BB6_14012 Depth=2
	v_cmp_lt_i32_e32 vcc_lo, -1, v2
	v_cndmask_b32_e64 v33, -4, 0x7c, vcc_lo
; %bb.15943:                            ;   in Loop: Header=BB6_14012 Depth=2
	s_or_b32 exec_lo, exec_lo, s10
.LBB6_15944:                            ;   in Loop: Header=BB6_14012 Depth=2
	s_delay_alu instid0(SALU_CYCLE_1) | instskip(SKIP_3) | instid1(VALU_DEP_2)
	s_or_b32 exec_lo, exec_lo, s7
	v_and_b32_e32 v4, 0xff, v42
	v_dual_mov_b32 v0, 0 :: v_dual_mov_b32 v2, 0
	s_mov_b32 s7, exec_lo
	v_cmpx_ne_u16_e32 0, v4
	s_cbranch_execz .LBB6_15954
; %bb.15945:                            ;   in Loop: Header=BB6_14012 Depth=2
	v_bfrev_b32_e32 v2, 1
	s_mov_b32 s10, exec_lo
	v_cmpx_ne_u16_e32 0x80, v4
	s_cbranch_execz .LBB6_15953
; %bb.15946:                            ;   in Loop: Header=BB6_14012 Depth=2
	v_and_b32_e32 v2, 0x7c, v42
	v_and_b32_e32 v3, 3, v42
	s_delay_alu instid0(VALU_DEP_2) | instskip(SKIP_1) | instid1(SALU_CYCLE_1)
	v_cmp_ne_u32_e32 vcc_lo, 0x7c, v2
                                        ; implicit-def: $vgpr2
	s_and_saveexec_b32 s11, vcc_lo
	s_xor_b32 s11, exec_lo, s11
	s_cbranch_execz .LBB6_15950
; %bb.15947:                            ;   in Loop: Header=BB6_14012 Depth=2
	v_bfe_u32 v2, v4, 2, 5
	s_mov_b32 s28, exec_lo
	s_delay_alu instid0(VALU_DEP_1)
	v_cmpx_eq_u32_e32 0, v2
	s_cbranch_execz .LBB6_15949
; %bb.15948:                            ;   in Loop: Header=BB6_14012 Depth=2
	v_clz_i32_u32_e32 v2, v3
	s_delay_alu instid0(VALU_DEP_1) | instskip(SKIP_1) | instid1(VALU_DEP_2)
	v_min_u32_e32 v2, 32, v2
	v_mov_b32_e32 v43, v1
	v_subrev_nc_u32_e32 v3, 29, v2
	v_sub_nc_u32_e32 v2, 30, v2
	s_delay_alu instid0(VALU_DEP_2) | instskip(NEXT) | instid1(VALU_DEP_1)
	v_lshlrev_b64_e32 v[4:5], v3, v[42:43]
	v_and_b32_e32 v3, 3, v4
.LBB6_15949:                            ;   in Loop: Header=BB6_14012 Depth=2
	s_or_b32 exec_lo, exec_lo, s28
	v_lshlrev_b32_e32 v4, 24, v42
                                        ; implicit-def: $vgpr42
	s_delay_alu instid0(VALU_DEP_1) | instskip(NEXT) | instid1(VALU_DEP_1)
	v_and_b32_e32 v4, 0x80000000, v4
	v_lshl_add_u32 v2, v2, 23, v4
	s_delay_alu instid0(VALU_DEP_1) | instskip(NEXT) | instid1(VALU_DEP_1)
	v_lshl_or_b32 v2, v3, 21, v2
                                        ; implicit-def: $vgpr3
	v_add_nc_u32_e32 v2, 0x38000000, v2
.LBB6_15950:                            ;   in Loop: Header=BB6_14012 Depth=2
	s_and_not1_saveexec_b32 s11, s11
; %bb.15951:                            ;   in Loop: Header=BB6_14012 Depth=2
	v_bfe_i32 v2, v42, 0, 8
	s_delay_alu instid0(VALU_DEP_1) | instskip(SKIP_1) | instid1(VALU_DEP_1)
	v_cmp_lt_i16_e32 vcc_lo, -1, v2
	v_mov_b32_e32 v2, 0x7f800000
	v_cndmask_b32_e32 v2, 0xff800000, v2, vcc_lo
	v_cmp_eq_u32_e32 vcc_lo, 0, v3
	s_delay_alu instid0(VALU_DEP_2)
	v_cndmask_b32_e32 v2, 0x7f800001, v2, vcc_lo
; %bb.15952:                            ;   in Loop: Header=BB6_14012 Depth=2
	s_or_b32 exec_lo, exec_lo, s11
.LBB6_15953:                            ;   in Loop: Header=BB6_14012 Depth=2
	s_delay_alu instid0(SALU_CYCLE_1)
	s_or_b32 exec_lo, exec_lo, s10
.LBB6_15954:                            ;   in Loop: Header=BB6_14012 Depth=2
	s_delay_alu instid0(SALU_CYCLE_1) | instskip(NEXT) | instid1(SALU_CYCLE_1)
	s_or_b32 exec_lo, exec_lo, s7
	s_mov_b32 s7, exec_lo
	s_wait_loadcnt_dscnt 0xc0c
	v_cmpx_ne_u16_e32 0, v64
	s_cbranch_execz .LBB6_15964
; %bb.15955:                            ;   in Loop: Header=BB6_14012 Depth=2
	v_bfrev_b32_e32 v0, 1
	s_mov_b32 s10, exec_lo
	v_cmpx_ne_u16_e32 0xff80, v64
	s_cbranch_execz .LBB6_15963
; %bb.15956:                            ;   in Loop: Header=BB6_14012 Depth=2
	v_and_b32_e32 v0, 0x7c, v64
	v_and_b32_e32 v3, 3, v64
	s_delay_alu instid0(VALU_DEP_2) | instskip(SKIP_1) | instid1(SALU_CYCLE_1)
	v_cmp_ne_u32_e32 vcc_lo, 0x7c, v0
                                        ; implicit-def: $vgpr0
	s_and_saveexec_b32 s11, vcc_lo
	s_xor_b32 s11, exec_lo, s11
	s_cbranch_execz .LBB6_15960
; %bb.15957:                            ;   in Loop: Header=BB6_14012 Depth=2
	v_and_b32_e32 v0, 0xff, v64
	s_mov_b32 s28, exec_lo
	s_delay_alu instid0(VALU_DEP_1) | instskip(NEXT) | instid1(VALU_DEP_1)
	v_bfe_u32 v0, v0, 2, 5
	v_cmpx_eq_u32_e32 0, v0
	s_cbranch_execz .LBB6_15959
; %bb.15958:                            ;   in Loop: Header=BB6_14012 Depth=2
	v_clz_i32_u32_e32 v0, v3
	s_delay_alu instid0(VALU_DEP_1) | instskip(SKIP_1) | instid1(VALU_DEP_2)
	v_min_u32_e32 v0, 32, v0
	v_mov_b32_e32 v65, v1
	v_subrev_nc_u32_e32 v3, 29, v0
	v_sub_nc_u32_e32 v0, 30, v0
	s_delay_alu instid0(VALU_DEP_2) | instskip(NEXT) | instid1(VALU_DEP_1)
	v_lshlrev_b64_e32 v[4:5], v3, v[64:65]
	v_and_b32_e32 v3, 3, v4
.LBB6_15959:                            ;   in Loop: Header=BB6_14012 Depth=2
	s_or_b32 exec_lo, exec_lo, s28
	v_bfe_i32 v4, v64, 0, 16
                                        ; implicit-def: $vgpr64
	s_delay_alu instid0(VALU_DEP_1) | instskip(NEXT) | instid1(VALU_DEP_1)
	v_and_b32_e32 v4, 0x80000000, v4
	v_lshl_add_u32 v0, v0, 23, v4
	s_delay_alu instid0(VALU_DEP_1) | instskip(NEXT) | instid1(VALU_DEP_1)
	v_lshl_or_b32 v0, v3, 21, v0
                                        ; implicit-def: $vgpr3
	v_add_nc_u32_e32 v0, 0x38000000, v0
.LBB6_15960:                            ;   in Loop: Header=BB6_14012 Depth=2
	s_and_not1_saveexec_b32 s11, s11
; %bb.15961:                            ;   in Loop: Header=BB6_14012 Depth=2
	v_cmp_lt_i16_e32 vcc_lo, -1, v64
	v_mov_b32_e32 v0, 0x7f800000
	s_delay_alu instid0(VALU_DEP_1) | instskip(SKIP_1) | instid1(VALU_DEP_2)
	v_cndmask_b32_e32 v0, 0xff800000, v0, vcc_lo
	v_cmp_eq_u32_e32 vcc_lo, 0, v3
	v_cndmask_b32_e32 v0, 0x7f800001, v0, vcc_lo
; %bb.15962:                            ;   in Loop: Header=BB6_14012 Depth=2
	s_or_b32 exec_lo, exec_lo, s11
.LBB6_15963:                            ;   in Loop: Header=BB6_14012 Depth=2
	s_delay_alu instid0(SALU_CYCLE_1)
	s_or_b32 exec_lo, exec_lo, s10
.LBB6_15964:                            ;   in Loop: Header=BB6_14012 Depth=2
	s_delay_alu instid0(SALU_CYCLE_1) | instskip(NEXT) | instid1(VALU_DEP_1)
	s_or_b32 exec_lo, exec_lo, s7
	v_dual_add_f32 v2, v2, v0 :: v_dual_mov_b32 v5, v1
                                        ; implicit-def: $vgpr38
	s_mov_b32 s7, exec_lo
	s_delay_alu instid0(VALU_DEP_1) | instskip(SKIP_1) | instid1(VALU_DEP_2)
	v_and_b32_e32 v4, 0x7f800000, v2
	v_and_b32_e32 v0, 0x7fffff, v2
	v_cmpx_ne_u64_e32 0x7f800000, v[4:5]
	s_xor_b32 s10, exec_lo, s7
	s_cbranch_execz .LBB6_15982
; %bb.15965:                            ;   in Loop: Header=BB6_14012 Depth=2
	v_dual_mov_b32 v5, v1 :: v_dual_lshrrev_b32 v3, 24, v2
	v_and_b32_e32 v4, 0x7fffffff, v2
                                        ; implicit-def: $vgpr38
	s_mov_b32 s7, exec_lo
	s_delay_alu instid0(VALU_DEP_2) | instskip(NEXT) | instid1(VALU_DEP_2)
	v_and_b32_e32 v19, 0x80, v3
	v_cmpx_gt_u64_e32 0x47600001, v[4:5]
	s_xor_b32 s11, exec_lo, s7
	s_cbranch_execz .LBB6_15979
; %bb.15966:                            ;   in Loop: Header=BB6_14012 Depth=2
	v_mov_b32_e32 v38, 0
	s_mov_b32 s28, exec_lo
	v_cmpx_ne_u32_e32 0, v2
	s_cbranch_execz .LBB6_15978
; %bb.15967:                            ;   in Loop: Header=BB6_14012 Depth=2
	v_bfe_u32 v27, v2, 23, 8
	v_or_b32_e32 v4, 0x800000, v0
	s_mov_b32 s29, exec_lo
	s_delay_alu instid0(VALU_DEP_2) | instskip(SKIP_1) | instid1(VALU_DEP_2)
	v_dual_mov_b32 v5, v1 :: v_dual_sub_nc_u32 v2, 0x71, v27
	v_cmp_gt_u32_e32 vcc_lo, 0x72, v27
	v_cndmask_b32_e32 v2, 0, v2, vcc_lo
	v_cmp_eq_u32_e32 vcc_lo, 0, v27
	s_delay_alu instid0(VALU_DEP_2) | instskip(NEXT) | instid1(VALU_DEP_1)
	v_cndmask_b32_e64 v35, v2, 0x70, vcc_lo
	v_dual_cndmask_b32 v4, v4, v0, vcc_lo :: v_dual_add_nc_u32 v2, 21, v35
	v_add_nc_u32_e32 v37, 20, v35
	s_delay_alu instid0(VALU_DEP_2) | instskip(NEXT) | instid1(VALU_DEP_2)
	v_lshlrev_b64_e64 v[2:3], v2, -1
	v_lshlrev_b64_e64 v[38:39], v37, 1
	s_delay_alu instid0(VALU_DEP_2) | instskip(NEXT) | instid1(VALU_DEP_3)
	v_bfi_b32 v49, v3, 0, 0
	v_bfi_b32 v48, v2, 0, v4
	v_lshrrev_b64 v[2:3], v35, v[4:5]
	s_delay_alu instid0(VALU_DEP_1) | instskip(NEXT) | instid1(VALU_DEP_3)
	v_mov_b64_e32 v[4:5], v[2:3]
	v_cmpx_eq_u64_e64 v[48:49], v[38:39]
; %bb.15968:                            ;   in Loop: Header=BB6_14012 Depth=2
	v_bfe_u32 v4, v2, 21, 1
	v_mov_b32_e32 v5, v1
	s_delay_alu instid0(VALU_DEP_1) | instskip(NEXT) | instid1(VALU_DEP_1)
	v_add_nc_u64_e32 v[4:5], v[2:3], v[4:5]
	v_add_nc_u64_e32 v[4:5], -1, v[4:5]
; %bb.15969:                            ;   in Loop: Header=BB6_14012 Depth=2
	s_or_b32 exec_lo, exec_lo, s29
	v_add_nc_u32_e32 v0, 0xffffff81, v27
	s_delay_alu instid0(VALU_DEP_2) | instskip(SKIP_2) | instid1(VALU_DEP_3)
	v_and_b32_e32 v4, 0x1fffff, v4
	v_lshrrev_b32_e32 v3, 23, v2
	s_mov_b32 s7, exec_lo
	v_cndmask_b32_e64 v0, v0, 0xffffff82, vcc_lo
	s_delay_alu instid0(VALU_DEP_1) | instskip(SKIP_1) | instid1(VALU_DEP_2)
	v_add3_u32 v5, v35, v0, v3
	v_add_nc_u32_e32 v0, v4, v2
                                        ; implicit-def: $vgpr2_vgpr3
                                        ; implicit-def: $vgpr4
	v_add_nc_u32_e32 v27, 14, v5
	s_delay_alu instid0(VALU_DEP_1)
	v_cmpx_ne_u32_e32 0, v27
	s_xor_b32 s7, exec_lo, s7
; %bb.15970:                            ;   in Loop: Header=BB6_14012 Depth=2
	s_delay_alu instid0(VALU_DEP_3) | instskip(SKIP_1) | instid1(VALU_DEP_1)
	v_cmp_lt_u64_e32 vcc_lo, 0xffffff, v[0:1]
	v_add_nc_u32_e32 v2, 15, v5
	v_cndmask_b32_e32 v4, v27, v2, vcc_lo
	v_cndmask_b32_e64 v2, 0, 1, vcc_lo
	s_delay_alu instid0(VALU_DEP_1)
	v_lshrrev_b64 v[2:3], v2, v[0:1]
; %bb.15971:                            ;   in Loop: Header=BB6_14012 Depth=2
	s_and_not1_saveexec_b32 s7, s7
; %bb.15972:                            ;   in Loop: Header=BB6_14012 Depth=2
	v_mov_b64_e32 v[2:3], v[0:1]
	v_bfe_u32 v4, v0, 23, 1
; %bb.15973:                            ;   in Loop: Header=BB6_14012 Depth=2
	s_or_b32 exec_lo, exec_lo, s7
	s_delay_alu instid0(VALU_DEP_2) | instskip(NEXT) | instid1(VALU_DEP_2)
	v_lshrrev_b64 v[2:3], 21, v[2:3]
	v_cmp_gt_i32_e32 vcc_lo, 32, v4
	v_cmp_ne_u32_e64 s7, 0, v4
                                        ; implicit-def: $vgpr38
	s_delay_alu instid0(VALU_DEP_3) | instskip(NEXT) | instid1(VALU_DEP_1)
	v_dual_cndmask_b32 v3, 0, v3 :: v_dual_cndmask_b32 v2, 3, v2
	v_cmp_ne_u64_e32 vcc_lo, 0, v[2:3]
	s_or_b32 s7, s7, vcc_lo
	s_delay_alu instid0(SALU_CYCLE_1) | instskip(NEXT) | instid1(SALU_CYCLE_1)
	s_and_saveexec_b32 s29, s7
	s_xor_b32 s7, exec_lo, s29
; %bb.15974:                            ;   in Loop: Header=BB6_14012 Depth=2
	v_min_i32_e32 v0, 31, v4
	s_delay_alu instid0(VALU_DEP_1) | instskip(NEXT) | instid1(VALU_DEP_1)
	v_lshl_or_b32 v0, v0, 2, v19
                                        ; implicit-def: $vgpr19
	v_and_or_b32 v38, v2, 3, v0
; %bb.15975:                            ;   in Loop: Header=BB6_14012 Depth=2
	s_and_not1_saveexec_b32 s7, s7
; %bb.15976:                            ;   in Loop: Header=BB6_14012 Depth=2
	v_mov_b32_e32 v38, v19
; %bb.15977:                            ;   in Loop: Header=BB6_14012 Depth=2
	s_or_b32 exec_lo, exec_lo, s7
.LBB6_15978:                            ;   in Loop: Header=BB6_14012 Depth=2
	s_delay_alu instid0(SALU_CYCLE_1)
	s_or_b32 exec_lo, exec_lo, s28
                                        ; implicit-def: $vgpr19
.LBB6_15979:                            ;   in Loop: Header=BB6_14012 Depth=2
	s_and_not1_saveexec_b32 s7, s11
; %bb.15980:                            ;   in Loop: Header=BB6_14012 Depth=2
	v_or_b32_e32 v38, 0x7b, v19
; %bb.15981:                            ;   in Loop: Header=BB6_14012 Depth=2
	s_or_b32 exec_lo, exec_lo, s7
                                        ; implicit-def: $vgpr2
.LBB6_15982:                            ;   in Loop: Header=BB6_14012 Depth=2
	s_and_not1_saveexec_b32 s7, s10
	s_cbranch_execz .LBB6_15988
; %bb.15983:                            ;   in Loop: Header=BB6_14012 Depth=2
	s_mov_b32 s10, exec_lo
                                        ; implicit-def: $vgpr38
	v_cmpx_ne_u64_e32 0, v[0:1]
	s_xor_b32 s10, exec_lo, s10
; %bb.15984:                            ;   in Loop: Header=BB6_14012 Depth=2
	v_lshrrev_b32_e32 v0, 24, v2
                                        ; implicit-def: $vgpr2
	s_delay_alu instid0(VALU_DEP_1)
	v_or_b32_e32 v38, 0x7f, v0
; %bb.15985:                            ;   in Loop: Header=BB6_14012 Depth=2
	s_and_not1_saveexec_b32 s10, s10
; %bb.15986:                            ;   in Loop: Header=BB6_14012 Depth=2
	v_cmp_lt_i32_e32 vcc_lo, -1, v2
	v_cndmask_b32_e64 v38, -4, 0x7c, vcc_lo
; %bb.15987:                            ;   in Loop: Header=BB6_14012 Depth=2
	s_or_b32 exec_lo, exec_lo, s10
.LBB6_15988:                            ;   in Loop: Header=BB6_14012 Depth=2
	s_delay_alu instid0(SALU_CYCLE_1) | instskip(SKIP_3) | instid1(VALU_DEP_2)
	s_or_b32 exec_lo, exec_lo, s7
	v_and_b32_e32 v4, 0xff, v40
	v_dual_mov_b32 v0, 0 :: v_dual_mov_b32 v2, 0
	s_mov_b32 s7, exec_lo
	v_cmpx_ne_u16_e32 0, v4
	s_cbranch_execz .LBB6_15998
; %bb.15989:                            ;   in Loop: Header=BB6_14012 Depth=2
	v_bfrev_b32_e32 v2, 1
	s_mov_b32 s10, exec_lo
	v_cmpx_ne_u16_e32 0x80, v4
	s_cbranch_execz .LBB6_15997
; %bb.15990:                            ;   in Loop: Header=BB6_14012 Depth=2
	v_and_b32_e32 v2, 0x7c, v40
	v_and_b32_e32 v3, 3, v40
	s_delay_alu instid0(VALU_DEP_2) | instskip(SKIP_1) | instid1(SALU_CYCLE_1)
	v_cmp_ne_u32_e32 vcc_lo, 0x7c, v2
                                        ; implicit-def: $vgpr2
	s_and_saveexec_b32 s11, vcc_lo
	s_xor_b32 s11, exec_lo, s11
	s_cbranch_execz .LBB6_15994
; %bb.15991:                            ;   in Loop: Header=BB6_14012 Depth=2
	v_bfe_u32 v2, v4, 2, 5
	s_mov_b32 s28, exec_lo
	s_delay_alu instid0(VALU_DEP_1)
	v_cmpx_eq_u32_e32 0, v2
	s_cbranch_execz .LBB6_15993
; %bb.15992:                            ;   in Loop: Header=BB6_14012 Depth=2
	v_clz_i32_u32_e32 v2, v3
	s_delay_alu instid0(VALU_DEP_1) | instskip(SKIP_1) | instid1(VALU_DEP_2)
	v_min_u32_e32 v2, 32, v2
	v_mov_b32_e32 v41, v1
	v_subrev_nc_u32_e32 v3, 29, v2
	v_sub_nc_u32_e32 v2, 30, v2
	s_delay_alu instid0(VALU_DEP_2) | instskip(NEXT) | instid1(VALU_DEP_1)
	v_lshlrev_b64_e32 v[4:5], v3, v[40:41]
	v_and_b32_e32 v3, 3, v4
.LBB6_15993:                            ;   in Loop: Header=BB6_14012 Depth=2
	s_or_b32 exec_lo, exec_lo, s28
	v_lshlrev_b32_e32 v4, 24, v40
                                        ; implicit-def: $vgpr40
	s_delay_alu instid0(VALU_DEP_1) | instskip(NEXT) | instid1(VALU_DEP_1)
	v_and_b32_e32 v4, 0x80000000, v4
	v_lshl_add_u32 v2, v2, 23, v4
	s_delay_alu instid0(VALU_DEP_1) | instskip(NEXT) | instid1(VALU_DEP_1)
	v_lshl_or_b32 v2, v3, 21, v2
                                        ; implicit-def: $vgpr3
	v_add_nc_u32_e32 v2, 0x38000000, v2
.LBB6_15994:                            ;   in Loop: Header=BB6_14012 Depth=2
	s_and_not1_saveexec_b32 s11, s11
; %bb.15995:                            ;   in Loop: Header=BB6_14012 Depth=2
	v_bfe_i32 v2, v40, 0, 8
	s_delay_alu instid0(VALU_DEP_1) | instskip(SKIP_1) | instid1(VALU_DEP_1)
	v_cmp_lt_i16_e32 vcc_lo, -1, v2
	v_mov_b32_e32 v2, 0x7f800000
	v_cndmask_b32_e32 v2, 0xff800000, v2, vcc_lo
	v_cmp_eq_u32_e32 vcc_lo, 0, v3
	s_delay_alu instid0(VALU_DEP_2)
	v_cndmask_b32_e32 v2, 0x7f800001, v2, vcc_lo
; %bb.15996:                            ;   in Loop: Header=BB6_14012 Depth=2
	s_or_b32 exec_lo, exec_lo, s11
.LBB6_15997:                            ;   in Loop: Header=BB6_14012 Depth=2
	s_delay_alu instid0(SALU_CYCLE_1)
	s_or_b32 exec_lo, exec_lo, s10
.LBB6_15998:                            ;   in Loop: Header=BB6_14012 Depth=2
	s_delay_alu instid0(SALU_CYCLE_1) | instskip(NEXT) | instid1(SALU_CYCLE_1)
	s_or_b32 exec_lo, exec_lo, s7
	s_mov_b32 s7, exec_lo
	s_wait_loadcnt_dscnt 0xb0b
	v_cmpx_ne_u16_e32 0, v124
	s_cbranch_execz .LBB6_16008
; %bb.15999:                            ;   in Loop: Header=BB6_14012 Depth=2
	v_bfrev_b32_e32 v0, 1
	s_mov_b32 s10, exec_lo
	v_cmpx_ne_u16_e32 0xff80, v124
	s_cbranch_execz .LBB6_16007
; %bb.16000:                            ;   in Loop: Header=BB6_14012 Depth=2
	v_and_b32_e32 v0, 0x7c, v124
	v_and_b32_e32 v3, 3, v124
	s_delay_alu instid0(VALU_DEP_2) | instskip(SKIP_1) | instid1(SALU_CYCLE_1)
	v_cmp_ne_u32_e32 vcc_lo, 0x7c, v0
                                        ; implicit-def: $vgpr0
	s_and_saveexec_b32 s11, vcc_lo
	s_xor_b32 s11, exec_lo, s11
	s_cbranch_execz .LBB6_16004
; %bb.16001:                            ;   in Loop: Header=BB6_14012 Depth=2
	v_and_b32_e32 v0, 0xff, v124
	s_mov_b32 s28, exec_lo
	s_delay_alu instid0(VALU_DEP_1) | instskip(NEXT) | instid1(VALU_DEP_1)
	v_bfe_u32 v0, v0, 2, 5
	v_cmpx_eq_u32_e32 0, v0
	s_cbranch_execz .LBB6_16003
; %bb.16002:                            ;   in Loop: Header=BB6_14012 Depth=2
	v_clz_i32_u32_e32 v0, v3
	s_delay_alu instid0(VALU_DEP_1) | instskip(SKIP_1) | instid1(VALU_DEP_2)
	v_min_u32_e32 v0, 32, v0
	v_mov_b32_e32 v125, v1
	v_subrev_nc_u32_e32 v3, 29, v0
	v_sub_nc_u32_e32 v0, 30, v0
	s_delay_alu instid0(VALU_DEP_2) | instskip(NEXT) | instid1(VALU_DEP_1)
	v_lshlrev_b64_e32 v[4:5], v3, v[124:125]
	v_and_b32_e32 v3, 3, v4
.LBB6_16003:                            ;   in Loop: Header=BB6_14012 Depth=2
	s_or_b32 exec_lo, exec_lo, s28
	v_bfe_i32 v4, v124, 0, 16
                                        ; implicit-def: $vgpr124
	s_delay_alu instid0(VALU_DEP_1) | instskip(NEXT) | instid1(VALU_DEP_1)
	v_and_b32_e32 v4, 0x80000000, v4
	v_lshl_add_u32 v0, v0, 23, v4
	s_delay_alu instid0(VALU_DEP_1) | instskip(NEXT) | instid1(VALU_DEP_1)
	v_lshl_or_b32 v0, v3, 21, v0
                                        ; implicit-def: $vgpr3
	v_add_nc_u32_e32 v0, 0x38000000, v0
.LBB6_16004:                            ;   in Loop: Header=BB6_14012 Depth=2
	s_and_not1_saveexec_b32 s11, s11
; %bb.16005:                            ;   in Loop: Header=BB6_14012 Depth=2
	v_cmp_lt_i16_e32 vcc_lo, -1, v124
	v_mov_b32_e32 v0, 0x7f800000
	s_delay_alu instid0(VALU_DEP_1) | instskip(SKIP_1) | instid1(VALU_DEP_2)
	v_cndmask_b32_e32 v0, 0xff800000, v0, vcc_lo
	v_cmp_eq_u32_e32 vcc_lo, 0, v3
	v_cndmask_b32_e32 v0, 0x7f800001, v0, vcc_lo
; %bb.16006:                            ;   in Loop: Header=BB6_14012 Depth=2
	s_or_b32 exec_lo, exec_lo, s11
.LBB6_16007:                            ;   in Loop: Header=BB6_14012 Depth=2
	s_delay_alu instid0(SALU_CYCLE_1)
	s_or_b32 exec_lo, exec_lo, s10
.LBB6_16008:                            ;   in Loop: Header=BB6_14012 Depth=2
	s_delay_alu instid0(SALU_CYCLE_1) | instskip(NEXT) | instid1(VALU_DEP_1)
	s_or_b32 exec_lo, exec_lo, s7
	v_dual_add_f32 v2, v2, v0 :: v_dual_mov_b32 v5, v1
                                        ; implicit-def: $vgpr39
	s_mov_b32 s7, exec_lo
	s_delay_alu instid0(VALU_DEP_1) | instskip(SKIP_1) | instid1(VALU_DEP_2)
	v_and_b32_e32 v4, 0x7f800000, v2
	v_and_b32_e32 v0, 0x7fffff, v2
	v_cmpx_ne_u64_e32 0x7f800000, v[4:5]
	s_xor_b32 s10, exec_lo, s7
	s_cbranch_execz .LBB6_16026
; %bb.16009:                            ;   in Loop: Header=BB6_14012 Depth=2
	v_dual_mov_b32 v5, v1 :: v_dual_lshrrev_b32 v3, 24, v2
	v_and_b32_e32 v4, 0x7fffffff, v2
                                        ; implicit-def: $vgpr39
	s_mov_b32 s7, exec_lo
	s_delay_alu instid0(VALU_DEP_2) | instskip(NEXT) | instid1(VALU_DEP_2)
	v_and_b32_e32 v19, 0x80, v3
	v_cmpx_gt_u64_e32 0x47600001, v[4:5]
	s_xor_b32 s11, exec_lo, s7
	s_cbranch_execz .LBB6_16023
; %bb.16010:                            ;   in Loop: Header=BB6_14012 Depth=2
	v_mov_b32_e32 v39, 0
	s_mov_b32 s28, exec_lo
	v_cmpx_ne_u32_e32 0, v2
	s_cbranch_execz .LBB6_16022
; %bb.16011:                            ;   in Loop: Header=BB6_14012 Depth=2
	v_bfe_u32 v27, v2, 23, 8
	v_or_b32_e32 v4, 0x800000, v0
	s_mov_b32 s29, exec_lo
	s_delay_alu instid0(VALU_DEP_2) | instskip(SKIP_1) | instid1(VALU_DEP_2)
	v_dual_mov_b32 v5, v1 :: v_dual_sub_nc_u32 v2, 0x71, v27
	v_cmp_gt_u32_e32 vcc_lo, 0x72, v27
	v_cndmask_b32_e32 v2, 0, v2, vcc_lo
	v_cmp_eq_u32_e32 vcc_lo, 0, v27
	s_delay_alu instid0(VALU_DEP_2) | instskip(NEXT) | instid1(VALU_DEP_1)
	v_cndmask_b32_e64 v35, v2, 0x70, vcc_lo
	v_dual_cndmask_b32 v4, v4, v0, vcc_lo :: v_dual_add_nc_u32 v2, 21, v35
	v_add_nc_u32_e32 v37, 20, v35
	s_delay_alu instid0(VALU_DEP_2) | instskip(NEXT) | instid1(VALU_DEP_2)
	v_lshlrev_b64_e64 v[2:3], v2, -1
	v_lshlrev_b64_e64 v[48:49], v37, 1
	s_delay_alu instid0(VALU_DEP_2) | instskip(NEXT) | instid1(VALU_DEP_3)
	v_bfi_b32 v51, v3, 0, 0
	v_bfi_b32 v50, v2, 0, v4
	v_lshrrev_b64 v[2:3], v35, v[4:5]
	s_delay_alu instid0(VALU_DEP_1) | instskip(NEXT) | instid1(VALU_DEP_3)
	v_mov_b64_e32 v[4:5], v[2:3]
	v_cmpx_eq_u64_e64 v[50:51], v[48:49]
; %bb.16012:                            ;   in Loop: Header=BB6_14012 Depth=2
	v_bfe_u32 v4, v2, 21, 1
	v_mov_b32_e32 v5, v1
	s_delay_alu instid0(VALU_DEP_1) | instskip(NEXT) | instid1(VALU_DEP_1)
	v_add_nc_u64_e32 v[4:5], v[2:3], v[4:5]
	v_add_nc_u64_e32 v[4:5], -1, v[4:5]
; %bb.16013:                            ;   in Loop: Header=BB6_14012 Depth=2
	s_or_b32 exec_lo, exec_lo, s29
	v_add_nc_u32_e32 v0, 0xffffff81, v27
	s_delay_alu instid0(VALU_DEP_2) | instskip(SKIP_2) | instid1(VALU_DEP_3)
	v_and_b32_e32 v4, 0x1fffff, v4
	v_lshrrev_b32_e32 v3, 23, v2
	s_mov_b32 s7, exec_lo
	v_cndmask_b32_e64 v0, v0, 0xffffff82, vcc_lo
	s_delay_alu instid0(VALU_DEP_1) | instskip(SKIP_1) | instid1(VALU_DEP_2)
	v_add3_u32 v5, v35, v0, v3
	v_add_nc_u32_e32 v0, v4, v2
                                        ; implicit-def: $vgpr2_vgpr3
                                        ; implicit-def: $vgpr4
	v_add_nc_u32_e32 v27, 14, v5
	s_delay_alu instid0(VALU_DEP_1)
	v_cmpx_ne_u32_e32 0, v27
	s_xor_b32 s7, exec_lo, s7
; %bb.16014:                            ;   in Loop: Header=BB6_14012 Depth=2
	s_delay_alu instid0(VALU_DEP_3) | instskip(SKIP_1) | instid1(VALU_DEP_1)
	v_cmp_lt_u64_e32 vcc_lo, 0xffffff, v[0:1]
	v_add_nc_u32_e32 v2, 15, v5
	v_cndmask_b32_e32 v4, v27, v2, vcc_lo
	v_cndmask_b32_e64 v2, 0, 1, vcc_lo
	s_delay_alu instid0(VALU_DEP_1)
	v_lshrrev_b64 v[2:3], v2, v[0:1]
; %bb.16015:                            ;   in Loop: Header=BB6_14012 Depth=2
	s_and_not1_saveexec_b32 s7, s7
; %bb.16016:                            ;   in Loop: Header=BB6_14012 Depth=2
	v_mov_b64_e32 v[2:3], v[0:1]
	v_bfe_u32 v4, v0, 23, 1
; %bb.16017:                            ;   in Loop: Header=BB6_14012 Depth=2
	s_or_b32 exec_lo, exec_lo, s7
	s_delay_alu instid0(VALU_DEP_2) | instskip(NEXT) | instid1(VALU_DEP_2)
	v_lshrrev_b64 v[2:3], 21, v[2:3]
	v_cmp_gt_i32_e32 vcc_lo, 32, v4
	v_cmp_ne_u32_e64 s7, 0, v4
                                        ; implicit-def: $vgpr39
	s_delay_alu instid0(VALU_DEP_3) | instskip(NEXT) | instid1(VALU_DEP_1)
	v_dual_cndmask_b32 v3, 0, v3 :: v_dual_cndmask_b32 v2, 3, v2
	v_cmp_ne_u64_e32 vcc_lo, 0, v[2:3]
	s_or_b32 s7, s7, vcc_lo
	s_delay_alu instid0(SALU_CYCLE_1) | instskip(NEXT) | instid1(SALU_CYCLE_1)
	s_and_saveexec_b32 s29, s7
	s_xor_b32 s7, exec_lo, s29
; %bb.16018:                            ;   in Loop: Header=BB6_14012 Depth=2
	v_min_i32_e32 v0, 31, v4
	s_delay_alu instid0(VALU_DEP_1) | instskip(NEXT) | instid1(VALU_DEP_1)
	v_lshl_or_b32 v0, v0, 2, v19
                                        ; implicit-def: $vgpr19
	v_and_or_b32 v39, v2, 3, v0
; %bb.16019:                            ;   in Loop: Header=BB6_14012 Depth=2
	s_and_not1_saveexec_b32 s7, s7
; %bb.16020:                            ;   in Loop: Header=BB6_14012 Depth=2
	v_mov_b32_e32 v39, v19
; %bb.16021:                            ;   in Loop: Header=BB6_14012 Depth=2
	s_or_b32 exec_lo, exec_lo, s7
.LBB6_16022:                            ;   in Loop: Header=BB6_14012 Depth=2
	s_delay_alu instid0(SALU_CYCLE_1)
	s_or_b32 exec_lo, exec_lo, s28
                                        ; implicit-def: $vgpr19
.LBB6_16023:                            ;   in Loop: Header=BB6_14012 Depth=2
	s_and_not1_saveexec_b32 s7, s11
; %bb.16024:                            ;   in Loop: Header=BB6_14012 Depth=2
	v_or_b32_e32 v39, 0x7b, v19
; %bb.16025:                            ;   in Loop: Header=BB6_14012 Depth=2
	s_or_b32 exec_lo, exec_lo, s7
                                        ; implicit-def: $vgpr2
.LBB6_16026:                            ;   in Loop: Header=BB6_14012 Depth=2
	s_and_not1_saveexec_b32 s7, s10
	s_cbranch_execz .LBB6_16032
; %bb.16027:                            ;   in Loop: Header=BB6_14012 Depth=2
	s_mov_b32 s10, exec_lo
                                        ; implicit-def: $vgpr39
	v_cmpx_ne_u64_e32 0, v[0:1]
	s_xor_b32 s10, exec_lo, s10
; %bb.16028:                            ;   in Loop: Header=BB6_14012 Depth=2
	v_lshrrev_b32_e32 v0, 24, v2
                                        ; implicit-def: $vgpr2
	s_delay_alu instid0(VALU_DEP_1)
	v_or_b32_e32 v39, 0x7f, v0
; %bb.16029:                            ;   in Loop: Header=BB6_14012 Depth=2
	s_and_not1_saveexec_b32 s10, s10
; %bb.16030:                            ;   in Loop: Header=BB6_14012 Depth=2
	v_cmp_lt_i32_e32 vcc_lo, -1, v2
	v_cndmask_b32_e64 v39, -4, 0x7c, vcc_lo
; %bb.16031:                            ;   in Loop: Header=BB6_14012 Depth=2
	s_or_b32 exec_lo, exec_lo, s10
.LBB6_16032:                            ;   in Loop: Header=BB6_14012 Depth=2
	s_delay_alu instid0(SALU_CYCLE_1) | instskip(SKIP_3) | instid1(VALU_DEP_2)
	s_or_b32 exec_lo, exec_lo, s7
	v_and_b32_e32 v4, 0xff, v118
	v_dual_mov_b32 v0, 0 :: v_dual_mov_b32 v2, 0
	s_mov_b32 s7, exec_lo
	v_cmpx_ne_u16_e32 0, v4
	s_cbranch_execz .LBB6_16042
; %bb.16033:                            ;   in Loop: Header=BB6_14012 Depth=2
	v_bfrev_b32_e32 v2, 1
	s_mov_b32 s10, exec_lo
	v_cmpx_ne_u16_e32 0x80, v4
	s_cbranch_execz .LBB6_16041
; %bb.16034:                            ;   in Loop: Header=BB6_14012 Depth=2
	v_and_b32_e32 v2, 0x7c, v118
	v_and_b32_e32 v3, 3, v118
	s_delay_alu instid0(VALU_DEP_2) | instskip(SKIP_1) | instid1(SALU_CYCLE_1)
	v_cmp_ne_u32_e32 vcc_lo, 0x7c, v2
                                        ; implicit-def: $vgpr2
	s_and_saveexec_b32 s11, vcc_lo
	s_xor_b32 s11, exec_lo, s11
	s_cbranch_execz .LBB6_16038
; %bb.16035:                            ;   in Loop: Header=BB6_14012 Depth=2
	v_bfe_u32 v2, v4, 2, 5
	s_mov_b32 s28, exec_lo
	s_delay_alu instid0(VALU_DEP_1)
	v_cmpx_eq_u32_e32 0, v2
	s_cbranch_execz .LBB6_16037
; %bb.16036:                            ;   in Loop: Header=BB6_14012 Depth=2
	v_clz_i32_u32_e32 v2, v3
	s_delay_alu instid0(VALU_DEP_1) | instskip(SKIP_1) | instid1(VALU_DEP_2)
	v_min_u32_e32 v2, 32, v2
	v_mov_b32_e32 v119, v1
	v_subrev_nc_u32_e32 v3, 29, v2
	v_sub_nc_u32_e32 v2, 30, v2
	s_delay_alu instid0(VALU_DEP_2) | instskip(NEXT) | instid1(VALU_DEP_1)
	v_lshlrev_b64_e32 v[4:5], v3, v[118:119]
	v_and_b32_e32 v3, 3, v4
.LBB6_16037:                            ;   in Loop: Header=BB6_14012 Depth=2
	s_or_b32 exec_lo, exec_lo, s28
	v_lshlrev_b32_e32 v4, 24, v118
                                        ; implicit-def: $vgpr118
	s_delay_alu instid0(VALU_DEP_1) | instskip(NEXT) | instid1(VALU_DEP_1)
	v_and_b32_e32 v4, 0x80000000, v4
	v_lshl_add_u32 v2, v2, 23, v4
	s_delay_alu instid0(VALU_DEP_1) | instskip(NEXT) | instid1(VALU_DEP_1)
	v_lshl_or_b32 v2, v3, 21, v2
                                        ; implicit-def: $vgpr3
	v_add_nc_u32_e32 v2, 0x38000000, v2
.LBB6_16038:                            ;   in Loop: Header=BB6_14012 Depth=2
	s_and_not1_saveexec_b32 s11, s11
; %bb.16039:                            ;   in Loop: Header=BB6_14012 Depth=2
	v_bfe_i32 v2, v118, 0, 8
	s_delay_alu instid0(VALU_DEP_1) | instskip(SKIP_1) | instid1(VALU_DEP_1)
	v_cmp_lt_i16_e32 vcc_lo, -1, v2
	v_mov_b32_e32 v2, 0x7f800000
	v_cndmask_b32_e32 v2, 0xff800000, v2, vcc_lo
	v_cmp_eq_u32_e32 vcc_lo, 0, v3
	s_delay_alu instid0(VALU_DEP_2)
	v_cndmask_b32_e32 v2, 0x7f800001, v2, vcc_lo
; %bb.16040:                            ;   in Loop: Header=BB6_14012 Depth=2
	s_or_b32 exec_lo, exec_lo, s11
.LBB6_16041:                            ;   in Loop: Header=BB6_14012 Depth=2
	s_delay_alu instid0(SALU_CYCLE_1)
	s_or_b32 exec_lo, exec_lo, s10
.LBB6_16042:                            ;   in Loop: Header=BB6_14012 Depth=2
	s_delay_alu instid0(SALU_CYCLE_1) | instskip(NEXT) | instid1(SALU_CYCLE_1)
	s_or_b32 exec_lo, exec_lo, s7
	s_mov_b32 s7, exec_lo
	s_wait_loadcnt_dscnt 0xa0a
	v_cmpx_ne_u16_e32 0, v86
	s_cbranch_execz .LBB6_16052
; %bb.16043:                            ;   in Loop: Header=BB6_14012 Depth=2
	v_bfrev_b32_e32 v0, 1
	s_mov_b32 s10, exec_lo
	v_cmpx_ne_u16_e32 0xff80, v86
	s_cbranch_execz .LBB6_16051
; %bb.16044:                            ;   in Loop: Header=BB6_14012 Depth=2
	v_and_b32_e32 v0, 0x7c, v86
	v_and_b32_e32 v3, 3, v86
	s_delay_alu instid0(VALU_DEP_2) | instskip(SKIP_1) | instid1(SALU_CYCLE_1)
	v_cmp_ne_u32_e32 vcc_lo, 0x7c, v0
                                        ; implicit-def: $vgpr0
	s_and_saveexec_b32 s11, vcc_lo
	s_xor_b32 s11, exec_lo, s11
	s_cbranch_execz .LBB6_16048
; %bb.16045:                            ;   in Loop: Header=BB6_14012 Depth=2
	v_and_b32_e32 v0, 0xff, v86
	s_mov_b32 s28, exec_lo
	s_delay_alu instid0(VALU_DEP_1) | instskip(NEXT) | instid1(VALU_DEP_1)
	v_bfe_u32 v0, v0, 2, 5
	v_cmpx_eq_u32_e32 0, v0
	s_cbranch_execz .LBB6_16047
; %bb.16046:                            ;   in Loop: Header=BB6_14012 Depth=2
	v_clz_i32_u32_e32 v0, v3
	s_delay_alu instid0(VALU_DEP_1) | instskip(SKIP_1) | instid1(VALU_DEP_2)
	v_min_u32_e32 v0, 32, v0
	v_mov_b32_e32 v87, v1
	v_subrev_nc_u32_e32 v3, 29, v0
	v_sub_nc_u32_e32 v0, 30, v0
	s_delay_alu instid0(VALU_DEP_2) | instskip(NEXT) | instid1(VALU_DEP_1)
	v_lshlrev_b64_e32 v[4:5], v3, v[86:87]
	v_and_b32_e32 v3, 3, v4
.LBB6_16047:                            ;   in Loop: Header=BB6_14012 Depth=2
	s_or_b32 exec_lo, exec_lo, s28
	v_bfe_i32 v4, v86, 0, 16
                                        ; implicit-def: $vgpr86
	s_delay_alu instid0(VALU_DEP_1) | instskip(NEXT) | instid1(VALU_DEP_1)
	v_and_b32_e32 v4, 0x80000000, v4
	v_lshl_add_u32 v0, v0, 23, v4
	s_delay_alu instid0(VALU_DEP_1) | instskip(NEXT) | instid1(VALU_DEP_1)
	v_lshl_or_b32 v0, v3, 21, v0
                                        ; implicit-def: $vgpr3
	v_add_nc_u32_e32 v0, 0x38000000, v0
.LBB6_16048:                            ;   in Loop: Header=BB6_14012 Depth=2
	s_and_not1_saveexec_b32 s11, s11
; %bb.16049:                            ;   in Loop: Header=BB6_14012 Depth=2
	v_cmp_lt_i16_e32 vcc_lo, -1, v86
	v_mov_b32_e32 v0, 0x7f800000
	s_delay_alu instid0(VALU_DEP_1) | instskip(SKIP_1) | instid1(VALU_DEP_2)
	v_cndmask_b32_e32 v0, 0xff800000, v0, vcc_lo
	v_cmp_eq_u32_e32 vcc_lo, 0, v3
	v_cndmask_b32_e32 v0, 0x7f800001, v0, vcc_lo
; %bb.16050:                            ;   in Loop: Header=BB6_14012 Depth=2
	s_or_b32 exec_lo, exec_lo, s11
.LBB6_16051:                            ;   in Loop: Header=BB6_14012 Depth=2
	s_delay_alu instid0(SALU_CYCLE_1)
	s_or_b32 exec_lo, exec_lo, s10
.LBB6_16052:                            ;   in Loop: Header=BB6_14012 Depth=2
	s_delay_alu instid0(SALU_CYCLE_1) | instskip(NEXT) | instid1(VALU_DEP_1)
	s_or_b32 exec_lo, exec_lo, s7
	v_dual_add_f32 v2, v2, v0 :: v_dual_mov_b32 v5, v1
                                        ; implicit-def: $vgpr48
	s_mov_b32 s7, exec_lo
	s_delay_alu instid0(VALU_DEP_1) | instskip(SKIP_1) | instid1(VALU_DEP_2)
	v_and_b32_e32 v4, 0x7f800000, v2
	v_and_b32_e32 v0, 0x7fffff, v2
	v_cmpx_ne_u64_e32 0x7f800000, v[4:5]
	s_xor_b32 s10, exec_lo, s7
	s_cbranch_execz .LBB6_16070
; %bb.16053:                            ;   in Loop: Header=BB6_14012 Depth=2
	v_dual_mov_b32 v5, v1 :: v_dual_lshrrev_b32 v3, 24, v2
	v_and_b32_e32 v4, 0x7fffffff, v2
                                        ; implicit-def: $vgpr48
	s_mov_b32 s7, exec_lo
	s_delay_alu instid0(VALU_DEP_2) | instskip(NEXT) | instid1(VALU_DEP_2)
	v_and_b32_e32 v19, 0x80, v3
	v_cmpx_gt_u64_e32 0x47600001, v[4:5]
	s_xor_b32 s11, exec_lo, s7
	s_cbranch_execz .LBB6_16067
; %bb.16054:                            ;   in Loop: Header=BB6_14012 Depth=2
	v_mov_b32_e32 v48, 0
	s_mov_b32 s28, exec_lo
	v_cmpx_ne_u32_e32 0, v2
	s_cbranch_execz .LBB6_16066
; %bb.16055:                            ;   in Loop: Header=BB6_14012 Depth=2
	v_bfe_u32 v27, v2, 23, 8
	v_or_b32_e32 v4, 0x800000, v0
	s_mov_b32 s29, exec_lo
	s_delay_alu instid0(VALU_DEP_2) | instskip(SKIP_1) | instid1(VALU_DEP_2)
	v_dual_mov_b32 v5, v1 :: v_dual_sub_nc_u32 v2, 0x71, v27
	v_cmp_gt_u32_e32 vcc_lo, 0x72, v27
	v_cndmask_b32_e32 v2, 0, v2, vcc_lo
	v_cmp_eq_u32_e32 vcc_lo, 0, v27
	s_delay_alu instid0(VALU_DEP_2) | instskip(NEXT) | instid1(VALU_DEP_1)
	v_cndmask_b32_e64 v35, v2, 0x70, vcc_lo
	v_dual_cndmask_b32 v4, v4, v0, vcc_lo :: v_dual_add_nc_u32 v2, 21, v35
	v_add_nc_u32_e32 v37, 20, v35
	s_delay_alu instid0(VALU_DEP_2) | instskip(NEXT) | instid1(VALU_DEP_2)
	v_lshlrev_b64_e64 v[2:3], v2, -1
	v_lshlrev_b64_e64 v[48:49], v37, 1
	s_delay_alu instid0(VALU_DEP_2) | instskip(NEXT) | instid1(VALU_DEP_3)
	v_bfi_b32 v51, v3, 0, 0
	v_bfi_b32 v50, v2, 0, v4
	v_lshrrev_b64 v[2:3], v35, v[4:5]
	s_delay_alu instid0(VALU_DEP_1) | instskip(NEXT) | instid1(VALU_DEP_3)
	v_mov_b64_e32 v[4:5], v[2:3]
	v_cmpx_eq_u64_e64 v[50:51], v[48:49]
; %bb.16056:                            ;   in Loop: Header=BB6_14012 Depth=2
	v_bfe_u32 v4, v2, 21, 1
	v_mov_b32_e32 v5, v1
	s_delay_alu instid0(VALU_DEP_1) | instskip(NEXT) | instid1(VALU_DEP_1)
	v_add_nc_u64_e32 v[4:5], v[2:3], v[4:5]
	v_add_nc_u64_e32 v[4:5], -1, v[4:5]
; %bb.16057:                            ;   in Loop: Header=BB6_14012 Depth=2
	s_or_b32 exec_lo, exec_lo, s29
	v_add_nc_u32_e32 v0, 0xffffff81, v27
	s_delay_alu instid0(VALU_DEP_2) | instskip(SKIP_2) | instid1(VALU_DEP_3)
	v_and_b32_e32 v4, 0x1fffff, v4
	v_lshrrev_b32_e32 v3, 23, v2
	s_mov_b32 s7, exec_lo
	v_cndmask_b32_e64 v0, v0, 0xffffff82, vcc_lo
	s_delay_alu instid0(VALU_DEP_1) | instskip(SKIP_1) | instid1(VALU_DEP_2)
	v_add3_u32 v5, v35, v0, v3
	v_add_nc_u32_e32 v0, v4, v2
                                        ; implicit-def: $vgpr2_vgpr3
                                        ; implicit-def: $vgpr4
	v_add_nc_u32_e32 v27, 14, v5
	s_delay_alu instid0(VALU_DEP_1)
	v_cmpx_ne_u32_e32 0, v27
	s_xor_b32 s7, exec_lo, s7
; %bb.16058:                            ;   in Loop: Header=BB6_14012 Depth=2
	s_delay_alu instid0(VALU_DEP_3) | instskip(SKIP_1) | instid1(VALU_DEP_1)
	v_cmp_lt_u64_e32 vcc_lo, 0xffffff, v[0:1]
	v_add_nc_u32_e32 v2, 15, v5
	v_cndmask_b32_e32 v4, v27, v2, vcc_lo
	v_cndmask_b32_e64 v2, 0, 1, vcc_lo
	s_delay_alu instid0(VALU_DEP_1)
	v_lshrrev_b64 v[2:3], v2, v[0:1]
; %bb.16059:                            ;   in Loop: Header=BB6_14012 Depth=2
	s_and_not1_saveexec_b32 s7, s7
; %bb.16060:                            ;   in Loop: Header=BB6_14012 Depth=2
	v_mov_b64_e32 v[2:3], v[0:1]
	v_bfe_u32 v4, v0, 23, 1
; %bb.16061:                            ;   in Loop: Header=BB6_14012 Depth=2
	s_or_b32 exec_lo, exec_lo, s7
	s_delay_alu instid0(VALU_DEP_2) | instskip(NEXT) | instid1(VALU_DEP_2)
	v_lshrrev_b64 v[2:3], 21, v[2:3]
	v_cmp_gt_i32_e32 vcc_lo, 32, v4
	v_cmp_ne_u32_e64 s7, 0, v4
                                        ; implicit-def: $vgpr48
	s_delay_alu instid0(VALU_DEP_3) | instskip(NEXT) | instid1(VALU_DEP_1)
	v_dual_cndmask_b32 v3, 0, v3 :: v_dual_cndmask_b32 v2, 3, v2
	v_cmp_ne_u64_e32 vcc_lo, 0, v[2:3]
	s_or_b32 s7, s7, vcc_lo
	s_delay_alu instid0(SALU_CYCLE_1) | instskip(NEXT) | instid1(SALU_CYCLE_1)
	s_and_saveexec_b32 s29, s7
	s_xor_b32 s7, exec_lo, s29
; %bb.16062:                            ;   in Loop: Header=BB6_14012 Depth=2
	v_min_i32_e32 v0, 31, v4
	s_delay_alu instid0(VALU_DEP_1) | instskip(NEXT) | instid1(VALU_DEP_1)
	v_lshl_or_b32 v0, v0, 2, v19
                                        ; implicit-def: $vgpr19
	v_and_or_b32 v48, v2, 3, v0
; %bb.16063:                            ;   in Loop: Header=BB6_14012 Depth=2
	s_and_not1_saveexec_b32 s7, s7
; %bb.16064:                            ;   in Loop: Header=BB6_14012 Depth=2
	v_mov_b32_e32 v48, v19
; %bb.16065:                            ;   in Loop: Header=BB6_14012 Depth=2
	s_or_b32 exec_lo, exec_lo, s7
.LBB6_16066:                            ;   in Loop: Header=BB6_14012 Depth=2
	s_delay_alu instid0(SALU_CYCLE_1)
	s_or_b32 exec_lo, exec_lo, s28
                                        ; implicit-def: $vgpr19
.LBB6_16067:                            ;   in Loop: Header=BB6_14012 Depth=2
	s_and_not1_saveexec_b32 s7, s11
; %bb.16068:                            ;   in Loop: Header=BB6_14012 Depth=2
	v_or_b32_e32 v48, 0x7b, v19
; %bb.16069:                            ;   in Loop: Header=BB6_14012 Depth=2
	s_or_b32 exec_lo, exec_lo, s7
                                        ; implicit-def: $vgpr2
.LBB6_16070:                            ;   in Loop: Header=BB6_14012 Depth=2
	s_and_not1_saveexec_b32 s7, s10
	s_cbranch_execz .LBB6_16076
; %bb.16071:                            ;   in Loop: Header=BB6_14012 Depth=2
	s_mov_b32 s10, exec_lo
                                        ; implicit-def: $vgpr48
	v_cmpx_ne_u64_e32 0, v[0:1]
	s_xor_b32 s10, exec_lo, s10
; %bb.16072:                            ;   in Loop: Header=BB6_14012 Depth=2
	v_lshrrev_b32_e32 v0, 24, v2
                                        ; implicit-def: $vgpr2
	s_delay_alu instid0(VALU_DEP_1)
	v_or_b32_e32 v48, 0x7f, v0
; %bb.16073:                            ;   in Loop: Header=BB6_14012 Depth=2
	s_and_not1_saveexec_b32 s10, s10
; %bb.16074:                            ;   in Loop: Header=BB6_14012 Depth=2
	v_cmp_lt_i32_e32 vcc_lo, -1, v2
	v_cndmask_b32_e64 v48, -4, 0x7c, vcc_lo
; %bb.16075:                            ;   in Loop: Header=BB6_14012 Depth=2
	s_or_b32 exec_lo, exec_lo, s10
.LBB6_16076:                            ;   in Loop: Header=BB6_14012 Depth=2
	s_delay_alu instid0(SALU_CYCLE_1) | instskip(SKIP_3) | instid1(VALU_DEP_2)
	s_or_b32 exec_lo, exec_lo, s7
	v_and_b32_e32 v4, 0xff, v114
	v_dual_mov_b32 v0, 0 :: v_dual_mov_b32 v2, 0
	s_mov_b32 s7, exec_lo
	v_cmpx_ne_u16_e32 0, v4
	s_cbranch_execz .LBB6_16086
; %bb.16077:                            ;   in Loop: Header=BB6_14012 Depth=2
	v_bfrev_b32_e32 v2, 1
	s_mov_b32 s10, exec_lo
	v_cmpx_ne_u16_e32 0x80, v4
	s_cbranch_execz .LBB6_16085
; %bb.16078:                            ;   in Loop: Header=BB6_14012 Depth=2
	v_and_b32_e32 v2, 0x7c, v114
	v_and_b32_e32 v3, 3, v114
	s_delay_alu instid0(VALU_DEP_2) | instskip(SKIP_1) | instid1(SALU_CYCLE_1)
	v_cmp_ne_u32_e32 vcc_lo, 0x7c, v2
                                        ; implicit-def: $vgpr2
	s_and_saveexec_b32 s11, vcc_lo
	s_xor_b32 s11, exec_lo, s11
	s_cbranch_execz .LBB6_16082
; %bb.16079:                            ;   in Loop: Header=BB6_14012 Depth=2
	v_bfe_u32 v2, v4, 2, 5
	s_mov_b32 s28, exec_lo
	s_delay_alu instid0(VALU_DEP_1)
	v_cmpx_eq_u32_e32 0, v2
	s_cbranch_execz .LBB6_16081
; %bb.16080:                            ;   in Loop: Header=BB6_14012 Depth=2
	v_clz_i32_u32_e32 v2, v3
	s_delay_alu instid0(VALU_DEP_1) | instskip(SKIP_1) | instid1(VALU_DEP_2)
	v_min_u32_e32 v2, 32, v2
	v_mov_b32_e32 v115, v1
	v_subrev_nc_u32_e32 v3, 29, v2
	v_sub_nc_u32_e32 v2, 30, v2
	s_delay_alu instid0(VALU_DEP_2) | instskip(NEXT) | instid1(VALU_DEP_1)
	v_lshlrev_b64_e32 v[4:5], v3, v[114:115]
	v_and_b32_e32 v3, 3, v4
.LBB6_16081:                            ;   in Loop: Header=BB6_14012 Depth=2
	s_or_b32 exec_lo, exec_lo, s28
	v_lshlrev_b32_e32 v4, 24, v114
                                        ; implicit-def: $vgpr114
	s_delay_alu instid0(VALU_DEP_1) | instskip(NEXT) | instid1(VALU_DEP_1)
	v_and_b32_e32 v4, 0x80000000, v4
	v_lshl_add_u32 v2, v2, 23, v4
	s_delay_alu instid0(VALU_DEP_1) | instskip(NEXT) | instid1(VALU_DEP_1)
	v_lshl_or_b32 v2, v3, 21, v2
                                        ; implicit-def: $vgpr3
	v_add_nc_u32_e32 v2, 0x38000000, v2
.LBB6_16082:                            ;   in Loop: Header=BB6_14012 Depth=2
	s_and_not1_saveexec_b32 s11, s11
; %bb.16083:                            ;   in Loop: Header=BB6_14012 Depth=2
	v_bfe_i32 v2, v114, 0, 8
	s_delay_alu instid0(VALU_DEP_1) | instskip(SKIP_1) | instid1(VALU_DEP_1)
	v_cmp_lt_i16_e32 vcc_lo, -1, v2
	v_mov_b32_e32 v2, 0x7f800000
	v_cndmask_b32_e32 v2, 0xff800000, v2, vcc_lo
	v_cmp_eq_u32_e32 vcc_lo, 0, v3
	s_delay_alu instid0(VALU_DEP_2)
	v_cndmask_b32_e32 v2, 0x7f800001, v2, vcc_lo
; %bb.16084:                            ;   in Loop: Header=BB6_14012 Depth=2
	s_or_b32 exec_lo, exec_lo, s11
.LBB6_16085:                            ;   in Loop: Header=BB6_14012 Depth=2
	s_delay_alu instid0(SALU_CYCLE_1)
	s_or_b32 exec_lo, exec_lo, s10
.LBB6_16086:                            ;   in Loop: Header=BB6_14012 Depth=2
	s_delay_alu instid0(SALU_CYCLE_1) | instskip(NEXT) | instid1(SALU_CYCLE_1)
	s_or_b32 exec_lo, exec_lo, s7
	s_mov_b32 s7, exec_lo
	s_wait_loadcnt_dscnt 0x909
	v_cmpx_ne_u16_e32 0, v26
	s_cbranch_execz .LBB6_16096
; %bb.16087:                            ;   in Loop: Header=BB6_14012 Depth=2
	v_bfrev_b32_e32 v0, 1
	s_mov_b32 s10, exec_lo
	v_cmpx_ne_u16_e32 0xff80, v26
	s_cbranch_execz .LBB6_16095
; %bb.16088:                            ;   in Loop: Header=BB6_14012 Depth=2
	v_and_b32_e32 v0, 0x7c, v26
	v_and_b32_e32 v3, 3, v26
	s_delay_alu instid0(VALU_DEP_2) | instskip(SKIP_1) | instid1(SALU_CYCLE_1)
	v_cmp_ne_u32_e32 vcc_lo, 0x7c, v0
                                        ; implicit-def: $vgpr0
	s_and_saveexec_b32 s11, vcc_lo
	s_xor_b32 s11, exec_lo, s11
	s_cbranch_execz .LBB6_16092
; %bb.16089:                            ;   in Loop: Header=BB6_14012 Depth=2
	v_and_b32_e32 v0, 0xff, v26
	s_mov_b32 s28, exec_lo
	s_delay_alu instid0(VALU_DEP_1) | instskip(NEXT) | instid1(VALU_DEP_1)
	v_bfe_u32 v0, v0, 2, 5
	v_cmpx_eq_u32_e32 0, v0
	s_cbranch_execz .LBB6_16091
; %bb.16090:                            ;   in Loop: Header=BB6_14012 Depth=2
	v_clz_i32_u32_e32 v0, v3
	s_delay_alu instid0(VALU_DEP_1) | instskip(SKIP_1) | instid1(VALU_DEP_2)
	v_min_u32_e32 v0, 32, v0
	v_mov_b32_e32 v27, v1
	v_subrev_nc_u32_e32 v3, 29, v0
	v_sub_nc_u32_e32 v0, 30, v0
	s_delay_alu instid0(VALU_DEP_2) | instskip(NEXT) | instid1(VALU_DEP_1)
	v_lshlrev_b64_e32 v[4:5], v3, v[26:27]
	v_and_b32_e32 v3, 3, v4
.LBB6_16091:                            ;   in Loop: Header=BB6_14012 Depth=2
	s_or_b32 exec_lo, exec_lo, s28
	v_bfe_i32 v4, v26, 0, 16
                                        ; implicit-def: $vgpr26
	s_delay_alu instid0(VALU_DEP_1) | instskip(NEXT) | instid1(VALU_DEP_1)
	v_and_b32_e32 v4, 0x80000000, v4
	v_lshl_add_u32 v0, v0, 23, v4
	s_delay_alu instid0(VALU_DEP_1) | instskip(NEXT) | instid1(VALU_DEP_1)
	v_lshl_or_b32 v0, v3, 21, v0
                                        ; implicit-def: $vgpr3
	v_add_nc_u32_e32 v0, 0x38000000, v0
.LBB6_16092:                            ;   in Loop: Header=BB6_14012 Depth=2
	s_and_not1_saveexec_b32 s11, s11
; %bb.16093:                            ;   in Loop: Header=BB6_14012 Depth=2
	v_cmp_lt_i16_e32 vcc_lo, -1, v26
	v_mov_b32_e32 v0, 0x7f800000
	s_delay_alu instid0(VALU_DEP_1) | instskip(SKIP_1) | instid1(VALU_DEP_2)
	v_cndmask_b32_e32 v0, 0xff800000, v0, vcc_lo
	v_cmp_eq_u32_e32 vcc_lo, 0, v3
	v_cndmask_b32_e32 v0, 0x7f800001, v0, vcc_lo
; %bb.16094:                            ;   in Loop: Header=BB6_14012 Depth=2
	s_or_b32 exec_lo, exec_lo, s11
.LBB6_16095:                            ;   in Loop: Header=BB6_14012 Depth=2
	s_delay_alu instid0(SALU_CYCLE_1)
	s_or_b32 exec_lo, exec_lo, s10
.LBB6_16096:                            ;   in Loop: Header=BB6_14012 Depth=2
	s_delay_alu instid0(SALU_CYCLE_1) | instskip(NEXT) | instid1(VALU_DEP_1)
	s_or_b32 exec_lo, exec_lo, s7
	v_dual_add_f32 v2, v2, v0 :: v_dual_mov_b32 v5, v1
                                        ; implicit-def: $vgpr26
	s_mov_b32 s7, exec_lo
	s_delay_alu instid0(VALU_DEP_1) | instskip(SKIP_1) | instid1(VALU_DEP_2)
	v_and_b32_e32 v4, 0x7f800000, v2
	v_and_b32_e32 v0, 0x7fffff, v2
	v_cmpx_ne_u64_e32 0x7f800000, v[4:5]
	s_xor_b32 s10, exec_lo, s7
	s_cbranch_execz .LBB6_16114
; %bb.16097:                            ;   in Loop: Header=BB6_14012 Depth=2
	v_dual_mov_b32 v5, v1 :: v_dual_lshrrev_b32 v3, 24, v2
	v_and_b32_e32 v4, 0x7fffffff, v2
                                        ; implicit-def: $vgpr26
	s_mov_b32 s7, exec_lo
	s_delay_alu instid0(VALU_DEP_2) | instskip(NEXT) | instid1(VALU_DEP_2)
	v_and_b32_e32 v19, 0x80, v3
	v_cmpx_gt_u64_e32 0x47600001, v[4:5]
	s_xor_b32 s11, exec_lo, s7
	s_cbranch_execz .LBB6_16111
; %bb.16098:                            ;   in Loop: Header=BB6_14012 Depth=2
	v_mov_b32_e32 v26, 0
	s_mov_b32 s28, exec_lo
	v_cmpx_ne_u32_e32 0, v2
	s_cbranch_execz .LBB6_16110
; %bb.16099:                            ;   in Loop: Header=BB6_14012 Depth=2
	v_bfe_u32 v26, v2, 23, 8
	v_or_b32_e32 v4, 0x800000, v0
	s_mov_b32 s29, exec_lo
	s_delay_alu instid0(VALU_DEP_2) | instskip(SKIP_1) | instid1(VALU_DEP_2)
	v_dual_mov_b32 v5, v1 :: v_dual_sub_nc_u32 v2, 0x71, v26
	v_cmp_gt_u32_e32 vcc_lo, 0x72, v26
	v_cndmask_b32_e32 v2, 0, v2, vcc_lo
	v_cmp_eq_u32_e32 vcc_lo, 0, v26
	s_delay_alu instid0(VALU_DEP_2) | instskip(NEXT) | instid1(VALU_DEP_1)
	v_cndmask_b32_e64 v27, v2, 0x70, vcc_lo
	v_dual_cndmask_b32 v4, v4, v0, vcc_lo :: v_dual_add_nc_u32 v2, 21, v27
	v_add_nc_u32_e32 v35, 20, v27
	s_delay_alu instid0(VALU_DEP_2) | instskip(NEXT) | instid1(VALU_DEP_2)
	v_lshlrev_b64_e64 v[2:3], v2, -1
	v_lshlrev_b64_e64 v[50:51], v35, 1
	s_delay_alu instid0(VALU_DEP_2) | instskip(NEXT) | instid1(VALU_DEP_3)
	v_bfi_b32 v55, v3, 0, 0
	v_bfi_b32 v54, v2, 0, v4
	v_lshrrev_b64 v[2:3], v27, v[4:5]
	s_delay_alu instid0(VALU_DEP_1) | instskip(NEXT) | instid1(VALU_DEP_3)
	v_mov_b64_e32 v[4:5], v[2:3]
	v_cmpx_eq_u64_e64 v[54:55], v[50:51]
; %bb.16100:                            ;   in Loop: Header=BB6_14012 Depth=2
	v_bfe_u32 v4, v2, 21, 1
	v_mov_b32_e32 v5, v1
	s_delay_alu instid0(VALU_DEP_1) | instskip(NEXT) | instid1(VALU_DEP_1)
	v_add_nc_u64_e32 v[4:5], v[2:3], v[4:5]
	v_add_nc_u64_e32 v[4:5], -1, v[4:5]
; %bb.16101:                            ;   in Loop: Header=BB6_14012 Depth=2
	s_or_b32 exec_lo, exec_lo, s29
	v_add_nc_u32_e32 v0, 0xffffff81, v26
	s_delay_alu instid0(VALU_DEP_2) | instskip(SKIP_2) | instid1(VALU_DEP_3)
	v_and_b32_e32 v4, 0x1fffff, v4
	v_lshrrev_b32_e32 v3, 23, v2
	s_mov_b32 s7, exec_lo
	v_cndmask_b32_e64 v0, v0, 0xffffff82, vcc_lo
	s_delay_alu instid0(VALU_DEP_1) | instskip(SKIP_1) | instid1(VALU_DEP_2)
	v_add3_u32 v5, v27, v0, v3
	v_add_nc_u32_e32 v0, v4, v2
                                        ; implicit-def: $vgpr2_vgpr3
                                        ; implicit-def: $vgpr4
	v_add_nc_u32_e32 v26, 14, v5
	s_delay_alu instid0(VALU_DEP_1)
	v_cmpx_ne_u32_e32 0, v26
	s_xor_b32 s7, exec_lo, s7
; %bb.16102:                            ;   in Loop: Header=BB6_14012 Depth=2
	s_delay_alu instid0(VALU_DEP_3) | instskip(SKIP_1) | instid1(VALU_DEP_1)
	v_cmp_lt_u64_e32 vcc_lo, 0xffffff, v[0:1]
	v_add_nc_u32_e32 v2, 15, v5
	v_cndmask_b32_e32 v4, v26, v2, vcc_lo
	v_cndmask_b32_e64 v2, 0, 1, vcc_lo
	s_delay_alu instid0(VALU_DEP_1)
	v_lshrrev_b64 v[2:3], v2, v[0:1]
; %bb.16103:                            ;   in Loop: Header=BB6_14012 Depth=2
	s_and_not1_saveexec_b32 s7, s7
; %bb.16104:                            ;   in Loop: Header=BB6_14012 Depth=2
	v_mov_b64_e32 v[2:3], v[0:1]
	v_bfe_u32 v4, v0, 23, 1
; %bb.16105:                            ;   in Loop: Header=BB6_14012 Depth=2
	s_or_b32 exec_lo, exec_lo, s7
	s_delay_alu instid0(VALU_DEP_2) | instskip(NEXT) | instid1(VALU_DEP_2)
	v_lshrrev_b64 v[2:3], 21, v[2:3]
	v_cmp_gt_i32_e32 vcc_lo, 32, v4
	v_cmp_ne_u32_e64 s7, 0, v4
                                        ; implicit-def: $vgpr26
	s_delay_alu instid0(VALU_DEP_3) | instskip(NEXT) | instid1(VALU_DEP_1)
	v_dual_cndmask_b32 v3, 0, v3 :: v_dual_cndmask_b32 v2, 3, v2
	v_cmp_ne_u64_e32 vcc_lo, 0, v[2:3]
	s_or_b32 s7, s7, vcc_lo
	s_delay_alu instid0(SALU_CYCLE_1) | instskip(NEXT) | instid1(SALU_CYCLE_1)
	s_and_saveexec_b32 s29, s7
	s_xor_b32 s7, exec_lo, s29
; %bb.16106:                            ;   in Loop: Header=BB6_14012 Depth=2
	v_min_i32_e32 v0, 31, v4
	s_delay_alu instid0(VALU_DEP_1) | instskip(NEXT) | instid1(VALU_DEP_1)
	v_lshl_or_b32 v0, v0, 2, v19
                                        ; implicit-def: $vgpr19
	v_and_or_b32 v26, v2, 3, v0
; %bb.16107:                            ;   in Loop: Header=BB6_14012 Depth=2
	s_and_not1_saveexec_b32 s7, s7
; %bb.16108:                            ;   in Loop: Header=BB6_14012 Depth=2
	v_mov_b32_e32 v26, v19
; %bb.16109:                            ;   in Loop: Header=BB6_14012 Depth=2
	s_or_b32 exec_lo, exec_lo, s7
.LBB6_16110:                            ;   in Loop: Header=BB6_14012 Depth=2
	s_delay_alu instid0(SALU_CYCLE_1)
	s_or_b32 exec_lo, exec_lo, s28
                                        ; implicit-def: $vgpr19
.LBB6_16111:                            ;   in Loop: Header=BB6_14012 Depth=2
	s_and_not1_saveexec_b32 s7, s11
; %bb.16112:                            ;   in Loop: Header=BB6_14012 Depth=2
	v_or_b32_e32 v26, 0x7b, v19
; %bb.16113:                            ;   in Loop: Header=BB6_14012 Depth=2
	s_or_b32 exec_lo, exec_lo, s7
                                        ; implicit-def: $vgpr2
.LBB6_16114:                            ;   in Loop: Header=BB6_14012 Depth=2
	s_and_not1_saveexec_b32 s7, s10
	s_cbranch_execz .LBB6_16120
; %bb.16115:                            ;   in Loop: Header=BB6_14012 Depth=2
	s_mov_b32 s10, exec_lo
                                        ; implicit-def: $vgpr26
	v_cmpx_ne_u64_e32 0, v[0:1]
	s_xor_b32 s10, exec_lo, s10
; %bb.16116:                            ;   in Loop: Header=BB6_14012 Depth=2
	v_lshrrev_b32_e32 v0, 24, v2
                                        ; implicit-def: $vgpr2
	s_delay_alu instid0(VALU_DEP_1)
	v_or_b32_e32 v26, 0x7f, v0
; %bb.16117:                            ;   in Loop: Header=BB6_14012 Depth=2
	s_and_not1_saveexec_b32 s10, s10
; %bb.16118:                            ;   in Loop: Header=BB6_14012 Depth=2
	v_cmp_lt_i32_e32 vcc_lo, -1, v2
	v_cndmask_b32_e64 v26, -4, 0x7c, vcc_lo
; %bb.16119:                            ;   in Loop: Header=BB6_14012 Depth=2
	s_or_b32 exec_lo, exec_lo, s10
.LBB6_16120:                            ;   in Loop: Header=BB6_14012 Depth=2
	s_delay_alu instid0(SALU_CYCLE_1) | instskip(SKIP_3) | instid1(VALU_DEP_2)
	s_or_b32 exec_lo, exec_lo, s7
	v_and_b32_e32 v4, 0xff, v112
	v_dual_mov_b32 v0, 0 :: v_dual_mov_b32 v2, 0
	s_mov_b32 s7, exec_lo
	v_cmpx_ne_u16_e32 0, v4
	s_cbranch_execz .LBB6_16130
; %bb.16121:                            ;   in Loop: Header=BB6_14012 Depth=2
	v_bfrev_b32_e32 v2, 1
	s_mov_b32 s10, exec_lo
	v_cmpx_ne_u16_e32 0x80, v4
	s_cbranch_execz .LBB6_16129
; %bb.16122:                            ;   in Loop: Header=BB6_14012 Depth=2
	v_and_b32_e32 v2, 0x7c, v112
	v_and_b32_e32 v3, 3, v112
	s_delay_alu instid0(VALU_DEP_2) | instskip(SKIP_1) | instid1(SALU_CYCLE_1)
	v_cmp_ne_u32_e32 vcc_lo, 0x7c, v2
                                        ; implicit-def: $vgpr2
	s_and_saveexec_b32 s11, vcc_lo
	s_xor_b32 s11, exec_lo, s11
	s_cbranch_execz .LBB6_16126
; %bb.16123:                            ;   in Loop: Header=BB6_14012 Depth=2
	v_bfe_u32 v2, v4, 2, 5
	s_mov_b32 s28, exec_lo
	s_delay_alu instid0(VALU_DEP_1)
	v_cmpx_eq_u32_e32 0, v2
	s_cbranch_execz .LBB6_16125
; %bb.16124:                            ;   in Loop: Header=BB6_14012 Depth=2
	v_clz_i32_u32_e32 v2, v3
	s_delay_alu instid0(VALU_DEP_1) | instskip(SKIP_1) | instid1(VALU_DEP_2)
	v_min_u32_e32 v2, 32, v2
	v_mov_b32_e32 v113, v1
	v_subrev_nc_u32_e32 v3, 29, v2
	v_sub_nc_u32_e32 v2, 30, v2
	s_delay_alu instid0(VALU_DEP_2) | instskip(NEXT) | instid1(VALU_DEP_1)
	v_lshlrev_b64_e32 v[4:5], v3, v[112:113]
	v_and_b32_e32 v3, 3, v4
.LBB6_16125:                            ;   in Loop: Header=BB6_14012 Depth=2
	s_or_b32 exec_lo, exec_lo, s28
	v_lshlrev_b32_e32 v4, 24, v112
                                        ; implicit-def: $vgpr112
	s_delay_alu instid0(VALU_DEP_1) | instskip(NEXT) | instid1(VALU_DEP_1)
	v_and_b32_e32 v4, 0x80000000, v4
	v_lshl_add_u32 v2, v2, 23, v4
	s_delay_alu instid0(VALU_DEP_1) | instskip(NEXT) | instid1(VALU_DEP_1)
	v_lshl_or_b32 v2, v3, 21, v2
                                        ; implicit-def: $vgpr3
	v_add_nc_u32_e32 v2, 0x38000000, v2
.LBB6_16126:                            ;   in Loop: Header=BB6_14012 Depth=2
	s_and_not1_saveexec_b32 s11, s11
; %bb.16127:                            ;   in Loop: Header=BB6_14012 Depth=2
	v_bfe_i32 v2, v112, 0, 8
	s_delay_alu instid0(VALU_DEP_1) | instskip(SKIP_1) | instid1(VALU_DEP_1)
	v_cmp_lt_i16_e32 vcc_lo, -1, v2
	v_mov_b32_e32 v2, 0x7f800000
	v_cndmask_b32_e32 v2, 0xff800000, v2, vcc_lo
	v_cmp_eq_u32_e32 vcc_lo, 0, v3
	s_delay_alu instid0(VALU_DEP_2)
	v_cndmask_b32_e32 v2, 0x7f800001, v2, vcc_lo
; %bb.16128:                            ;   in Loop: Header=BB6_14012 Depth=2
	s_or_b32 exec_lo, exec_lo, s11
.LBB6_16129:                            ;   in Loop: Header=BB6_14012 Depth=2
	s_delay_alu instid0(SALU_CYCLE_1)
	s_or_b32 exec_lo, exec_lo, s10
.LBB6_16130:                            ;   in Loop: Header=BB6_14012 Depth=2
	s_delay_alu instid0(SALU_CYCLE_1) | instskip(NEXT) | instid1(SALU_CYCLE_1)
	s_or_b32 exec_lo, exec_lo, s7
	s_mov_b32 s7, exec_lo
	s_wait_loadcnt_dscnt 0x808
	v_cmpx_ne_u16_e32 0, v36
	s_cbranch_execz .LBB6_16140
; %bb.16131:                            ;   in Loop: Header=BB6_14012 Depth=2
	v_bfrev_b32_e32 v0, 1
	s_mov_b32 s10, exec_lo
	v_cmpx_ne_u16_e32 0xff80, v36
	s_cbranch_execz .LBB6_16139
; %bb.16132:                            ;   in Loop: Header=BB6_14012 Depth=2
	v_and_b32_e32 v0, 0x7c, v36
	v_and_b32_e32 v3, 3, v36
	s_delay_alu instid0(VALU_DEP_2) | instskip(SKIP_1) | instid1(SALU_CYCLE_1)
	v_cmp_ne_u32_e32 vcc_lo, 0x7c, v0
                                        ; implicit-def: $vgpr0
	s_and_saveexec_b32 s11, vcc_lo
	s_xor_b32 s11, exec_lo, s11
	s_cbranch_execz .LBB6_16136
; %bb.16133:                            ;   in Loop: Header=BB6_14012 Depth=2
	v_and_b32_e32 v0, 0xff, v36
	s_mov_b32 s28, exec_lo
	s_delay_alu instid0(VALU_DEP_1) | instskip(NEXT) | instid1(VALU_DEP_1)
	v_bfe_u32 v0, v0, 2, 5
	v_cmpx_eq_u32_e32 0, v0
	s_cbranch_execz .LBB6_16135
; %bb.16134:                            ;   in Loop: Header=BB6_14012 Depth=2
	v_clz_i32_u32_e32 v0, v3
	s_delay_alu instid0(VALU_DEP_1) | instskip(SKIP_1) | instid1(VALU_DEP_2)
	v_min_u32_e32 v0, 32, v0
	v_mov_b32_e32 v37, v1
	v_subrev_nc_u32_e32 v3, 29, v0
	v_sub_nc_u32_e32 v0, 30, v0
	s_delay_alu instid0(VALU_DEP_2) | instskip(NEXT) | instid1(VALU_DEP_1)
	v_lshlrev_b64_e32 v[4:5], v3, v[36:37]
	v_and_b32_e32 v3, 3, v4
.LBB6_16135:                            ;   in Loop: Header=BB6_14012 Depth=2
	s_or_b32 exec_lo, exec_lo, s28
	v_bfe_i32 v4, v36, 0, 16
                                        ; implicit-def: $vgpr36
	s_delay_alu instid0(VALU_DEP_1) | instskip(NEXT) | instid1(VALU_DEP_1)
	v_and_b32_e32 v4, 0x80000000, v4
	v_lshl_add_u32 v0, v0, 23, v4
	s_delay_alu instid0(VALU_DEP_1) | instskip(NEXT) | instid1(VALU_DEP_1)
	v_lshl_or_b32 v0, v3, 21, v0
                                        ; implicit-def: $vgpr3
	v_add_nc_u32_e32 v0, 0x38000000, v0
.LBB6_16136:                            ;   in Loop: Header=BB6_14012 Depth=2
	s_and_not1_saveexec_b32 s11, s11
; %bb.16137:                            ;   in Loop: Header=BB6_14012 Depth=2
	v_cmp_lt_i16_e32 vcc_lo, -1, v36
	v_mov_b32_e32 v0, 0x7f800000
	s_delay_alu instid0(VALU_DEP_1) | instskip(SKIP_1) | instid1(VALU_DEP_2)
	v_cndmask_b32_e32 v0, 0xff800000, v0, vcc_lo
	v_cmp_eq_u32_e32 vcc_lo, 0, v3
	v_cndmask_b32_e32 v0, 0x7f800001, v0, vcc_lo
; %bb.16138:                            ;   in Loop: Header=BB6_14012 Depth=2
	s_or_b32 exec_lo, exec_lo, s11
.LBB6_16139:                            ;   in Loop: Header=BB6_14012 Depth=2
	s_delay_alu instid0(SALU_CYCLE_1)
	s_or_b32 exec_lo, exec_lo, s10
.LBB6_16140:                            ;   in Loop: Header=BB6_14012 Depth=2
	s_delay_alu instid0(SALU_CYCLE_1) | instskip(NEXT) | instid1(VALU_DEP_1)
	s_or_b32 exec_lo, exec_lo, s7
	v_dual_add_f32 v2, v2, v0 :: v_dual_mov_b32 v5, v1
                                        ; implicit-def: $vgpr27
	s_mov_b32 s7, exec_lo
	s_delay_alu instid0(VALU_DEP_1) | instskip(SKIP_1) | instid1(VALU_DEP_2)
	v_and_b32_e32 v4, 0x7f800000, v2
	v_and_b32_e32 v0, 0x7fffff, v2
	v_cmpx_ne_u64_e32 0x7f800000, v[4:5]
	s_xor_b32 s10, exec_lo, s7
	s_cbranch_execz .LBB6_16158
; %bb.16141:                            ;   in Loop: Header=BB6_14012 Depth=2
	v_dual_mov_b32 v5, v1 :: v_dual_lshrrev_b32 v3, 24, v2
	v_and_b32_e32 v4, 0x7fffffff, v2
                                        ; implicit-def: $vgpr27
	s_mov_b32 s7, exec_lo
	s_delay_alu instid0(VALU_DEP_2) | instskip(NEXT) | instid1(VALU_DEP_2)
	v_and_b32_e32 v19, 0x80, v3
	v_cmpx_gt_u64_e32 0x47600001, v[4:5]
	s_xor_b32 s11, exec_lo, s7
	s_cbranch_execz .LBB6_16155
; %bb.16142:                            ;   in Loop: Header=BB6_14012 Depth=2
	v_mov_b32_e32 v27, 0
	s_mov_b32 s28, exec_lo
	v_cmpx_ne_u32_e32 0, v2
	s_cbranch_execz .LBB6_16154
; %bb.16143:                            ;   in Loop: Header=BB6_14012 Depth=2
	v_bfe_u32 v27, v2, 23, 8
	v_or_b32_e32 v4, 0x800000, v0
	s_mov_b32 s29, exec_lo
	s_delay_alu instid0(VALU_DEP_2) | instskip(SKIP_1) | instid1(VALU_DEP_2)
	v_dual_mov_b32 v5, v1 :: v_dual_sub_nc_u32 v2, 0x71, v27
	v_cmp_gt_u32_e32 vcc_lo, 0x72, v27
	v_cndmask_b32_e32 v2, 0, v2, vcc_lo
	v_cmp_eq_u32_e32 vcc_lo, 0, v27
	s_delay_alu instid0(VALU_DEP_2) | instskip(NEXT) | instid1(VALU_DEP_1)
	v_cndmask_b32_e64 v35, v2, 0x70, vcc_lo
	v_dual_cndmask_b32 v4, v4, v0, vcc_lo :: v_dual_add_nc_u32 v2, 21, v35
	v_add_nc_u32_e32 v36, 20, v35
	s_delay_alu instid0(VALU_DEP_2) | instskip(NEXT) | instid1(VALU_DEP_2)
	v_lshlrev_b64_e64 v[2:3], v2, -1
	v_lshlrev_b64_e64 v[36:37], v36, 1
	s_delay_alu instid0(VALU_DEP_2) | instskip(NEXT) | instid1(VALU_DEP_3)
	v_bfi_b32 v51, v3, 0, 0
	v_bfi_b32 v50, v2, 0, v4
	v_lshrrev_b64 v[2:3], v35, v[4:5]
	s_delay_alu instid0(VALU_DEP_1) | instskip(NEXT) | instid1(VALU_DEP_3)
	v_mov_b64_e32 v[4:5], v[2:3]
	v_cmpx_eq_u64_e64 v[50:51], v[36:37]
; %bb.16144:                            ;   in Loop: Header=BB6_14012 Depth=2
	v_bfe_u32 v4, v2, 21, 1
	v_mov_b32_e32 v5, v1
	s_delay_alu instid0(VALU_DEP_1) | instskip(NEXT) | instid1(VALU_DEP_1)
	v_add_nc_u64_e32 v[4:5], v[2:3], v[4:5]
	v_add_nc_u64_e32 v[4:5], -1, v[4:5]
; %bb.16145:                            ;   in Loop: Header=BB6_14012 Depth=2
	s_or_b32 exec_lo, exec_lo, s29
	v_add_nc_u32_e32 v0, 0xffffff81, v27
	s_delay_alu instid0(VALU_DEP_2) | instskip(SKIP_2) | instid1(VALU_DEP_3)
	v_and_b32_e32 v4, 0x1fffff, v4
	v_lshrrev_b32_e32 v3, 23, v2
	s_mov_b32 s7, exec_lo
	v_cndmask_b32_e64 v0, v0, 0xffffff82, vcc_lo
	s_delay_alu instid0(VALU_DEP_1) | instskip(SKIP_1) | instid1(VALU_DEP_2)
	v_add3_u32 v5, v35, v0, v3
	v_add_nc_u32_e32 v0, v4, v2
                                        ; implicit-def: $vgpr2_vgpr3
                                        ; implicit-def: $vgpr4
	v_add_nc_u32_e32 v27, 14, v5
	s_delay_alu instid0(VALU_DEP_1)
	v_cmpx_ne_u32_e32 0, v27
	s_xor_b32 s7, exec_lo, s7
; %bb.16146:                            ;   in Loop: Header=BB6_14012 Depth=2
	s_delay_alu instid0(VALU_DEP_3) | instskip(SKIP_1) | instid1(VALU_DEP_1)
	v_cmp_lt_u64_e32 vcc_lo, 0xffffff, v[0:1]
	v_add_nc_u32_e32 v2, 15, v5
	v_cndmask_b32_e32 v4, v27, v2, vcc_lo
	v_cndmask_b32_e64 v2, 0, 1, vcc_lo
	s_delay_alu instid0(VALU_DEP_1)
	v_lshrrev_b64 v[2:3], v2, v[0:1]
; %bb.16147:                            ;   in Loop: Header=BB6_14012 Depth=2
	s_and_not1_saveexec_b32 s7, s7
; %bb.16148:                            ;   in Loop: Header=BB6_14012 Depth=2
	v_mov_b64_e32 v[2:3], v[0:1]
	v_bfe_u32 v4, v0, 23, 1
; %bb.16149:                            ;   in Loop: Header=BB6_14012 Depth=2
	s_or_b32 exec_lo, exec_lo, s7
	s_delay_alu instid0(VALU_DEP_2) | instskip(NEXT) | instid1(VALU_DEP_2)
	v_lshrrev_b64 v[2:3], 21, v[2:3]
	v_cmp_gt_i32_e32 vcc_lo, 32, v4
	v_cmp_ne_u32_e64 s7, 0, v4
                                        ; implicit-def: $vgpr27
	s_delay_alu instid0(VALU_DEP_3) | instskip(NEXT) | instid1(VALU_DEP_1)
	v_dual_cndmask_b32 v3, 0, v3 :: v_dual_cndmask_b32 v2, 3, v2
	v_cmp_ne_u64_e32 vcc_lo, 0, v[2:3]
	s_or_b32 s7, s7, vcc_lo
	s_delay_alu instid0(SALU_CYCLE_1) | instskip(NEXT) | instid1(SALU_CYCLE_1)
	s_and_saveexec_b32 s29, s7
	s_xor_b32 s7, exec_lo, s29
; %bb.16150:                            ;   in Loop: Header=BB6_14012 Depth=2
	v_min_i32_e32 v0, 31, v4
	s_delay_alu instid0(VALU_DEP_1) | instskip(NEXT) | instid1(VALU_DEP_1)
	v_lshl_or_b32 v0, v0, 2, v19
                                        ; implicit-def: $vgpr19
	v_and_or_b32 v27, v2, 3, v0
; %bb.16151:                            ;   in Loop: Header=BB6_14012 Depth=2
	s_and_not1_saveexec_b32 s7, s7
; %bb.16152:                            ;   in Loop: Header=BB6_14012 Depth=2
	v_mov_b32_e32 v27, v19
; %bb.16153:                            ;   in Loop: Header=BB6_14012 Depth=2
	s_or_b32 exec_lo, exec_lo, s7
.LBB6_16154:                            ;   in Loop: Header=BB6_14012 Depth=2
	s_delay_alu instid0(SALU_CYCLE_1)
	s_or_b32 exec_lo, exec_lo, s28
                                        ; implicit-def: $vgpr19
.LBB6_16155:                            ;   in Loop: Header=BB6_14012 Depth=2
	s_and_not1_saveexec_b32 s7, s11
; %bb.16156:                            ;   in Loop: Header=BB6_14012 Depth=2
	v_or_b32_e32 v27, 0x7b, v19
; %bb.16157:                            ;   in Loop: Header=BB6_14012 Depth=2
	s_or_b32 exec_lo, exec_lo, s7
                                        ; implicit-def: $vgpr2
.LBB6_16158:                            ;   in Loop: Header=BB6_14012 Depth=2
	s_and_not1_saveexec_b32 s7, s10
	s_cbranch_execz .LBB6_16164
; %bb.16159:                            ;   in Loop: Header=BB6_14012 Depth=2
	s_mov_b32 s10, exec_lo
                                        ; implicit-def: $vgpr27
	v_cmpx_ne_u64_e32 0, v[0:1]
	s_xor_b32 s10, exec_lo, s10
; %bb.16160:                            ;   in Loop: Header=BB6_14012 Depth=2
	v_lshrrev_b32_e32 v0, 24, v2
                                        ; implicit-def: $vgpr2
	s_delay_alu instid0(VALU_DEP_1)
	v_or_b32_e32 v27, 0x7f, v0
; %bb.16161:                            ;   in Loop: Header=BB6_14012 Depth=2
	s_and_not1_saveexec_b32 s10, s10
; %bb.16162:                            ;   in Loop: Header=BB6_14012 Depth=2
	v_cmp_lt_i32_e32 vcc_lo, -1, v2
	v_cndmask_b32_e64 v27, -4, 0x7c, vcc_lo
; %bb.16163:                            ;   in Loop: Header=BB6_14012 Depth=2
	s_or_b32 exec_lo, exec_lo, s10
.LBB6_16164:                            ;   in Loop: Header=BB6_14012 Depth=2
	s_delay_alu instid0(SALU_CYCLE_1)
	s_or_b32 exec_lo, exec_lo, s7
	scratch_load_b64 v[2:3], off, s33 offset:268 ; 8-byte Folded Reload
	v_mov_b32_e32 v0, 0
	s_mov_b32 s7, exec_lo
	s_wait_loadcnt 0x0
	v_and_b32_e32 v4, 0xff, v2
	v_mov_b32_e32 v2, 0
	s_wait_xcnt 0x0
	s_delay_alu instid0(VALU_DEP_2)
	v_cmpx_ne_u16_e32 0, v4
	s_cbranch_execz .LBB6_16174
; %bb.16165:                            ;   in Loop: Header=BB6_14012 Depth=2
	v_bfrev_b32_e32 v2, 1
	s_mov_b32 s10, exec_lo
	v_cmpx_ne_u16_e32 0x80, v4
	s_cbranch_execz .LBB6_16173
; %bb.16166:                            ;   in Loop: Header=BB6_14012 Depth=2
	scratch_load_b64 v[2:3], off, s33 offset:268 ; 8-byte Folded Reload
	s_wait_loadcnt 0x0
	v_mov_b32_e32 v36, v2
	s_delay_alu instid0(VALU_DEP_1) | instskip(SKIP_1) | instid1(VALU_DEP_2)
	v_and_b32_e32 v2, 0x7c, v36
	v_and_b32_e32 v3, 3, v36
	v_cmp_ne_u32_e32 vcc_lo, 0x7c, v2
                                        ; implicit-def: $vgpr2
	s_wait_xcnt 0x0
	s_and_saveexec_b32 s11, vcc_lo
	s_delay_alu instid0(SALU_CYCLE_1)
	s_xor_b32 s11, exec_lo, s11
	s_cbranch_execz .LBB6_16170
; %bb.16167:                            ;   in Loop: Header=BB6_14012 Depth=2
	v_bfe_u32 v2, v4, 2, 5
	s_mov_b32 s28, exec_lo
	s_delay_alu instid0(VALU_DEP_1)
	v_cmpx_eq_u32_e32 0, v2
	s_cbranch_execz .LBB6_16169
; %bb.16168:                            ;   in Loop: Header=BB6_14012 Depth=2
	scratch_load_b64 v[4:5], off, s33 offset:268 th:TH_LOAD_LU ; 8-byte Folded Reload
	v_clz_i32_u32_e32 v2, v3
	s_wait_loadcnt 0x0
	v_mov_b32_e32 v5, v1
	s_delay_alu instid0(VALU_DEP_2) | instskip(NEXT) | instid1(VALU_DEP_1)
	v_min_u32_e32 v2, 32, v2
	v_subrev_nc_u32_e32 v3, 29, v2
	v_mov_b32_e32 v36, v4
	s_delay_alu instid0(VALU_DEP_2)
	v_lshlrev_b64_e32 v[4:5], v3, v[4:5]
	v_sub_nc_u32_e32 v2, 30, v2
	scratch_store_b64 off, v[36:37], s33 offset:268 ; 8-byte Folded Spill
	v_and_b32_e32 v3, 3, v4
.LBB6_16169:                            ;   in Loop: Header=BB6_14012 Depth=2
	s_wait_xcnt 0x0
	s_or_b32 exec_lo, exec_lo, s28
	scratch_load_b64 v[4:5], off, s33 offset:268 th:TH_LOAD_LU ; 8-byte Folded Reload
	s_wait_loadcnt 0x0
	v_lshlrev_b32_e32 v4, 24, v4
	s_delay_alu instid0(VALU_DEP_1) | instskip(NEXT) | instid1(VALU_DEP_1)
	v_and_b32_e32 v4, 0x80000000, v4
	v_lshl_add_u32 v2, v2, 23, v4
                                        ; implicit-def: $vgpr4
	scratch_store_b64 off, v[4:5], s33 offset:268 ; 8-byte Folded Spill
	v_lshl_or_b32 v2, v3, 21, v2
                                        ; implicit-def: $vgpr3
	s_delay_alu instid0(VALU_DEP_1)
	v_add_nc_u32_e32 v2, 0x38000000, v2
.LBB6_16170:                            ;   in Loop: Header=BB6_14012 Depth=2
	s_wait_xcnt 0x0
	s_and_not1_saveexec_b32 s11, s11
	s_cbranch_execz .LBB6_16172
; %bb.16171:                            ;   in Loop: Header=BB6_14012 Depth=2
	scratch_load_b64 v[4:5], off, s33 offset:268 th:TH_LOAD_LU ; 8-byte Folded Reload
	s_wait_loadcnt 0x0
	v_bfe_i32 v2, v4, 0, 8
	s_delay_alu instid0(VALU_DEP_1) | instskip(SKIP_1) | instid1(VALU_DEP_1)
	v_cmp_lt_i16_e32 vcc_lo, -1, v2
	v_mov_b32_e32 v2, 0x7f800000
	v_cndmask_b32_e32 v2, 0xff800000, v2, vcc_lo
	v_cmp_eq_u32_e32 vcc_lo, 0, v3
	s_delay_alu instid0(VALU_DEP_2)
	v_cndmask_b32_e32 v2, 0x7f800001, v2, vcc_lo
.LBB6_16172:                            ;   in Loop: Header=BB6_14012 Depth=2
	s_wait_xcnt 0x0
	s_or_b32 exec_lo, exec_lo, s11
.LBB6_16173:                            ;   in Loop: Header=BB6_14012 Depth=2
	s_delay_alu instid0(SALU_CYCLE_1)
	s_or_b32 exec_lo, exec_lo, s10
.LBB6_16174:                            ;   in Loop: Header=BB6_14012 Depth=2
	s_delay_alu instid0(SALU_CYCLE_1) | instskip(NEXT) | instid1(SALU_CYCLE_1)
	s_or_b32 exec_lo, exec_lo, s7
	s_mov_b32 s7, exec_lo
	s_wait_dscnt 0x7
	v_cmpx_ne_u16_e32 0, v34
	s_cbranch_execz .LBB6_16184
; %bb.16175:                            ;   in Loop: Header=BB6_14012 Depth=2
	v_bfrev_b32_e32 v0, 1
	s_mov_b32 s10, exec_lo
	v_cmpx_ne_u16_e32 0xff80, v34
	s_cbranch_execz .LBB6_16183
; %bb.16176:                            ;   in Loop: Header=BB6_14012 Depth=2
	v_and_b32_e32 v0, 0x7c, v34
	v_and_b32_e32 v3, 3, v34
	s_delay_alu instid0(VALU_DEP_2) | instskip(SKIP_1) | instid1(SALU_CYCLE_1)
	v_cmp_ne_u32_e32 vcc_lo, 0x7c, v0
                                        ; implicit-def: $vgpr0
	s_and_saveexec_b32 s11, vcc_lo
	s_xor_b32 s11, exec_lo, s11
	s_cbranch_execz .LBB6_16180
; %bb.16177:                            ;   in Loop: Header=BB6_14012 Depth=2
	v_and_b32_e32 v0, 0xff, v34
	s_mov_b32 s28, exec_lo
	s_delay_alu instid0(VALU_DEP_1) | instskip(NEXT) | instid1(VALU_DEP_1)
	v_bfe_u32 v0, v0, 2, 5
	v_cmpx_eq_u32_e32 0, v0
	s_cbranch_execz .LBB6_16179
; %bb.16178:                            ;   in Loop: Header=BB6_14012 Depth=2
	v_clz_i32_u32_e32 v0, v3
	s_delay_alu instid0(VALU_DEP_1) | instskip(SKIP_1) | instid1(VALU_DEP_2)
	v_min_u32_e32 v0, 32, v0
	v_mov_b32_e32 v35, v1
	v_subrev_nc_u32_e32 v3, 29, v0
	v_sub_nc_u32_e32 v0, 30, v0
	s_delay_alu instid0(VALU_DEP_2) | instskip(NEXT) | instid1(VALU_DEP_1)
	v_lshlrev_b64_e32 v[4:5], v3, v[34:35]
	v_and_b32_e32 v3, 3, v4
.LBB6_16179:                            ;   in Loop: Header=BB6_14012 Depth=2
	s_or_b32 exec_lo, exec_lo, s28
	v_bfe_i32 v4, v34, 0, 16
                                        ; implicit-def: $vgpr34
	s_delay_alu instid0(VALU_DEP_1) | instskip(NEXT) | instid1(VALU_DEP_1)
	v_and_b32_e32 v4, 0x80000000, v4
	v_lshl_add_u32 v0, v0, 23, v4
	s_delay_alu instid0(VALU_DEP_1) | instskip(NEXT) | instid1(VALU_DEP_1)
	v_lshl_or_b32 v0, v3, 21, v0
                                        ; implicit-def: $vgpr3
	v_add_nc_u32_e32 v0, 0x38000000, v0
.LBB6_16180:                            ;   in Loop: Header=BB6_14012 Depth=2
	s_and_not1_saveexec_b32 s11, s11
; %bb.16181:                            ;   in Loop: Header=BB6_14012 Depth=2
	v_cmp_lt_i16_e32 vcc_lo, -1, v34
	v_mov_b32_e32 v0, 0x7f800000
	s_delay_alu instid0(VALU_DEP_1) | instskip(SKIP_1) | instid1(VALU_DEP_2)
	v_cndmask_b32_e32 v0, 0xff800000, v0, vcc_lo
	v_cmp_eq_u32_e32 vcc_lo, 0, v3
	v_cndmask_b32_e32 v0, 0x7f800001, v0, vcc_lo
; %bb.16182:                            ;   in Loop: Header=BB6_14012 Depth=2
	s_or_b32 exec_lo, exec_lo, s11
.LBB6_16183:                            ;   in Loop: Header=BB6_14012 Depth=2
	s_delay_alu instid0(SALU_CYCLE_1)
	s_or_b32 exec_lo, exec_lo, s10
.LBB6_16184:                            ;   in Loop: Header=BB6_14012 Depth=2
	s_delay_alu instid0(SALU_CYCLE_1) | instskip(NEXT) | instid1(VALU_DEP_1)
	s_or_b32 exec_lo, exec_lo, s7
	v_dual_add_f32 v2, v2, v0 :: v_dual_mov_b32 v5, v1
                                        ; implicit-def: $vgpr34
	s_mov_b32 s7, exec_lo
	s_delay_alu instid0(VALU_DEP_1) | instskip(SKIP_1) | instid1(VALU_DEP_2)
	v_and_b32_e32 v4, 0x7f800000, v2
	v_and_b32_e32 v0, 0x7fffff, v2
	v_cmpx_ne_u64_e32 0x7f800000, v[4:5]
	s_xor_b32 s10, exec_lo, s7
	s_cbranch_execz .LBB6_16202
; %bb.16185:                            ;   in Loop: Header=BB6_14012 Depth=2
	v_dual_mov_b32 v5, v1 :: v_dual_lshrrev_b32 v3, 24, v2
	v_and_b32_e32 v4, 0x7fffffff, v2
                                        ; implicit-def: $vgpr34
	s_mov_b32 s7, exec_lo
	s_delay_alu instid0(VALU_DEP_2) | instskip(NEXT) | instid1(VALU_DEP_2)
	v_and_b32_e32 v19, 0x80, v3
	v_cmpx_gt_u64_e32 0x47600001, v[4:5]
	s_xor_b32 s11, exec_lo, s7
	s_cbranch_execz .LBB6_16199
; %bb.16186:                            ;   in Loop: Header=BB6_14012 Depth=2
	v_mov_b32_e32 v34, 0
	s_mov_b32 s28, exec_lo
	v_cmpx_ne_u32_e32 0, v2
	s_cbranch_execz .LBB6_16198
; %bb.16187:                            ;   in Loop: Header=BB6_14012 Depth=2
	v_bfe_u32 v34, v2, 23, 8
	v_or_b32_e32 v4, 0x800000, v0
	s_mov_b32 s29, exec_lo
	s_delay_alu instid0(VALU_DEP_2) | instskip(SKIP_1) | instid1(VALU_DEP_2)
	v_dual_mov_b32 v5, v1 :: v_dual_sub_nc_u32 v2, 0x71, v34
	v_cmp_gt_u32_e32 vcc_lo, 0x72, v34
	v_cndmask_b32_e32 v2, 0, v2, vcc_lo
	v_cmp_eq_u32_e32 vcc_lo, 0, v34
	s_delay_alu instid0(VALU_DEP_2) | instskip(NEXT) | instid1(VALU_DEP_1)
	v_cndmask_b32_e64 v35, v2, 0x70, vcc_lo
	v_dual_cndmask_b32 v4, v4, v0, vcc_lo :: v_dual_add_nc_u32 v2, 21, v35
	v_add_nc_u32_e32 v36, 20, v35
	s_delay_alu instid0(VALU_DEP_2) | instskip(NEXT) | instid1(VALU_DEP_2)
	v_lshlrev_b64_e64 v[2:3], v2, -1
	v_lshlrev_b64_e64 v[36:37], v36, 1
	s_delay_alu instid0(VALU_DEP_2) | instskip(NEXT) | instid1(VALU_DEP_3)
	v_bfi_b32 v51, v3, 0, 0
	v_bfi_b32 v50, v2, 0, v4
	v_lshrrev_b64 v[2:3], v35, v[4:5]
	s_delay_alu instid0(VALU_DEP_1) | instskip(NEXT) | instid1(VALU_DEP_3)
	v_mov_b64_e32 v[4:5], v[2:3]
	v_cmpx_eq_u64_e64 v[50:51], v[36:37]
; %bb.16188:                            ;   in Loop: Header=BB6_14012 Depth=2
	v_bfe_u32 v4, v2, 21, 1
	v_mov_b32_e32 v5, v1
	s_delay_alu instid0(VALU_DEP_1) | instskip(NEXT) | instid1(VALU_DEP_1)
	v_add_nc_u64_e32 v[4:5], v[2:3], v[4:5]
	v_add_nc_u64_e32 v[4:5], -1, v[4:5]
; %bb.16189:                            ;   in Loop: Header=BB6_14012 Depth=2
	s_or_b32 exec_lo, exec_lo, s29
	v_add_nc_u32_e32 v0, 0xffffff81, v34
	s_delay_alu instid0(VALU_DEP_2) | instskip(SKIP_2) | instid1(VALU_DEP_3)
	v_and_b32_e32 v4, 0x1fffff, v4
	v_lshrrev_b32_e32 v3, 23, v2
	s_mov_b32 s7, exec_lo
	v_cndmask_b32_e64 v0, v0, 0xffffff82, vcc_lo
	s_delay_alu instid0(VALU_DEP_1) | instskip(SKIP_1) | instid1(VALU_DEP_2)
	v_add3_u32 v5, v35, v0, v3
	v_add_nc_u32_e32 v0, v4, v2
                                        ; implicit-def: $vgpr2_vgpr3
                                        ; implicit-def: $vgpr4
	v_add_nc_u32_e32 v34, 14, v5
	s_delay_alu instid0(VALU_DEP_1)
	v_cmpx_ne_u32_e32 0, v34
	s_xor_b32 s7, exec_lo, s7
; %bb.16190:                            ;   in Loop: Header=BB6_14012 Depth=2
	s_delay_alu instid0(VALU_DEP_3) | instskip(SKIP_1) | instid1(VALU_DEP_1)
	v_cmp_lt_u64_e32 vcc_lo, 0xffffff, v[0:1]
	v_add_nc_u32_e32 v2, 15, v5
	v_cndmask_b32_e32 v4, v34, v2, vcc_lo
	v_cndmask_b32_e64 v2, 0, 1, vcc_lo
	s_delay_alu instid0(VALU_DEP_1)
	v_lshrrev_b64 v[2:3], v2, v[0:1]
; %bb.16191:                            ;   in Loop: Header=BB6_14012 Depth=2
	s_and_not1_saveexec_b32 s7, s7
; %bb.16192:                            ;   in Loop: Header=BB6_14012 Depth=2
	v_mov_b64_e32 v[2:3], v[0:1]
	v_bfe_u32 v4, v0, 23, 1
; %bb.16193:                            ;   in Loop: Header=BB6_14012 Depth=2
	s_or_b32 exec_lo, exec_lo, s7
	s_delay_alu instid0(VALU_DEP_2) | instskip(NEXT) | instid1(VALU_DEP_2)
	v_lshrrev_b64 v[2:3], 21, v[2:3]
	v_cmp_gt_i32_e32 vcc_lo, 32, v4
	v_cmp_ne_u32_e64 s7, 0, v4
                                        ; implicit-def: $vgpr34
	s_delay_alu instid0(VALU_DEP_3) | instskip(NEXT) | instid1(VALU_DEP_1)
	v_dual_cndmask_b32 v3, 0, v3 :: v_dual_cndmask_b32 v2, 3, v2
	v_cmp_ne_u64_e32 vcc_lo, 0, v[2:3]
	s_or_b32 s7, s7, vcc_lo
	s_delay_alu instid0(SALU_CYCLE_1) | instskip(NEXT) | instid1(SALU_CYCLE_1)
	s_and_saveexec_b32 s29, s7
	s_xor_b32 s7, exec_lo, s29
; %bb.16194:                            ;   in Loop: Header=BB6_14012 Depth=2
	v_min_i32_e32 v0, 31, v4
	s_delay_alu instid0(VALU_DEP_1) | instskip(NEXT) | instid1(VALU_DEP_1)
	v_lshl_or_b32 v0, v0, 2, v19
                                        ; implicit-def: $vgpr19
	v_and_or_b32 v34, v2, 3, v0
; %bb.16195:                            ;   in Loop: Header=BB6_14012 Depth=2
	s_and_not1_saveexec_b32 s7, s7
; %bb.16196:                            ;   in Loop: Header=BB6_14012 Depth=2
	v_mov_b32_e32 v34, v19
; %bb.16197:                            ;   in Loop: Header=BB6_14012 Depth=2
	s_or_b32 exec_lo, exec_lo, s7
.LBB6_16198:                            ;   in Loop: Header=BB6_14012 Depth=2
	s_delay_alu instid0(SALU_CYCLE_1)
	s_or_b32 exec_lo, exec_lo, s28
                                        ; implicit-def: $vgpr19
.LBB6_16199:                            ;   in Loop: Header=BB6_14012 Depth=2
	s_and_not1_saveexec_b32 s7, s11
; %bb.16200:                            ;   in Loop: Header=BB6_14012 Depth=2
	v_or_b32_e32 v34, 0x7b, v19
; %bb.16201:                            ;   in Loop: Header=BB6_14012 Depth=2
	s_or_b32 exec_lo, exec_lo, s7
                                        ; implicit-def: $vgpr2
.LBB6_16202:                            ;   in Loop: Header=BB6_14012 Depth=2
	s_and_not1_saveexec_b32 s7, s10
	s_cbranch_execz .LBB6_16208
; %bb.16203:                            ;   in Loop: Header=BB6_14012 Depth=2
	s_mov_b32 s10, exec_lo
                                        ; implicit-def: $vgpr34
	v_cmpx_ne_u64_e32 0, v[0:1]
	s_xor_b32 s10, exec_lo, s10
; %bb.16204:                            ;   in Loop: Header=BB6_14012 Depth=2
	v_lshrrev_b32_e32 v0, 24, v2
                                        ; implicit-def: $vgpr2
	s_delay_alu instid0(VALU_DEP_1)
	v_or_b32_e32 v34, 0x7f, v0
; %bb.16205:                            ;   in Loop: Header=BB6_14012 Depth=2
	s_and_not1_saveexec_b32 s10, s10
; %bb.16206:                            ;   in Loop: Header=BB6_14012 Depth=2
	v_cmp_lt_i32_e32 vcc_lo, -1, v2
	v_cndmask_b32_e64 v34, -4, 0x7c, vcc_lo
; %bb.16207:                            ;   in Loop: Header=BB6_14012 Depth=2
	s_or_b32 exec_lo, exec_lo, s10
.LBB6_16208:                            ;   in Loop: Header=BB6_14012 Depth=2
	s_delay_alu instid0(SALU_CYCLE_1) | instskip(SKIP_3) | instid1(VALU_DEP_2)
	s_or_b32 exec_lo, exec_lo, s7
	v_and_b32_e32 v4, 0xff, v100
	v_dual_mov_b32 v0, 0 :: v_dual_mov_b32 v2, 0
	s_mov_b32 s7, exec_lo
	v_cmpx_ne_u16_e32 0, v4
	s_cbranch_execz .LBB6_16218
; %bb.16209:                            ;   in Loop: Header=BB6_14012 Depth=2
	v_bfrev_b32_e32 v2, 1
	s_mov_b32 s10, exec_lo
	v_cmpx_ne_u16_e32 0x80, v4
	s_cbranch_execz .LBB6_16217
; %bb.16210:                            ;   in Loop: Header=BB6_14012 Depth=2
	v_and_b32_e32 v2, 0x7c, v100
	v_and_b32_e32 v3, 3, v100
	s_delay_alu instid0(VALU_DEP_2) | instskip(SKIP_1) | instid1(SALU_CYCLE_1)
	v_cmp_ne_u32_e32 vcc_lo, 0x7c, v2
                                        ; implicit-def: $vgpr2
	s_and_saveexec_b32 s11, vcc_lo
	s_xor_b32 s11, exec_lo, s11
	s_cbranch_execz .LBB6_16214
; %bb.16211:                            ;   in Loop: Header=BB6_14012 Depth=2
	v_bfe_u32 v2, v4, 2, 5
	s_mov_b32 s28, exec_lo
	s_delay_alu instid0(VALU_DEP_1)
	v_cmpx_eq_u32_e32 0, v2
	s_cbranch_execz .LBB6_16213
; %bb.16212:                            ;   in Loop: Header=BB6_14012 Depth=2
	v_clz_i32_u32_e32 v2, v3
	v_dual_mov_b32 v19, v101 :: v_dual_mov_b32 v101, v1
	s_delay_alu instid0(VALU_DEP_2) | instskip(NEXT) | instid1(VALU_DEP_1)
	v_min_u32_e32 v2, 32, v2
	v_subrev_nc_u32_e32 v3, 29, v2
	v_sub_nc_u32_e32 v2, 30, v2
	s_delay_alu instid0(VALU_DEP_2) | instskip(NEXT) | instid1(VALU_DEP_1)
	v_lshlrev_b64_e32 v[4:5], v3, v[100:101]
	v_dual_mov_b32 v101, v19 :: v_dual_bitop2_b32 v3, 3, v4 bitop3:0x40
.LBB6_16213:                            ;   in Loop: Header=BB6_14012 Depth=2
	s_or_b32 exec_lo, exec_lo, s28
	v_lshlrev_b32_e32 v4, 24, v100
                                        ; implicit-def: $vgpr100
	s_delay_alu instid0(VALU_DEP_1) | instskip(NEXT) | instid1(VALU_DEP_1)
	v_and_b32_e32 v4, 0x80000000, v4
	v_lshl_add_u32 v2, v2, 23, v4
	s_delay_alu instid0(VALU_DEP_1) | instskip(NEXT) | instid1(VALU_DEP_1)
	v_lshl_or_b32 v2, v3, 21, v2
                                        ; implicit-def: $vgpr3
	v_add_nc_u32_e32 v2, 0x38000000, v2
.LBB6_16214:                            ;   in Loop: Header=BB6_14012 Depth=2
	s_and_not1_saveexec_b32 s11, s11
; %bb.16215:                            ;   in Loop: Header=BB6_14012 Depth=2
	v_bfe_i32 v2, v100, 0, 8
	s_delay_alu instid0(VALU_DEP_1) | instskip(SKIP_1) | instid1(VALU_DEP_1)
	v_cmp_lt_i16_e32 vcc_lo, -1, v2
	v_mov_b32_e32 v2, 0x7f800000
	v_cndmask_b32_e32 v2, 0xff800000, v2, vcc_lo
	v_cmp_eq_u32_e32 vcc_lo, 0, v3
	s_delay_alu instid0(VALU_DEP_2)
	v_cndmask_b32_e32 v2, 0x7f800001, v2, vcc_lo
; %bb.16216:                            ;   in Loop: Header=BB6_14012 Depth=2
	s_or_b32 exec_lo, exec_lo, s11
.LBB6_16217:                            ;   in Loop: Header=BB6_14012 Depth=2
	s_delay_alu instid0(SALU_CYCLE_1)
	s_or_b32 exec_lo, exec_lo, s10
.LBB6_16218:                            ;   in Loop: Header=BB6_14012 Depth=2
	s_delay_alu instid0(SALU_CYCLE_1) | instskip(NEXT) | instid1(SALU_CYCLE_1)
	s_or_b32 exec_lo, exec_lo, s7
	s_mov_b32 s7, exec_lo
	s_wait_dscnt 0x6
	v_cmpx_ne_u16_e32 0, v110
	s_cbranch_execz .LBB6_16228
; %bb.16219:                            ;   in Loop: Header=BB6_14012 Depth=2
	v_bfrev_b32_e32 v0, 1
	s_mov_b32 s10, exec_lo
	v_cmpx_ne_u16_e32 0xff80, v110
	s_cbranch_execz .LBB6_16227
; %bb.16220:                            ;   in Loop: Header=BB6_14012 Depth=2
	v_and_b32_e32 v0, 0x7c, v110
	v_and_b32_e32 v3, 3, v110
	s_delay_alu instid0(VALU_DEP_2) | instskip(SKIP_1) | instid1(SALU_CYCLE_1)
	v_cmp_ne_u32_e32 vcc_lo, 0x7c, v0
                                        ; implicit-def: $vgpr0
	s_and_saveexec_b32 s11, vcc_lo
	s_xor_b32 s11, exec_lo, s11
	s_cbranch_execz .LBB6_16224
; %bb.16221:                            ;   in Loop: Header=BB6_14012 Depth=2
	v_and_b32_e32 v0, 0xff, v110
	s_mov_b32 s28, exec_lo
	s_delay_alu instid0(VALU_DEP_1) | instskip(NEXT) | instid1(VALU_DEP_1)
	v_bfe_u32 v0, v0, 2, 5
	v_cmpx_eq_u32_e32 0, v0
	s_cbranch_execz .LBB6_16223
; %bb.16222:                            ;   in Loop: Header=BB6_14012 Depth=2
	v_clz_i32_u32_e32 v0, v3
	s_delay_alu instid0(VALU_DEP_1) | instskip(SKIP_1) | instid1(VALU_DEP_2)
	v_min_u32_e32 v0, 32, v0
	v_mov_b32_e32 v111, v1
	v_subrev_nc_u32_e32 v3, 29, v0
	v_sub_nc_u32_e32 v0, 30, v0
	s_delay_alu instid0(VALU_DEP_2) | instskip(NEXT) | instid1(VALU_DEP_1)
	v_lshlrev_b64_e32 v[4:5], v3, v[110:111]
	v_and_b32_e32 v3, 3, v4
.LBB6_16223:                            ;   in Loop: Header=BB6_14012 Depth=2
	s_or_b32 exec_lo, exec_lo, s28
	v_bfe_i32 v4, v110, 0, 16
                                        ; implicit-def: $vgpr110
	s_delay_alu instid0(VALU_DEP_1) | instskip(NEXT) | instid1(VALU_DEP_1)
	v_and_b32_e32 v4, 0x80000000, v4
	v_lshl_add_u32 v0, v0, 23, v4
	s_delay_alu instid0(VALU_DEP_1) | instskip(NEXT) | instid1(VALU_DEP_1)
	v_lshl_or_b32 v0, v3, 21, v0
                                        ; implicit-def: $vgpr3
	v_add_nc_u32_e32 v0, 0x38000000, v0
.LBB6_16224:                            ;   in Loop: Header=BB6_14012 Depth=2
	s_and_not1_saveexec_b32 s11, s11
; %bb.16225:                            ;   in Loop: Header=BB6_14012 Depth=2
	v_cmp_lt_i16_e32 vcc_lo, -1, v110
	v_mov_b32_e32 v0, 0x7f800000
	s_delay_alu instid0(VALU_DEP_1) | instskip(SKIP_1) | instid1(VALU_DEP_2)
	v_cndmask_b32_e32 v0, 0xff800000, v0, vcc_lo
	v_cmp_eq_u32_e32 vcc_lo, 0, v3
	v_cndmask_b32_e32 v0, 0x7f800001, v0, vcc_lo
; %bb.16226:                            ;   in Loop: Header=BB6_14012 Depth=2
	s_or_b32 exec_lo, exec_lo, s11
.LBB6_16227:                            ;   in Loop: Header=BB6_14012 Depth=2
	s_delay_alu instid0(SALU_CYCLE_1)
	s_or_b32 exec_lo, exec_lo, s10
.LBB6_16228:                            ;   in Loop: Header=BB6_14012 Depth=2
	s_delay_alu instid0(SALU_CYCLE_1) | instskip(NEXT) | instid1(VALU_DEP_1)
	s_or_b32 exec_lo, exec_lo, s7
	v_dual_add_f32 v2, v2, v0 :: v_dual_mov_b32 v5, v1
                                        ; implicit-def: $vgpr35
	s_mov_b32 s7, exec_lo
	s_delay_alu instid0(VALU_DEP_1) | instskip(SKIP_1) | instid1(VALU_DEP_2)
	v_and_b32_e32 v4, 0x7f800000, v2
	v_and_b32_e32 v0, 0x7fffff, v2
	v_cmpx_ne_u64_e32 0x7f800000, v[4:5]
	s_xor_b32 s10, exec_lo, s7
	s_cbranch_execz .LBB6_16246
; %bb.16229:                            ;   in Loop: Header=BB6_14012 Depth=2
	v_dual_mov_b32 v5, v1 :: v_dual_lshrrev_b32 v3, 24, v2
	v_and_b32_e32 v4, 0x7fffffff, v2
                                        ; implicit-def: $vgpr35
	s_mov_b32 s7, exec_lo
	s_delay_alu instid0(VALU_DEP_2) | instskip(NEXT) | instid1(VALU_DEP_2)
	v_and_b32_e32 v19, 0x80, v3
	v_cmpx_gt_u64_e32 0x47600001, v[4:5]
	s_xor_b32 s11, exec_lo, s7
	s_cbranch_execz .LBB6_16243
; %bb.16230:                            ;   in Loop: Header=BB6_14012 Depth=2
	v_mov_b32_e32 v35, 0
	s_mov_b32 s28, exec_lo
	v_cmpx_ne_u32_e32 0, v2
	s_cbranch_execz .LBB6_16242
; %bb.16231:                            ;   in Loop: Header=BB6_14012 Depth=2
	v_bfe_u32 v35, v2, 23, 8
	v_or_b32_e32 v4, 0x800000, v0
	s_mov_b32 s29, exec_lo
	s_delay_alu instid0(VALU_DEP_2) | instskip(SKIP_1) | instid1(VALU_DEP_2)
	v_dual_mov_b32 v5, v1 :: v_dual_sub_nc_u32 v2, 0x71, v35
	v_cmp_gt_u32_e32 vcc_lo, 0x72, v35
	v_cndmask_b32_e32 v2, 0, v2, vcc_lo
	v_cmp_eq_u32_e32 vcc_lo, 0, v35
	s_delay_alu instid0(VALU_DEP_2) | instskip(SKIP_1) | instid1(VALU_DEP_2)
	v_cndmask_b32_e64 v36, v2, 0x70, vcc_lo
	v_cndmask_b32_e32 v4, v4, v0, vcc_lo
	v_dual_add_nc_u32 v2, 21, v36 :: v_dual_add_nc_u32 v37, 20, v36
	s_delay_alu instid0(VALU_DEP_1) | instskip(NEXT) | instid1(VALU_DEP_2)
	v_lshlrev_b64_e64 v[2:3], v2, -1
	v_lshlrev_b64_e64 v[50:51], v37, 1
	s_delay_alu instid0(VALU_DEP_2) | instskip(NEXT) | instid1(VALU_DEP_3)
	v_bfi_b32 v55, v3, 0, 0
	v_bfi_b32 v54, v2, 0, v4
	v_lshrrev_b64 v[2:3], v36, v[4:5]
	s_delay_alu instid0(VALU_DEP_1) | instskip(NEXT) | instid1(VALU_DEP_3)
	v_mov_b64_e32 v[4:5], v[2:3]
	v_cmpx_eq_u64_e64 v[54:55], v[50:51]
; %bb.16232:                            ;   in Loop: Header=BB6_14012 Depth=2
	v_bfe_u32 v4, v2, 21, 1
	v_mov_b32_e32 v5, v1
	s_delay_alu instid0(VALU_DEP_1) | instskip(NEXT) | instid1(VALU_DEP_1)
	v_add_nc_u64_e32 v[4:5], v[2:3], v[4:5]
	v_add_nc_u64_e32 v[4:5], -1, v[4:5]
; %bb.16233:                            ;   in Loop: Header=BB6_14012 Depth=2
	s_or_b32 exec_lo, exec_lo, s29
	v_add_nc_u32_e32 v0, 0xffffff81, v35
	s_delay_alu instid0(VALU_DEP_2) | instskip(SKIP_2) | instid1(VALU_DEP_3)
	v_and_b32_e32 v4, 0x1fffff, v4
	v_lshrrev_b32_e32 v3, 23, v2
	s_mov_b32 s7, exec_lo
	v_cndmask_b32_e64 v0, v0, 0xffffff82, vcc_lo
	s_delay_alu instid0(VALU_DEP_1) | instskip(SKIP_1) | instid1(VALU_DEP_2)
	v_add3_u32 v5, v36, v0, v3
	v_add_nc_u32_e32 v0, v4, v2
                                        ; implicit-def: $vgpr2_vgpr3
                                        ; implicit-def: $vgpr4
	v_add_nc_u32_e32 v35, 14, v5
	s_delay_alu instid0(VALU_DEP_1)
	v_cmpx_ne_u32_e32 0, v35
	s_xor_b32 s7, exec_lo, s7
; %bb.16234:                            ;   in Loop: Header=BB6_14012 Depth=2
	s_delay_alu instid0(VALU_DEP_3) | instskip(SKIP_1) | instid1(VALU_DEP_1)
	v_cmp_lt_u64_e32 vcc_lo, 0xffffff, v[0:1]
	v_add_nc_u32_e32 v2, 15, v5
	v_cndmask_b32_e32 v4, v35, v2, vcc_lo
	v_cndmask_b32_e64 v2, 0, 1, vcc_lo
	s_delay_alu instid0(VALU_DEP_1)
	v_lshrrev_b64 v[2:3], v2, v[0:1]
; %bb.16235:                            ;   in Loop: Header=BB6_14012 Depth=2
	s_and_not1_saveexec_b32 s7, s7
; %bb.16236:                            ;   in Loop: Header=BB6_14012 Depth=2
	v_mov_b64_e32 v[2:3], v[0:1]
	v_bfe_u32 v4, v0, 23, 1
; %bb.16237:                            ;   in Loop: Header=BB6_14012 Depth=2
	s_or_b32 exec_lo, exec_lo, s7
	s_delay_alu instid0(VALU_DEP_2) | instskip(NEXT) | instid1(VALU_DEP_2)
	v_lshrrev_b64 v[2:3], 21, v[2:3]
	v_cmp_gt_i32_e32 vcc_lo, 32, v4
	v_cmp_ne_u32_e64 s7, 0, v4
                                        ; implicit-def: $vgpr35
	s_delay_alu instid0(VALU_DEP_3) | instskip(NEXT) | instid1(VALU_DEP_1)
	v_dual_cndmask_b32 v3, 0, v3 :: v_dual_cndmask_b32 v2, 3, v2
	v_cmp_ne_u64_e32 vcc_lo, 0, v[2:3]
	s_or_b32 s7, s7, vcc_lo
	s_delay_alu instid0(SALU_CYCLE_1) | instskip(NEXT) | instid1(SALU_CYCLE_1)
	s_and_saveexec_b32 s29, s7
	s_xor_b32 s7, exec_lo, s29
; %bb.16238:                            ;   in Loop: Header=BB6_14012 Depth=2
	v_min_i32_e32 v0, 31, v4
	s_delay_alu instid0(VALU_DEP_1) | instskip(NEXT) | instid1(VALU_DEP_1)
	v_lshl_or_b32 v0, v0, 2, v19
                                        ; implicit-def: $vgpr19
	v_and_or_b32 v35, v2, 3, v0
; %bb.16239:                            ;   in Loop: Header=BB6_14012 Depth=2
	s_and_not1_saveexec_b32 s7, s7
; %bb.16240:                            ;   in Loop: Header=BB6_14012 Depth=2
	v_mov_b32_e32 v35, v19
; %bb.16241:                            ;   in Loop: Header=BB6_14012 Depth=2
	s_or_b32 exec_lo, exec_lo, s7
.LBB6_16242:                            ;   in Loop: Header=BB6_14012 Depth=2
	s_delay_alu instid0(SALU_CYCLE_1)
	s_or_b32 exec_lo, exec_lo, s28
                                        ; implicit-def: $vgpr19
.LBB6_16243:                            ;   in Loop: Header=BB6_14012 Depth=2
	s_and_not1_saveexec_b32 s7, s11
; %bb.16244:                            ;   in Loop: Header=BB6_14012 Depth=2
	v_or_b32_e32 v35, 0x7b, v19
; %bb.16245:                            ;   in Loop: Header=BB6_14012 Depth=2
	s_or_b32 exec_lo, exec_lo, s7
                                        ; implicit-def: $vgpr2
.LBB6_16246:                            ;   in Loop: Header=BB6_14012 Depth=2
	s_and_not1_saveexec_b32 s7, s10
	s_cbranch_execz .LBB6_16252
; %bb.16247:                            ;   in Loop: Header=BB6_14012 Depth=2
	s_mov_b32 s10, exec_lo
                                        ; implicit-def: $vgpr35
	v_cmpx_ne_u64_e32 0, v[0:1]
	s_xor_b32 s10, exec_lo, s10
; %bb.16248:                            ;   in Loop: Header=BB6_14012 Depth=2
	v_lshrrev_b32_e32 v0, 24, v2
                                        ; implicit-def: $vgpr2
	s_delay_alu instid0(VALU_DEP_1)
	v_or_b32_e32 v35, 0x7f, v0
; %bb.16249:                            ;   in Loop: Header=BB6_14012 Depth=2
	s_and_not1_saveexec_b32 s10, s10
; %bb.16250:                            ;   in Loop: Header=BB6_14012 Depth=2
	v_cmp_lt_i32_e32 vcc_lo, -1, v2
	v_cndmask_b32_e64 v35, -4, 0x7c, vcc_lo
; %bb.16251:                            ;   in Loop: Header=BB6_14012 Depth=2
	s_or_b32 exec_lo, exec_lo, s10
.LBB6_16252:                            ;   in Loop: Header=BB6_14012 Depth=2
	s_delay_alu instid0(SALU_CYCLE_1)
	s_or_b32 exec_lo, exec_lo, s7
	scratch_load_b64 v[2:3], off, s33 offset:260 ; 8-byte Folded Reload
	v_mov_b32_e32 v0, 0
	s_mov_b32 s7, exec_lo
	s_wait_loadcnt 0x0
	v_and_b32_e32 v4, 0xff, v2
	v_mov_b32_e32 v2, 0
	s_wait_xcnt 0x0
	s_delay_alu instid0(VALU_DEP_2)
	v_cmpx_ne_u16_e32 0, v4
	s_cbranch_execz .LBB6_16262
; %bb.16253:                            ;   in Loop: Header=BB6_14012 Depth=2
	v_bfrev_b32_e32 v2, 1
	s_mov_b32 s10, exec_lo
	v_cmpx_ne_u16_e32 0x80, v4
	s_cbranch_execz .LBB6_16261
; %bb.16254:                            ;   in Loop: Header=BB6_14012 Depth=2
	scratch_load_b64 v[2:3], off, s33 offset:260 ; 8-byte Folded Reload
	s_wait_loadcnt 0x0
	v_mov_b32_e32 v36, v2
	s_delay_alu instid0(VALU_DEP_1) | instskip(SKIP_1) | instid1(VALU_DEP_2)
	v_and_b32_e32 v2, 0x7c, v36
	v_and_b32_e32 v3, 3, v36
	v_cmp_ne_u32_e32 vcc_lo, 0x7c, v2
                                        ; implicit-def: $vgpr2
	s_wait_xcnt 0x0
	s_and_saveexec_b32 s11, vcc_lo
	s_delay_alu instid0(SALU_CYCLE_1)
	s_xor_b32 s11, exec_lo, s11
	s_cbranch_execz .LBB6_16258
; %bb.16255:                            ;   in Loop: Header=BB6_14012 Depth=2
	v_bfe_u32 v2, v4, 2, 5
	s_mov_b32 s28, exec_lo
	s_delay_alu instid0(VALU_DEP_1)
	v_cmpx_eq_u32_e32 0, v2
	s_cbranch_execz .LBB6_16257
; %bb.16256:                            ;   in Loop: Header=BB6_14012 Depth=2
	scratch_load_b64 v[4:5], off, s33 offset:260 th:TH_LOAD_LU ; 8-byte Folded Reload
	v_clz_i32_u32_e32 v2, v3
	s_wait_loadcnt 0x0
	v_mov_b32_e32 v5, v1
	s_delay_alu instid0(VALU_DEP_2) | instskip(NEXT) | instid1(VALU_DEP_1)
	v_min_u32_e32 v2, 32, v2
	v_subrev_nc_u32_e32 v3, 29, v2
	v_mov_b32_e32 v36, v4
	s_delay_alu instid0(VALU_DEP_2)
	v_lshlrev_b64_e32 v[4:5], v3, v[4:5]
	v_sub_nc_u32_e32 v2, 30, v2
	scratch_store_b64 off, v[36:37], s33 offset:260 ; 8-byte Folded Spill
	v_and_b32_e32 v3, 3, v4
.LBB6_16257:                            ;   in Loop: Header=BB6_14012 Depth=2
	s_wait_xcnt 0x0
	s_or_b32 exec_lo, exec_lo, s28
	scratch_load_b64 v[4:5], off, s33 offset:260 th:TH_LOAD_LU ; 8-byte Folded Reload
	s_wait_loadcnt 0x0
	v_lshlrev_b32_e32 v4, 24, v4
	s_delay_alu instid0(VALU_DEP_1) | instskip(NEXT) | instid1(VALU_DEP_1)
	v_and_b32_e32 v4, 0x80000000, v4
	v_lshl_add_u32 v2, v2, 23, v4
                                        ; implicit-def: $vgpr4
	scratch_store_b64 off, v[4:5], s33 offset:260 ; 8-byte Folded Spill
	v_lshl_or_b32 v2, v3, 21, v2
                                        ; implicit-def: $vgpr3
	s_delay_alu instid0(VALU_DEP_1)
	v_add_nc_u32_e32 v2, 0x38000000, v2
.LBB6_16258:                            ;   in Loop: Header=BB6_14012 Depth=2
	s_wait_xcnt 0x0
	s_and_not1_saveexec_b32 s11, s11
	s_cbranch_execz .LBB6_16260
; %bb.16259:                            ;   in Loop: Header=BB6_14012 Depth=2
	scratch_load_b64 v[4:5], off, s33 offset:260 th:TH_LOAD_LU ; 8-byte Folded Reload
	s_wait_loadcnt 0x0
	v_bfe_i32 v2, v4, 0, 8
	s_delay_alu instid0(VALU_DEP_1) | instskip(SKIP_1) | instid1(VALU_DEP_1)
	v_cmp_lt_i16_e32 vcc_lo, -1, v2
	v_mov_b32_e32 v2, 0x7f800000
	v_cndmask_b32_e32 v2, 0xff800000, v2, vcc_lo
	v_cmp_eq_u32_e32 vcc_lo, 0, v3
	s_delay_alu instid0(VALU_DEP_2)
	v_cndmask_b32_e32 v2, 0x7f800001, v2, vcc_lo
.LBB6_16260:                            ;   in Loop: Header=BB6_14012 Depth=2
	s_wait_xcnt 0x0
	s_or_b32 exec_lo, exec_lo, s11
.LBB6_16261:                            ;   in Loop: Header=BB6_14012 Depth=2
	s_delay_alu instid0(SALU_CYCLE_1)
	s_or_b32 exec_lo, exec_lo, s10
.LBB6_16262:                            ;   in Loop: Header=BB6_14012 Depth=2
	s_delay_alu instid0(SALU_CYCLE_1) | instskip(NEXT) | instid1(SALU_CYCLE_1)
	s_or_b32 exec_lo, exec_lo, s7
	s_mov_b32 s7, exec_lo
	s_wait_dscnt 0x5
	v_cmpx_ne_u16_e32 0, v94
	s_cbranch_execz .LBB6_16272
; %bb.16263:                            ;   in Loop: Header=BB6_14012 Depth=2
	v_bfrev_b32_e32 v0, 1
	s_mov_b32 s10, exec_lo
	v_cmpx_ne_u16_e32 0xff80, v94
	s_cbranch_execz .LBB6_16271
; %bb.16264:                            ;   in Loop: Header=BB6_14012 Depth=2
	v_and_b32_e32 v0, 0x7c, v94
	v_and_b32_e32 v3, 3, v94
	s_delay_alu instid0(VALU_DEP_2) | instskip(SKIP_1) | instid1(SALU_CYCLE_1)
	v_cmp_ne_u32_e32 vcc_lo, 0x7c, v0
                                        ; implicit-def: $vgpr0
	s_and_saveexec_b32 s11, vcc_lo
	s_xor_b32 s11, exec_lo, s11
	s_cbranch_execz .LBB6_16268
; %bb.16265:                            ;   in Loop: Header=BB6_14012 Depth=2
	v_and_b32_e32 v0, 0xff, v94
	s_mov_b32 s28, exec_lo
	s_delay_alu instid0(VALU_DEP_1) | instskip(NEXT) | instid1(VALU_DEP_1)
	v_bfe_u32 v0, v0, 2, 5
	v_cmpx_eq_u32_e32 0, v0
	s_cbranch_execz .LBB6_16267
; %bb.16266:                            ;   in Loop: Header=BB6_14012 Depth=2
	v_clz_i32_u32_e32 v0, v3
	s_delay_alu instid0(VALU_DEP_1) | instskip(SKIP_1) | instid1(VALU_DEP_2)
	v_min_u32_e32 v0, 32, v0
	v_mov_b32_e32 v95, v1
	v_subrev_nc_u32_e32 v3, 29, v0
	v_sub_nc_u32_e32 v0, 30, v0
	s_delay_alu instid0(VALU_DEP_2) | instskip(NEXT) | instid1(VALU_DEP_1)
	v_lshlrev_b64_e32 v[4:5], v3, v[94:95]
	v_and_b32_e32 v3, 3, v4
.LBB6_16267:                            ;   in Loop: Header=BB6_14012 Depth=2
	s_or_b32 exec_lo, exec_lo, s28
	v_bfe_i32 v4, v94, 0, 16
                                        ; implicit-def: $vgpr94
	s_delay_alu instid0(VALU_DEP_1) | instskip(NEXT) | instid1(VALU_DEP_1)
	v_and_b32_e32 v4, 0x80000000, v4
	v_lshl_add_u32 v0, v0, 23, v4
	s_delay_alu instid0(VALU_DEP_1) | instskip(NEXT) | instid1(VALU_DEP_1)
	v_lshl_or_b32 v0, v3, 21, v0
                                        ; implicit-def: $vgpr3
	v_add_nc_u32_e32 v0, 0x38000000, v0
.LBB6_16268:                            ;   in Loop: Header=BB6_14012 Depth=2
	s_and_not1_saveexec_b32 s11, s11
; %bb.16269:                            ;   in Loop: Header=BB6_14012 Depth=2
	v_cmp_lt_i16_e32 vcc_lo, -1, v94
	v_mov_b32_e32 v0, 0x7f800000
	s_delay_alu instid0(VALU_DEP_1) | instskip(SKIP_1) | instid1(VALU_DEP_2)
	v_cndmask_b32_e32 v0, 0xff800000, v0, vcc_lo
	v_cmp_eq_u32_e32 vcc_lo, 0, v3
	v_cndmask_b32_e32 v0, 0x7f800001, v0, vcc_lo
; %bb.16270:                            ;   in Loop: Header=BB6_14012 Depth=2
	s_or_b32 exec_lo, exec_lo, s11
.LBB6_16271:                            ;   in Loop: Header=BB6_14012 Depth=2
	s_delay_alu instid0(SALU_CYCLE_1)
	s_or_b32 exec_lo, exec_lo, s10
.LBB6_16272:                            ;   in Loop: Header=BB6_14012 Depth=2
	s_delay_alu instid0(SALU_CYCLE_1) | instskip(NEXT) | instid1(VALU_DEP_1)
	s_or_b32 exec_lo, exec_lo, s7
	v_dual_add_f32 v2, v2, v0 :: v_dual_mov_b32 v5, v1
                                        ; implicit-def: $vgpr36
	s_mov_b32 s7, exec_lo
	s_delay_alu instid0(VALU_DEP_1) | instskip(SKIP_1) | instid1(VALU_DEP_2)
	v_and_b32_e32 v4, 0x7f800000, v2
	v_and_b32_e32 v0, 0x7fffff, v2
	v_cmpx_ne_u64_e32 0x7f800000, v[4:5]
	s_xor_b32 s10, exec_lo, s7
	s_cbranch_execz .LBB6_16290
; %bb.16273:                            ;   in Loop: Header=BB6_14012 Depth=2
	v_dual_mov_b32 v5, v1 :: v_dual_lshrrev_b32 v3, 24, v2
	v_and_b32_e32 v4, 0x7fffffff, v2
                                        ; implicit-def: $vgpr36
	s_mov_b32 s7, exec_lo
	s_delay_alu instid0(VALU_DEP_2) | instskip(NEXT) | instid1(VALU_DEP_2)
	v_and_b32_e32 v19, 0x80, v3
	v_cmpx_gt_u64_e32 0x47600001, v[4:5]
	s_xor_b32 s11, exec_lo, s7
	s_cbranch_execz .LBB6_16287
; %bb.16274:                            ;   in Loop: Header=BB6_14012 Depth=2
	v_mov_b32_e32 v36, 0
	s_mov_b32 s28, exec_lo
	v_cmpx_ne_u32_e32 0, v2
	s_cbranch_execz .LBB6_16286
; %bb.16275:                            ;   in Loop: Header=BB6_14012 Depth=2
	v_bfe_u32 v36, v2, 23, 8
	v_or_b32_e32 v4, 0x800000, v0
	s_mov_b32 s29, exec_lo
	s_delay_alu instid0(VALU_DEP_2) | instskip(SKIP_1) | instid1(VALU_DEP_2)
	v_dual_mov_b32 v5, v1 :: v_dual_sub_nc_u32 v2, 0x71, v36
	v_cmp_gt_u32_e32 vcc_lo, 0x72, v36
	v_cndmask_b32_e32 v2, 0, v2, vcc_lo
	v_cmp_eq_u32_e32 vcc_lo, 0, v36
	s_delay_alu instid0(VALU_DEP_2) | instskip(NEXT) | instid1(VALU_DEP_1)
	v_cndmask_b32_e64 v37, v2, 0x70, vcc_lo
	v_dual_cndmask_b32 v4, v4, v0, vcc_lo :: v_dual_add_nc_u32 v2, 21, v37
	v_add_nc_u32_e32 v49, 20, v37
	s_delay_alu instid0(VALU_DEP_2) | instskip(NEXT) | instid1(VALU_DEP_2)
	v_lshlrev_b64_e64 v[2:3], v2, -1
	v_lshlrev_b64_e64 v[50:51], v49, 1
	s_delay_alu instid0(VALU_DEP_2) | instskip(NEXT) | instid1(VALU_DEP_3)
	v_bfi_b32 v55, v3, 0, 0
	v_bfi_b32 v54, v2, 0, v4
	v_lshrrev_b64 v[2:3], v37, v[4:5]
	s_delay_alu instid0(VALU_DEP_1) | instskip(NEXT) | instid1(VALU_DEP_3)
	v_mov_b64_e32 v[4:5], v[2:3]
	v_cmpx_eq_u64_e64 v[54:55], v[50:51]
; %bb.16276:                            ;   in Loop: Header=BB6_14012 Depth=2
	v_bfe_u32 v4, v2, 21, 1
	v_mov_b32_e32 v5, v1
	s_delay_alu instid0(VALU_DEP_1) | instskip(NEXT) | instid1(VALU_DEP_1)
	v_add_nc_u64_e32 v[4:5], v[2:3], v[4:5]
	v_add_nc_u64_e32 v[4:5], -1, v[4:5]
; %bb.16277:                            ;   in Loop: Header=BB6_14012 Depth=2
	s_or_b32 exec_lo, exec_lo, s29
	v_add_nc_u32_e32 v0, 0xffffff81, v36
	s_delay_alu instid0(VALU_DEP_2) | instskip(SKIP_2) | instid1(VALU_DEP_3)
	v_and_b32_e32 v4, 0x1fffff, v4
	v_lshrrev_b32_e32 v3, 23, v2
	s_mov_b32 s7, exec_lo
	v_cndmask_b32_e64 v0, v0, 0xffffff82, vcc_lo
	s_delay_alu instid0(VALU_DEP_1) | instskip(SKIP_1) | instid1(VALU_DEP_2)
	v_add3_u32 v5, v37, v0, v3
	v_add_nc_u32_e32 v0, v4, v2
                                        ; implicit-def: $vgpr2_vgpr3
                                        ; implicit-def: $vgpr4
	v_add_nc_u32_e32 v36, 14, v5
	s_delay_alu instid0(VALU_DEP_1)
	v_cmpx_ne_u32_e32 0, v36
	s_xor_b32 s7, exec_lo, s7
; %bb.16278:                            ;   in Loop: Header=BB6_14012 Depth=2
	s_delay_alu instid0(VALU_DEP_3) | instskip(SKIP_1) | instid1(VALU_DEP_1)
	v_cmp_lt_u64_e32 vcc_lo, 0xffffff, v[0:1]
	v_add_nc_u32_e32 v2, 15, v5
	v_cndmask_b32_e32 v4, v36, v2, vcc_lo
	v_cndmask_b32_e64 v2, 0, 1, vcc_lo
	s_delay_alu instid0(VALU_DEP_1)
	v_lshrrev_b64 v[2:3], v2, v[0:1]
; %bb.16279:                            ;   in Loop: Header=BB6_14012 Depth=2
	s_and_not1_saveexec_b32 s7, s7
; %bb.16280:                            ;   in Loop: Header=BB6_14012 Depth=2
	v_mov_b64_e32 v[2:3], v[0:1]
	v_bfe_u32 v4, v0, 23, 1
; %bb.16281:                            ;   in Loop: Header=BB6_14012 Depth=2
	s_or_b32 exec_lo, exec_lo, s7
	s_delay_alu instid0(VALU_DEP_2) | instskip(NEXT) | instid1(VALU_DEP_2)
	v_lshrrev_b64 v[2:3], 21, v[2:3]
	v_cmp_gt_i32_e32 vcc_lo, 32, v4
	v_cmp_ne_u32_e64 s7, 0, v4
                                        ; implicit-def: $vgpr36
	s_delay_alu instid0(VALU_DEP_3) | instskip(NEXT) | instid1(VALU_DEP_1)
	v_dual_cndmask_b32 v3, 0, v3 :: v_dual_cndmask_b32 v2, 3, v2
	v_cmp_ne_u64_e32 vcc_lo, 0, v[2:3]
	s_or_b32 s7, s7, vcc_lo
	s_delay_alu instid0(SALU_CYCLE_1) | instskip(NEXT) | instid1(SALU_CYCLE_1)
	s_and_saveexec_b32 s29, s7
	s_xor_b32 s7, exec_lo, s29
; %bb.16282:                            ;   in Loop: Header=BB6_14012 Depth=2
	v_min_i32_e32 v0, 31, v4
	s_delay_alu instid0(VALU_DEP_1) | instskip(NEXT) | instid1(VALU_DEP_1)
	v_lshl_or_b32 v0, v0, 2, v19
                                        ; implicit-def: $vgpr19
	v_and_or_b32 v36, v2, 3, v0
; %bb.16283:                            ;   in Loop: Header=BB6_14012 Depth=2
	s_and_not1_saveexec_b32 s7, s7
; %bb.16284:                            ;   in Loop: Header=BB6_14012 Depth=2
	v_mov_b32_e32 v36, v19
; %bb.16285:                            ;   in Loop: Header=BB6_14012 Depth=2
	s_or_b32 exec_lo, exec_lo, s7
.LBB6_16286:                            ;   in Loop: Header=BB6_14012 Depth=2
	s_delay_alu instid0(SALU_CYCLE_1)
	s_or_b32 exec_lo, exec_lo, s28
                                        ; implicit-def: $vgpr19
.LBB6_16287:                            ;   in Loop: Header=BB6_14012 Depth=2
	s_and_not1_saveexec_b32 s7, s11
; %bb.16288:                            ;   in Loop: Header=BB6_14012 Depth=2
	v_or_b32_e32 v36, 0x7b, v19
; %bb.16289:                            ;   in Loop: Header=BB6_14012 Depth=2
	s_or_b32 exec_lo, exec_lo, s7
                                        ; implicit-def: $vgpr2
.LBB6_16290:                            ;   in Loop: Header=BB6_14012 Depth=2
	s_and_not1_saveexec_b32 s7, s10
	s_cbranch_execz .LBB6_16296
; %bb.16291:                            ;   in Loop: Header=BB6_14012 Depth=2
	s_mov_b32 s10, exec_lo
                                        ; implicit-def: $vgpr36
	v_cmpx_ne_u64_e32 0, v[0:1]
	s_xor_b32 s10, exec_lo, s10
; %bb.16292:                            ;   in Loop: Header=BB6_14012 Depth=2
	v_lshrrev_b32_e32 v0, 24, v2
                                        ; implicit-def: $vgpr2
	s_delay_alu instid0(VALU_DEP_1)
	v_or_b32_e32 v36, 0x7f, v0
; %bb.16293:                            ;   in Loop: Header=BB6_14012 Depth=2
	s_and_not1_saveexec_b32 s10, s10
; %bb.16294:                            ;   in Loop: Header=BB6_14012 Depth=2
	v_cmp_lt_i32_e32 vcc_lo, -1, v2
	v_cndmask_b32_e64 v36, -4, 0x7c, vcc_lo
; %bb.16295:                            ;   in Loop: Header=BB6_14012 Depth=2
	s_or_b32 exec_lo, exec_lo, s10
.LBB6_16296:                            ;   in Loop: Header=BB6_14012 Depth=2
	s_delay_alu instid0(SALU_CYCLE_1)
	s_or_b32 exec_lo, exec_lo, s7
	scratch_load_b64 v[2:3], off, s33 offset:252 ; 8-byte Folded Reload
	v_mov_b32_e32 v0, 0
	s_mov_b32 s7, exec_lo
	s_wait_loadcnt 0x0
	v_and_b32_e32 v4, 0xff, v2
	v_mov_b32_e32 v2, 0
	s_wait_xcnt 0x0
	s_delay_alu instid0(VALU_DEP_2)
	v_cmpx_ne_u16_e32 0, v4
	s_cbranch_execz .LBB6_16306
; %bb.16297:                            ;   in Loop: Header=BB6_14012 Depth=2
	v_bfrev_b32_e32 v2, 1
	s_mov_b32 s10, exec_lo
	v_cmpx_ne_u16_e32 0x80, v4
	s_cbranch_execz .LBB6_16305
; %bb.16298:                            ;   in Loop: Header=BB6_14012 Depth=2
	scratch_load_b64 v[2:3], off, s33 offset:252 ; 8-byte Folded Reload
	s_wait_loadcnt 0x0
	v_mov_b32_e32 v50, v2
	s_delay_alu instid0(VALU_DEP_1) | instskip(SKIP_1) | instid1(VALU_DEP_2)
	v_and_b32_e32 v2, 0x7c, v50
	v_and_b32_e32 v3, 3, v50
	v_cmp_ne_u32_e32 vcc_lo, 0x7c, v2
                                        ; implicit-def: $vgpr2
	s_wait_xcnt 0x0
	s_and_saveexec_b32 s11, vcc_lo
	s_delay_alu instid0(SALU_CYCLE_1)
	s_xor_b32 s11, exec_lo, s11
	s_cbranch_execz .LBB6_16302
; %bb.16299:                            ;   in Loop: Header=BB6_14012 Depth=2
	v_bfe_u32 v2, v4, 2, 5
	s_mov_b32 s28, exec_lo
	s_delay_alu instid0(VALU_DEP_1)
	v_cmpx_eq_u32_e32 0, v2
	s_cbranch_execz .LBB6_16301
; %bb.16300:                            ;   in Loop: Header=BB6_14012 Depth=2
	scratch_load_b64 v[4:5], off, s33 offset:252 th:TH_LOAD_LU ; 8-byte Folded Reload
	v_clz_i32_u32_e32 v2, v3
	s_wait_loadcnt 0x0
	v_mov_b32_e32 v5, v1
	s_delay_alu instid0(VALU_DEP_2) | instskip(NEXT) | instid1(VALU_DEP_1)
	v_min_u32_e32 v2, 32, v2
	v_subrev_nc_u32_e32 v3, 29, v2
	v_mov_b32_e32 v50, v4
	s_delay_alu instid0(VALU_DEP_2)
	v_lshlrev_b64_e32 v[4:5], v3, v[4:5]
	v_sub_nc_u32_e32 v2, 30, v2
	scratch_store_b64 off, v[50:51], s33 offset:252 ; 8-byte Folded Spill
	v_and_b32_e32 v3, 3, v4
.LBB6_16301:                            ;   in Loop: Header=BB6_14012 Depth=2
	s_wait_xcnt 0x0
	s_or_b32 exec_lo, exec_lo, s28
	scratch_load_b64 v[4:5], off, s33 offset:252 th:TH_LOAD_LU ; 8-byte Folded Reload
	s_wait_loadcnt 0x0
	v_lshlrev_b32_e32 v4, 24, v4
	s_delay_alu instid0(VALU_DEP_1) | instskip(NEXT) | instid1(VALU_DEP_1)
	v_and_b32_e32 v4, 0x80000000, v4
	v_lshl_add_u32 v2, v2, 23, v4
                                        ; implicit-def: $vgpr4
	scratch_store_b64 off, v[4:5], s33 offset:252 ; 8-byte Folded Spill
	v_lshl_or_b32 v2, v3, 21, v2
                                        ; implicit-def: $vgpr3
	s_delay_alu instid0(VALU_DEP_1)
	v_add_nc_u32_e32 v2, 0x38000000, v2
.LBB6_16302:                            ;   in Loop: Header=BB6_14012 Depth=2
	s_wait_xcnt 0x0
	s_and_not1_saveexec_b32 s11, s11
	s_cbranch_execz .LBB6_16304
; %bb.16303:                            ;   in Loop: Header=BB6_14012 Depth=2
	scratch_load_b64 v[4:5], off, s33 offset:252 th:TH_LOAD_LU ; 8-byte Folded Reload
	s_wait_loadcnt 0x0
	v_bfe_i32 v2, v4, 0, 8
	s_delay_alu instid0(VALU_DEP_1) | instskip(SKIP_1) | instid1(VALU_DEP_1)
	v_cmp_lt_i16_e32 vcc_lo, -1, v2
	v_mov_b32_e32 v2, 0x7f800000
	v_cndmask_b32_e32 v2, 0xff800000, v2, vcc_lo
	v_cmp_eq_u32_e32 vcc_lo, 0, v3
	s_delay_alu instid0(VALU_DEP_2)
	v_cndmask_b32_e32 v2, 0x7f800001, v2, vcc_lo
.LBB6_16304:                            ;   in Loop: Header=BB6_14012 Depth=2
	s_wait_xcnt 0x0
	s_or_b32 exec_lo, exec_lo, s11
.LBB6_16305:                            ;   in Loop: Header=BB6_14012 Depth=2
	s_delay_alu instid0(SALU_CYCLE_1)
	s_or_b32 exec_lo, exec_lo, s10
.LBB6_16306:                            ;   in Loop: Header=BB6_14012 Depth=2
	s_delay_alu instid0(SALU_CYCLE_1) | instskip(NEXT) | instid1(SALU_CYCLE_1)
	s_or_b32 exec_lo, exec_lo, s7
	s_mov_b32 s7, exec_lo
	s_wait_dscnt 0x4
	v_cmpx_ne_u16_e32 0, v76
	s_cbranch_execz .LBB6_16316
; %bb.16307:                            ;   in Loop: Header=BB6_14012 Depth=2
	v_bfrev_b32_e32 v0, 1
	s_mov_b32 s10, exec_lo
	v_cmpx_ne_u16_e32 0xff80, v76
	s_cbranch_execz .LBB6_16315
; %bb.16308:                            ;   in Loop: Header=BB6_14012 Depth=2
	v_and_b32_e32 v0, 0x7c, v76
	v_and_b32_e32 v3, 3, v76
	s_delay_alu instid0(VALU_DEP_2) | instskip(SKIP_1) | instid1(SALU_CYCLE_1)
	v_cmp_ne_u32_e32 vcc_lo, 0x7c, v0
                                        ; implicit-def: $vgpr0
	s_and_saveexec_b32 s11, vcc_lo
	s_xor_b32 s11, exec_lo, s11
	s_cbranch_execz .LBB6_16312
; %bb.16309:                            ;   in Loop: Header=BB6_14012 Depth=2
	v_and_b32_e32 v0, 0xff, v76
	s_mov_b32 s28, exec_lo
	s_delay_alu instid0(VALU_DEP_1) | instskip(NEXT) | instid1(VALU_DEP_1)
	v_bfe_u32 v0, v0, 2, 5
	v_cmpx_eq_u32_e32 0, v0
	s_cbranch_execz .LBB6_16311
; %bb.16310:                            ;   in Loop: Header=BB6_14012 Depth=2
	v_clz_i32_u32_e32 v0, v3
	s_delay_alu instid0(VALU_DEP_1) | instskip(SKIP_1) | instid1(VALU_DEP_2)
	v_min_u32_e32 v0, 32, v0
	v_mov_b32_e32 v77, v1
	v_subrev_nc_u32_e32 v3, 29, v0
	v_sub_nc_u32_e32 v0, 30, v0
	s_delay_alu instid0(VALU_DEP_2) | instskip(NEXT) | instid1(VALU_DEP_1)
	v_lshlrev_b64_e32 v[4:5], v3, v[76:77]
	v_and_b32_e32 v3, 3, v4
.LBB6_16311:                            ;   in Loop: Header=BB6_14012 Depth=2
	s_or_b32 exec_lo, exec_lo, s28
	v_bfe_i32 v4, v76, 0, 16
                                        ; implicit-def: $vgpr76
	s_delay_alu instid0(VALU_DEP_1) | instskip(NEXT) | instid1(VALU_DEP_1)
	v_and_b32_e32 v4, 0x80000000, v4
	v_lshl_add_u32 v0, v0, 23, v4
	s_delay_alu instid0(VALU_DEP_1) | instskip(NEXT) | instid1(VALU_DEP_1)
	v_lshl_or_b32 v0, v3, 21, v0
                                        ; implicit-def: $vgpr3
	v_add_nc_u32_e32 v0, 0x38000000, v0
.LBB6_16312:                            ;   in Loop: Header=BB6_14012 Depth=2
	s_and_not1_saveexec_b32 s11, s11
; %bb.16313:                            ;   in Loop: Header=BB6_14012 Depth=2
	v_cmp_lt_i16_e32 vcc_lo, -1, v76
	v_mov_b32_e32 v0, 0x7f800000
	s_delay_alu instid0(VALU_DEP_1) | instskip(SKIP_1) | instid1(VALU_DEP_2)
	v_cndmask_b32_e32 v0, 0xff800000, v0, vcc_lo
	v_cmp_eq_u32_e32 vcc_lo, 0, v3
	v_cndmask_b32_e32 v0, 0x7f800001, v0, vcc_lo
; %bb.16314:                            ;   in Loop: Header=BB6_14012 Depth=2
	s_or_b32 exec_lo, exec_lo, s11
.LBB6_16315:                            ;   in Loop: Header=BB6_14012 Depth=2
	s_delay_alu instid0(SALU_CYCLE_1)
	s_or_b32 exec_lo, exec_lo, s10
.LBB6_16316:                            ;   in Loop: Header=BB6_14012 Depth=2
	s_delay_alu instid0(SALU_CYCLE_1) | instskip(NEXT) | instid1(VALU_DEP_1)
	s_or_b32 exec_lo, exec_lo, s7
	v_dual_add_f32 v2, v2, v0 :: v_dual_mov_b32 v5, v1
                                        ; implicit-def: $vgpr37
	s_mov_b32 s7, exec_lo
	s_delay_alu instid0(VALU_DEP_1) | instskip(SKIP_1) | instid1(VALU_DEP_2)
	v_and_b32_e32 v4, 0x7f800000, v2
	v_and_b32_e32 v0, 0x7fffff, v2
	v_cmpx_ne_u64_e32 0x7f800000, v[4:5]
	s_xor_b32 s10, exec_lo, s7
	s_cbranch_execz .LBB6_16334
; %bb.16317:                            ;   in Loop: Header=BB6_14012 Depth=2
	v_dual_mov_b32 v5, v1 :: v_dual_lshrrev_b32 v3, 24, v2
	v_and_b32_e32 v4, 0x7fffffff, v2
                                        ; implicit-def: $vgpr37
	s_mov_b32 s7, exec_lo
	s_delay_alu instid0(VALU_DEP_2) | instskip(NEXT) | instid1(VALU_DEP_2)
	v_and_b32_e32 v19, 0x80, v3
	v_cmpx_gt_u64_e32 0x47600001, v[4:5]
	s_xor_b32 s11, exec_lo, s7
	s_cbranch_execz .LBB6_16331
; %bb.16318:                            ;   in Loop: Header=BB6_14012 Depth=2
	v_mov_b32_e32 v37, 0
	s_mov_b32 s28, exec_lo
	v_cmpx_ne_u32_e32 0, v2
	s_cbranch_execz .LBB6_16330
; %bb.16319:                            ;   in Loop: Header=BB6_14012 Depth=2
	v_bfe_u32 v37, v2, 23, 8
	v_or_b32_e32 v4, 0x800000, v0
	s_mov_b32 s29, exec_lo
	s_delay_alu instid0(VALU_DEP_2) | instskip(SKIP_1) | instid1(VALU_DEP_2)
	v_dual_mov_b32 v5, v1 :: v_dual_sub_nc_u32 v2, 0x71, v37
	v_cmp_gt_u32_e32 vcc_lo, 0x72, v37
	v_cndmask_b32_e32 v2, 0, v2, vcc_lo
	v_cmp_eq_u32_e32 vcc_lo, 0, v37
	s_delay_alu instid0(VALU_DEP_2) | instskip(NEXT) | instid1(VALU_DEP_1)
	v_cndmask_b32_e64 v49, v2, 0x70, vcc_lo
	v_dual_cndmask_b32 v4, v4, v0, vcc_lo :: v_dual_add_nc_u32 v2, 21, v49
	v_add_nc_u32_e32 v50, 20, v49
	s_delay_alu instid0(VALU_DEP_2) | instskip(NEXT) | instid1(VALU_DEP_2)
	v_lshlrev_b64_e64 v[2:3], v2, -1
	v_lshlrev_b64_e64 v[50:51], v50, 1
	s_delay_alu instid0(VALU_DEP_2) | instskip(NEXT) | instid1(VALU_DEP_3)
	v_bfi_b32 v55, v3, 0, 0
	v_bfi_b32 v54, v2, 0, v4
	v_lshrrev_b64 v[2:3], v49, v[4:5]
	s_delay_alu instid0(VALU_DEP_1) | instskip(NEXT) | instid1(VALU_DEP_3)
	v_mov_b64_e32 v[4:5], v[2:3]
	v_cmpx_eq_u64_e64 v[54:55], v[50:51]
; %bb.16320:                            ;   in Loop: Header=BB6_14012 Depth=2
	v_bfe_u32 v4, v2, 21, 1
	v_mov_b32_e32 v5, v1
	s_delay_alu instid0(VALU_DEP_1) | instskip(NEXT) | instid1(VALU_DEP_1)
	v_add_nc_u64_e32 v[4:5], v[2:3], v[4:5]
	v_add_nc_u64_e32 v[4:5], -1, v[4:5]
; %bb.16321:                            ;   in Loop: Header=BB6_14012 Depth=2
	s_or_b32 exec_lo, exec_lo, s29
	v_add_nc_u32_e32 v0, 0xffffff81, v37
	s_delay_alu instid0(VALU_DEP_2) | instskip(SKIP_2) | instid1(VALU_DEP_3)
	v_and_b32_e32 v4, 0x1fffff, v4
	v_lshrrev_b32_e32 v3, 23, v2
	s_mov_b32 s7, exec_lo
	v_cndmask_b32_e64 v0, v0, 0xffffff82, vcc_lo
	s_delay_alu instid0(VALU_DEP_1) | instskip(SKIP_1) | instid1(VALU_DEP_2)
	v_add3_u32 v5, v49, v0, v3
	v_add_nc_u32_e32 v0, v4, v2
                                        ; implicit-def: $vgpr2_vgpr3
                                        ; implicit-def: $vgpr4
	v_add_nc_u32_e32 v37, 14, v5
	s_delay_alu instid0(VALU_DEP_1)
	v_cmpx_ne_u32_e32 0, v37
	s_xor_b32 s7, exec_lo, s7
; %bb.16322:                            ;   in Loop: Header=BB6_14012 Depth=2
	s_delay_alu instid0(VALU_DEP_3) | instskip(SKIP_1) | instid1(VALU_DEP_1)
	v_cmp_lt_u64_e32 vcc_lo, 0xffffff, v[0:1]
	v_add_nc_u32_e32 v2, 15, v5
	v_cndmask_b32_e32 v4, v37, v2, vcc_lo
	v_cndmask_b32_e64 v2, 0, 1, vcc_lo
	s_delay_alu instid0(VALU_DEP_1)
	v_lshrrev_b64 v[2:3], v2, v[0:1]
; %bb.16323:                            ;   in Loop: Header=BB6_14012 Depth=2
	s_and_not1_saveexec_b32 s7, s7
; %bb.16324:                            ;   in Loop: Header=BB6_14012 Depth=2
	v_mov_b64_e32 v[2:3], v[0:1]
	v_bfe_u32 v4, v0, 23, 1
; %bb.16325:                            ;   in Loop: Header=BB6_14012 Depth=2
	s_or_b32 exec_lo, exec_lo, s7
	s_delay_alu instid0(VALU_DEP_2) | instskip(NEXT) | instid1(VALU_DEP_2)
	v_lshrrev_b64 v[2:3], 21, v[2:3]
	v_cmp_gt_i32_e32 vcc_lo, 32, v4
	v_cmp_ne_u32_e64 s7, 0, v4
                                        ; implicit-def: $vgpr37
	s_delay_alu instid0(VALU_DEP_3) | instskip(NEXT) | instid1(VALU_DEP_1)
	v_dual_cndmask_b32 v3, 0, v3 :: v_dual_cndmask_b32 v2, 3, v2
	v_cmp_ne_u64_e32 vcc_lo, 0, v[2:3]
	s_or_b32 s7, s7, vcc_lo
	s_delay_alu instid0(SALU_CYCLE_1) | instskip(NEXT) | instid1(SALU_CYCLE_1)
	s_and_saveexec_b32 s29, s7
	s_xor_b32 s7, exec_lo, s29
; %bb.16326:                            ;   in Loop: Header=BB6_14012 Depth=2
	v_min_i32_e32 v0, 31, v4
	s_delay_alu instid0(VALU_DEP_1) | instskip(NEXT) | instid1(VALU_DEP_1)
	v_lshl_or_b32 v0, v0, 2, v19
                                        ; implicit-def: $vgpr19
	v_and_or_b32 v37, v2, 3, v0
; %bb.16327:                            ;   in Loop: Header=BB6_14012 Depth=2
	s_and_not1_saveexec_b32 s7, s7
; %bb.16328:                            ;   in Loop: Header=BB6_14012 Depth=2
	v_mov_b32_e32 v37, v19
; %bb.16329:                            ;   in Loop: Header=BB6_14012 Depth=2
	s_or_b32 exec_lo, exec_lo, s7
.LBB6_16330:                            ;   in Loop: Header=BB6_14012 Depth=2
	s_delay_alu instid0(SALU_CYCLE_1)
	s_or_b32 exec_lo, exec_lo, s28
                                        ; implicit-def: $vgpr19
.LBB6_16331:                            ;   in Loop: Header=BB6_14012 Depth=2
	s_and_not1_saveexec_b32 s7, s11
; %bb.16332:                            ;   in Loop: Header=BB6_14012 Depth=2
	v_or_b32_e32 v37, 0x7b, v19
; %bb.16333:                            ;   in Loop: Header=BB6_14012 Depth=2
	s_or_b32 exec_lo, exec_lo, s7
                                        ; implicit-def: $vgpr2
.LBB6_16334:                            ;   in Loop: Header=BB6_14012 Depth=2
	s_and_not1_saveexec_b32 s7, s10
	s_cbranch_execz .LBB6_16340
; %bb.16335:                            ;   in Loop: Header=BB6_14012 Depth=2
	s_mov_b32 s10, exec_lo
                                        ; implicit-def: $vgpr37
	v_cmpx_ne_u64_e32 0, v[0:1]
	s_xor_b32 s10, exec_lo, s10
; %bb.16336:                            ;   in Loop: Header=BB6_14012 Depth=2
	v_lshrrev_b32_e32 v0, 24, v2
                                        ; implicit-def: $vgpr2
	s_delay_alu instid0(VALU_DEP_1)
	v_or_b32_e32 v37, 0x7f, v0
; %bb.16337:                            ;   in Loop: Header=BB6_14012 Depth=2
	s_and_not1_saveexec_b32 s10, s10
; %bb.16338:                            ;   in Loop: Header=BB6_14012 Depth=2
	v_cmp_lt_i32_e32 vcc_lo, -1, v2
	v_cndmask_b32_e64 v37, -4, 0x7c, vcc_lo
; %bb.16339:                            ;   in Loop: Header=BB6_14012 Depth=2
	s_or_b32 exec_lo, exec_lo, s10
.LBB6_16340:                            ;   in Loop: Header=BB6_14012 Depth=2
	s_delay_alu instid0(SALU_CYCLE_1)
	s_or_b32 exec_lo, exec_lo, s7
	scratch_load_b64 v[2:3], off, s33 offset:244 ; 8-byte Folded Reload
	v_mov_b32_e32 v0, 0
	s_mov_b32 s7, exec_lo
	s_wait_loadcnt 0x0
	v_and_b32_e32 v4, 0xff, v2
	v_mov_b32_e32 v2, 0
	s_wait_xcnt 0x0
	s_delay_alu instid0(VALU_DEP_2)
	v_cmpx_ne_u16_e32 0, v4
	s_cbranch_execz .LBB6_16350
; %bb.16341:                            ;   in Loop: Header=BB6_14012 Depth=2
	v_bfrev_b32_e32 v2, 1
	s_mov_b32 s10, exec_lo
	v_cmpx_ne_u16_e32 0x80, v4
	s_cbranch_execz .LBB6_16349
; %bb.16342:                            ;   in Loop: Header=BB6_14012 Depth=2
	scratch_load_b64 v[2:3], off, s33 offset:244 ; 8-byte Folded Reload
	s_wait_loadcnt 0x0
	v_mov_b32_e32 v50, v2
	s_delay_alu instid0(VALU_DEP_1) | instskip(SKIP_1) | instid1(VALU_DEP_2)
	v_and_b32_e32 v2, 0x7c, v50
	v_and_b32_e32 v3, 3, v50
	v_cmp_ne_u32_e32 vcc_lo, 0x7c, v2
                                        ; implicit-def: $vgpr2
	s_wait_xcnt 0x0
	s_and_saveexec_b32 s11, vcc_lo
	s_delay_alu instid0(SALU_CYCLE_1)
	s_xor_b32 s11, exec_lo, s11
	s_cbranch_execz .LBB6_16346
; %bb.16343:                            ;   in Loop: Header=BB6_14012 Depth=2
	v_bfe_u32 v2, v4, 2, 5
	s_mov_b32 s28, exec_lo
	s_delay_alu instid0(VALU_DEP_1)
	v_cmpx_eq_u32_e32 0, v2
	s_cbranch_execz .LBB6_16345
; %bb.16344:                            ;   in Loop: Header=BB6_14012 Depth=2
	scratch_load_b64 v[4:5], off, s33 offset:244 th:TH_LOAD_LU ; 8-byte Folded Reload
	v_clz_i32_u32_e32 v2, v3
	s_wait_loadcnt 0x0
	v_mov_b32_e32 v5, v1
	s_delay_alu instid0(VALU_DEP_2) | instskip(NEXT) | instid1(VALU_DEP_1)
	v_min_u32_e32 v2, 32, v2
	v_subrev_nc_u32_e32 v3, 29, v2
	v_mov_b32_e32 v50, v4
	s_delay_alu instid0(VALU_DEP_2)
	v_lshlrev_b64_e32 v[4:5], v3, v[4:5]
	v_sub_nc_u32_e32 v2, 30, v2
	scratch_store_b64 off, v[50:51], s33 offset:244 ; 8-byte Folded Spill
	v_and_b32_e32 v3, 3, v4
.LBB6_16345:                            ;   in Loop: Header=BB6_14012 Depth=2
	s_wait_xcnt 0x0
	s_or_b32 exec_lo, exec_lo, s28
	scratch_load_b64 v[4:5], off, s33 offset:244 th:TH_LOAD_LU ; 8-byte Folded Reload
	s_wait_loadcnt 0x0
	v_lshlrev_b32_e32 v4, 24, v4
	s_delay_alu instid0(VALU_DEP_1) | instskip(NEXT) | instid1(VALU_DEP_1)
	v_and_b32_e32 v4, 0x80000000, v4
	v_lshl_add_u32 v2, v2, 23, v4
                                        ; implicit-def: $vgpr4
	scratch_store_b64 off, v[4:5], s33 offset:244 ; 8-byte Folded Spill
	v_lshl_or_b32 v2, v3, 21, v2
                                        ; implicit-def: $vgpr3
	s_delay_alu instid0(VALU_DEP_1)
	v_add_nc_u32_e32 v2, 0x38000000, v2
.LBB6_16346:                            ;   in Loop: Header=BB6_14012 Depth=2
	s_wait_xcnt 0x0
	s_and_not1_saveexec_b32 s11, s11
	s_cbranch_execz .LBB6_16348
; %bb.16347:                            ;   in Loop: Header=BB6_14012 Depth=2
	scratch_load_b64 v[4:5], off, s33 offset:244 th:TH_LOAD_LU ; 8-byte Folded Reload
	s_wait_loadcnt 0x0
	v_bfe_i32 v2, v4, 0, 8
	s_delay_alu instid0(VALU_DEP_1) | instskip(SKIP_1) | instid1(VALU_DEP_1)
	v_cmp_lt_i16_e32 vcc_lo, -1, v2
	v_mov_b32_e32 v2, 0x7f800000
	v_cndmask_b32_e32 v2, 0xff800000, v2, vcc_lo
	v_cmp_eq_u32_e32 vcc_lo, 0, v3
	s_delay_alu instid0(VALU_DEP_2)
	v_cndmask_b32_e32 v2, 0x7f800001, v2, vcc_lo
.LBB6_16348:                            ;   in Loop: Header=BB6_14012 Depth=2
	s_wait_xcnt 0x0
	s_or_b32 exec_lo, exec_lo, s11
.LBB6_16349:                            ;   in Loop: Header=BB6_14012 Depth=2
	s_delay_alu instid0(SALU_CYCLE_1)
	s_or_b32 exec_lo, exec_lo, s10
.LBB6_16350:                            ;   in Loop: Header=BB6_14012 Depth=2
	s_delay_alu instid0(SALU_CYCLE_1) | instskip(NEXT) | instid1(SALU_CYCLE_1)
	s_or_b32 exec_lo, exec_lo, s7
	s_mov_b32 s7, exec_lo
	s_wait_dscnt 0x3
	v_cmpx_ne_u16_e32 0, v56
	s_cbranch_execz .LBB6_16360
; %bb.16351:                            ;   in Loop: Header=BB6_14012 Depth=2
	v_bfrev_b32_e32 v0, 1
	s_mov_b32 s10, exec_lo
	v_cmpx_ne_u16_e32 0xff80, v56
	s_cbranch_execz .LBB6_16359
; %bb.16352:                            ;   in Loop: Header=BB6_14012 Depth=2
	v_and_b32_e32 v0, 0x7c, v56
	v_and_b32_e32 v3, 3, v56
	s_delay_alu instid0(VALU_DEP_2) | instskip(SKIP_1) | instid1(SALU_CYCLE_1)
	v_cmp_ne_u32_e32 vcc_lo, 0x7c, v0
                                        ; implicit-def: $vgpr0
	s_and_saveexec_b32 s11, vcc_lo
	s_xor_b32 s11, exec_lo, s11
	s_cbranch_execz .LBB6_16356
; %bb.16353:                            ;   in Loop: Header=BB6_14012 Depth=2
	v_and_b32_e32 v0, 0xff, v56
	s_mov_b32 s28, exec_lo
	s_delay_alu instid0(VALU_DEP_1) | instskip(NEXT) | instid1(VALU_DEP_1)
	v_bfe_u32 v0, v0, 2, 5
	v_cmpx_eq_u32_e32 0, v0
	s_cbranch_execz .LBB6_16355
; %bb.16354:                            ;   in Loop: Header=BB6_14012 Depth=2
	v_clz_i32_u32_e32 v0, v3
	s_delay_alu instid0(VALU_DEP_1) | instskip(SKIP_1) | instid1(VALU_DEP_2)
	v_min_u32_e32 v0, 32, v0
	v_mov_b32_e32 v57, v1
	v_subrev_nc_u32_e32 v3, 29, v0
	v_sub_nc_u32_e32 v0, 30, v0
	s_delay_alu instid0(VALU_DEP_2) | instskip(NEXT) | instid1(VALU_DEP_1)
	v_lshlrev_b64_e32 v[4:5], v3, v[56:57]
	v_and_b32_e32 v3, 3, v4
.LBB6_16355:                            ;   in Loop: Header=BB6_14012 Depth=2
	s_or_b32 exec_lo, exec_lo, s28
	v_bfe_i32 v4, v56, 0, 16
                                        ; implicit-def: $vgpr56
	s_delay_alu instid0(VALU_DEP_1) | instskip(NEXT) | instid1(VALU_DEP_1)
	v_and_b32_e32 v4, 0x80000000, v4
	v_lshl_add_u32 v0, v0, 23, v4
	s_delay_alu instid0(VALU_DEP_1) | instskip(NEXT) | instid1(VALU_DEP_1)
	v_lshl_or_b32 v0, v3, 21, v0
                                        ; implicit-def: $vgpr3
	v_add_nc_u32_e32 v0, 0x38000000, v0
.LBB6_16356:                            ;   in Loop: Header=BB6_14012 Depth=2
	s_and_not1_saveexec_b32 s11, s11
; %bb.16357:                            ;   in Loop: Header=BB6_14012 Depth=2
	v_cmp_lt_i16_e32 vcc_lo, -1, v56
	v_mov_b32_e32 v0, 0x7f800000
	s_delay_alu instid0(VALU_DEP_1) | instskip(SKIP_1) | instid1(VALU_DEP_2)
	v_cndmask_b32_e32 v0, 0xff800000, v0, vcc_lo
	v_cmp_eq_u32_e32 vcc_lo, 0, v3
	v_cndmask_b32_e32 v0, 0x7f800001, v0, vcc_lo
; %bb.16358:                            ;   in Loop: Header=BB6_14012 Depth=2
	s_or_b32 exec_lo, exec_lo, s11
.LBB6_16359:                            ;   in Loop: Header=BB6_14012 Depth=2
	s_delay_alu instid0(SALU_CYCLE_1)
	s_or_b32 exec_lo, exec_lo, s10
.LBB6_16360:                            ;   in Loop: Header=BB6_14012 Depth=2
	s_delay_alu instid0(SALU_CYCLE_1) | instskip(NEXT) | instid1(VALU_DEP_1)
	s_or_b32 exec_lo, exec_lo, s7
	v_dual_add_f32 v2, v2, v0 :: v_dual_mov_b32 v5, v1
                                        ; implicit-def: $vgpr49
	s_mov_b32 s7, exec_lo
	s_delay_alu instid0(VALU_DEP_1) | instskip(SKIP_1) | instid1(VALU_DEP_2)
	v_and_b32_e32 v4, 0x7f800000, v2
	v_and_b32_e32 v0, 0x7fffff, v2
	v_cmpx_ne_u64_e32 0x7f800000, v[4:5]
	s_xor_b32 s10, exec_lo, s7
	s_cbranch_execz .LBB6_16378
; %bb.16361:                            ;   in Loop: Header=BB6_14012 Depth=2
	v_dual_mov_b32 v5, v1 :: v_dual_lshrrev_b32 v3, 24, v2
	v_and_b32_e32 v4, 0x7fffffff, v2
                                        ; implicit-def: $vgpr49
	s_mov_b32 s7, exec_lo
	s_delay_alu instid0(VALU_DEP_2) | instskip(NEXT) | instid1(VALU_DEP_2)
	v_and_b32_e32 v19, 0x80, v3
	v_cmpx_gt_u64_e32 0x47600001, v[4:5]
	s_xor_b32 s11, exec_lo, s7
	s_cbranch_execz .LBB6_16375
; %bb.16362:                            ;   in Loop: Header=BB6_14012 Depth=2
	v_mov_b32_e32 v49, 0
	s_mov_b32 s28, exec_lo
	v_cmpx_ne_u32_e32 0, v2
	s_cbranch_execz .LBB6_16374
; %bb.16363:                            ;   in Loop: Header=BB6_14012 Depth=2
	v_bfe_u32 v49, v2, 23, 8
	v_or_b32_e32 v4, 0x800000, v0
	s_mov_b32 s29, exec_lo
	s_delay_alu instid0(VALU_DEP_2) | instskip(SKIP_1) | instid1(VALU_DEP_2)
	v_dual_mov_b32 v5, v1 :: v_dual_sub_nc_u32 v2, 0x71, v49
	v_cmp_gt_u32_e32 vcc_lo, 0x72, v49
	v_cndmask_b32_e32 v2, 0, v2, vcc_lo
	v_cmp_eq_u32_e32 vcc_lo, 0, v49
	v_cndmask_b32_e32 v4, v4, v0, vcc_lo
	s_delay_alu instid0(VALU_DEP_3) | instskip(NEXT) | instid1(VALU_DEP_1)
	v_cndmask_b32_e64 v50, v2, 0x70, vcc_lo
	v_dual_add_nc_u32 v2, 21, v50 :: v_dual_add_nc_u32 v51, 20, v50
	s_delay_alu instid0(VALU_DEP_1) | instskip(NEXT) | instid1(VALU_DEP_2)
	v_lshlrev_b64_e64 v[2:3], v2, -1
	v_lshlrev_b64_e64 v[54:55], v51, 1
	s_delay_alu instid0(VALU_DEP_2) | instskip(NEXT) | instid1(VALU_DEP_3)
	v_bfi_b32 v65, v3, 0, 0
	v_bfi_b32 v64, v2, 0, v4
	v_lshrrev_b64 v[2:3], v50, v[4:5]
	s_delay_alu instid0(VALU_DEP_1) | instskip(NEXT) | instid1(VALU_DEP_3)
	v_mov_b64_e32 v[4:5], v[2:3]
	v_cmpx_eq_u64_e64 v[64:65], v[54:55]
; %bb.16364:                            ;   in Loop: Header=BB6_14012 Depth=2
	v_bfe_u32 v4, v2, 21, 1
	v_mov_b32_e32 v5, v1
	s_delay_alu instid0(VALU_DEP_1) | instskip(NEXT) | instid1(VALU_DEP_1)
	v_add_nc_u64_e32 v[4:5], v[2:3], v[4:5]
	v_add_nc_u64_e32 v[4:5], -1, v[4:5]
; %bb.16365:                            ;   in Loop: Header=BB6_14012 Depth=2
	s_or_b32 exec_lo, exec_lo, s29
	v_add_nc_u32_e32 v0, 0xffffff81, v49
	s_delay_alu instid0(VALU_DEP_2) | instskip(SKIP_2) | instid1(VALU_DEP_3)
	v_and_b32_e32 v4, 0x1fffff, v4
	v_lshrrev_b32_e32 v3, 23, v2
	s_mov_b32 s7, exec_lo
	v_cndmask_b32_e64 v0, v0, 0xffffff82, vcc_lo
	s_delay_alu instid0(VALU_DEP_1) | instskip(SKIP_1) | instid1(VALU_DEP_2)
	v_add3_u32 v5, v50, v0, v3
	v_add_nc_u32_e32 v0, v4, v2
                                        ; implicit-def: $vgpr2_vgpr3
                                        ; implicit-def: $vgpr4
	v_add_nc_u32_e32 v49, 14, v5
	s_delay_alu instid0(VALU_DEP_1)
	v_cmpx_ne_u32_e32 0, v49
	s_xor_b32 s7, exec_lo, s7
; %bb.16366:                            ;   in Loop: Header=BB6_14012 Depth=2
	s_delay_alu instid0(VALU_DEP_3) | instskip(SKIP_1) | instid1(VALU_DEP_1)
	v_cmp_lt_u64_e32 vcc_lo, 0xffffff, v[0:1]
	v_add_nc_u32_e32 v2, 15, v5
	v_cndmask_b32_e32 v4, v49, v2, vcc_lo
	v_cndmask_b32_e64 v2, 0, 1, vcc_lo
	s_delay_alu instid0(VALU_DEP_1)
	v_lshrrev_b64 v[2:3], v2, v[0:1]
; %bb.16367:                            ;   in Loop: Header=BB6_14012 Depth=2
	s_and_not1_saveexec_b32 s7, s7
; %bb.16368:                            ;   in Loop: Header=BB6_14012 Depth=2
	v_mov_b64_e32 v[2:3], v[0:1]
	v_bfe_u32 v4, v0, 23, 1
; %bb.16369:                            ;   in Loop: Header=BB6_14012 Depth=2
	s_or_b32 exec_lo, exec_lo, s7
	s_delay_alu instid0(VALU_DEP_2) | instskip(NEXT) | instid1(VALU_DEP_2)
	v_lshrrev_b64 v[2:3], 21, v[2:3]
	v_cmp_gt_i32_e32 vcc_lo, 32, v4
	v_cmp_ne_u32_e64 s7, 0, v4
                                        ; implicit-def: $vgpr49
	s_delay_alu instid0(VALU_DEP_3) | instskip(NEXT) | instid1(VALU_DEP_1)
	v_dual_cndmask_b32 v3, 0, v3 :: v_dual_cndmask_b32 v2, 3, v2
	v_cmp_ne_u64_e32 vcc_lo, 0, v[2:3]
	s_or_b32 s7, s7, vcc_lo
	s_delay_alu instid0(SALU_CYCLE_1) | instskip(NEXT) | instid1(SALU_CYCLE_1)
	s_and_saveexec_b32 s29, s7
	s_xor_b32 s7, exec_lo, s29
; %bb.16370:                            ;   in Loop: Header=BB6_14012 Depth=2
	v_min_i32_e32 v0, 31, v4
	s_delay_alu instid0(VALU_DEP_1) | instskip(NEXT) | instid1(VALU_DEP_1)
	v_lshl_or_b32 v0, v0, 2, v19
                                        ; implicit-def: $vgpr19
	v_and_or_b32 v49, v2, 3, v0
; %bb.16371:                            ;   in Loop: Header=BB6_14012 Depth=2
	s_and_not1_saveexec_b32 s7, s7
; %bb.16372:                            ;   in Loop: Header=BB6_14012 Depth=2
	v_mov_b32_e32 v49, v19
; %bb.16373:                            ;   in Loop: Header=BB6_14012 Depth=2
	s_or_b32 exec_lo, exec_lo, s7
.LBB6_16374:                            ;   in Loop: Header=BB6_14012 Depth=2
	s_delay_alu instid0(SALU_CYCLE_1)
	s_or_b32 exec_lo, exec_lo, s28
                                        ; implicit-def: $vgpr19
.LBB6_16375:                            ;   in Loop: Header=BB6_14012 Depth=2
	s_and_not1_saveexec_b32 s7, s11
; %bb.16376:                            ;   in Loop: Header=BB6_14012 Depth=2
	v_or_b32_e32 v49, 0x7b, v19
; %bb.16377:                            ;   in Loop: Header=BB6_14012 Depth=2
	s_or_b32 exec_lo, exec_lo, s7
                                        ; implicit-def: $vgpr2
.LBB6_16378:                            ;   in Loop: Header=BB6_14012 Depth=2
	s_and_not1_saveexec_b32 s7, s10
	s_cbranch_execz .LBB6_16384
; %bb.16379:                            ;   in Loop: Header=BB6_14012 Depth=2
	s_mov_b32 s10, exec_lo
                                        ; implicit-def: $vgpr49
	v_cmpx_ne_u64_e32 0, v[0:1]
	s_xor_b32 s10, exec_lo, s10
; %bb.16380:                            ;   in Loop: Header=BB6_14012 Depth=2
	v_lshrrev_b32_e32 v0, 24, v2
                                        ; implicit-def: $vgpr2
	s_delay_alu instid0(VALU_DEP_1)
	v_or_b32_e32 v49, 0x7f, v0
; %bb.16381:                            ;   in Loop: Header=BB6_14012 Depth=2
	s_and_not1_saveexec_b32 s10, s10
; %bb.16382:                            ;   in Loop: Header=BB6_14012 Depth=2
	v_cmp_lt_i32_e32 vcc_lo, -1, v2
	v_cndmask_b32_e64 v49, -4, 0x7c, vcc_lo
; %bb.16383:                            ;   in Loop: Header=BB6_14012 Depth=2
	s_or_b32 exec_lo, exec_lo, s10
.LBB6_16384:                            ;   in Loop: Header=BB6_14012 Depth=2
	s_delay_alu instid0(SALU_CYCLE_1)
	s_or_b32 exec_lo, exec_lo, s7
	scratch_load_b64 v[2:3], off, s33 offset:236 ; 8-byte Folded Reload
	v_mov_b32_e32 v0, 0
	s_mov_b32 s7, exec_lo
	s_wait_loadcnt 0x0
	v_and_b32_e32 v4, 0xff, v2
	v_mov_b32_e32 v2, 0
	s_wait_xcnt 0x0
	s_delay_alu instid0(VALU_DEP_2)
	v_cmpx_ne_u16_e32 0, v4
	s_cbranch_execz .LBB6_16394
; %bb.16385:                            ;   in Loop: Header=BB6_14012 Depth=2
	v_bfrev_b32_e32 v2, 1
	s_mov_b32 s10, exec_lo
	v_cmpx_ne_u16_e32 0x80, v4
	s_cbranch_execz .LBB6_16393
; %bb.16386:                            ;   in Loop: Header=BB6_14012 Depth=2
	scratch_load_b64 v[2:3], off, s33 offset:236 ; 8-byte Folded Reload
	s_wait_loadcnt 0x0
	v_mov_b32_e32 v50, v2
	s_delay_alu instid0(VALU_DEP_1) | instskip(SKIP_1) | instid1(VALU_DEP_2)
	v_and_b32_e32 v2, 0x7c, v50
	v_and_b32_e32 v3, 3, v50
	v_cmp_ne_u32_e32 vcc_lo, 0x7c, v2
                                        ; implicit-def: $vgpr2
	s_wait_xcnt 0x0
	s_and_saveexec_b32 s11, vcc_lo
	s_delay_alu instid0(SALU_CYCLE_1)
	s_xor_b32 s11, exec_lo, s11
	s_cbranch_execz .LBB6_16390
; %bb.16387:                            ;   in Loop: Header=BB6_14012 Depth=2
	v_bfe_u32 v2, v4, 2, 5
	s_mov_b32 s28, exec_lo
	s_delay_alu instid0(VALU_DEP_1)
	v_cmpx_eq_u32_e32 0, v2
	s_cbranch_execz .LBB6_16389
; %bb.16388:                            ;   in Loop: Header=BB6_14012 Depth=2
	scratch_load_b64 v[4:5], off, s33 offset:236 th:TH_LOAD_LU ; 8-byte Folded Reload
	v_clz_i32_u32_e32 v2, v3
	s_wait_loadcnt 0x0
	v_mov_b32_e32 v5, v1
	s_delay_alu instid0(VALU_DEP_2) | instskip(NEXT) | instid1(VALU_DEP_1)
	v_min_u32_e32 v2, 32, v2
	v_subrev_nc_u32_e32 v3, 29, v2
	v_mov_b32_e32 v50, v4
	s_delay_alu instid0(VALU_DEP_2)
	v_lshlrev_b64_e32 v[4:5], v3, v[4:5]
	v_sub_nc_u32_e32 v2, 30, v2
	scratch_store_b64 off, v[50:51], s33 offset:236 ; 8-byte Folded Spill
	v_and_b32_e32 v3, 3, v4
.LBB6_16389:                            ;   in Loop: Header=BB6_14012 Depth=2
	s_wait_xcnt 0x0
	s_or_b32 exec_lo, exec_lo, s28
	scratch_load_b64 v[4:5], off, s33 offset:236 th:TH_LOAD_LU ; 8-byte Folded Reload
	s_wait_loadcnt 0x0
	v_lshlrev_b32_e32 v4, 24, v4
	s_delay_alu instid0(VALU_DEP_1) | instskip(NEXT) | instid1(VALU_DEP_1)
	v_and_b32_e32 v4, 0x80000000, v4
	v_lshl_add_u32 v2, v2, 23, v4
                                        ; implicit-def: $vgpr4
	scratch_store_b64 off, v[4:5], s33 offset:236 ; 8-byte Folded Spill
	v_lshl_or_b32 v2, v3, 21, v2
                                        ; implicit-def: $vgpr3
	s_delay_alu instid0(VALU_DEP_1)
	v_add_nc_u32_e32 v2, 0x38000000, v2
.LBB6_16390:                            ;   in Loop: Header=BB6_14012 Depth=2
	s_wait_xcnt 0x0
	s_and_not1_saveexec_b32 s11, s11
	s_cbranch_execz .LBB6_16392
; %bb.16391:                            ;   in Loop: Header=BB6_14012 Depth=2
	scratch_load_b64 v[4:5], off, s33 offset:236 th:TH_LOAD_LU ; 8-byte Folded Reload
	s_wait_loadcnt 0x0
	v_bfe_i32 v2, v4, 0, 8
	s_delay_alu instid0(VALU_DEP_1) | instskip(SKIP_1) | instid1(VALU_DEP_1)
	v_cmp_lt_i16_e32 vcc_lo, -1, v2
	v_mov_b32_e32 v2, 0x7f800000
	v_cndmask_b32_e32 v2, 0xff800000, v2, vcc_lo
	v_cmp_eq_u32_e32 vcc_lo, 0, v3
	s_delay_alu instid0(VALU_DEP_2)
	v_cndmask_b32_e32 v2, 0x7f800001, v2, vcc_lo
.LBB6_16392:                            ;   in Loop: Header=BB6_14012 Depth=2
	s_wait_xcnt 0x0
	s_or_b32 exec_lo, exec_lo, s11
.LBB6_16393:                            ;   in Loop: Header=BB6_14012 Depth=2
	s_delay_alu instid0(SALU_CYCLE_1)
	s_or_b32 exec_lo, exec_lo, s10
.LBB6_16394:                            ;   in Loop: Header=BB6_14012 Depth=2
	s_delay_alu instid0(SALU_CYCLE_1) | instskip(NEXT) | instid1(SALU_CYCLE_1)
	s_or_b32 exec_lo, exec_lo, s7
	s_mov_b32 s7, exec_lo
	s_wait_dscnt 0x2
	v_cmpx_ne_u16_e32 0, v116
	s_cbranch_execz .LBB6_16404
; %bb.16395:                            ;   in Loop: Header=BB6_14012 Depth=2
	v_bfrev_b32_e32 v0, 1
	s_mov_b32 s10, exec_lo
	v_cmpx_ne_u16_e32 0xff80, v116
	s_cbranch_execz .LBB6_16403
; %bb.16396:                            ;   in Loop: Header=BB6_14012 Depth=2
	v_and_b32_e32 v0, 0x7c, v116
	v_and_b32_e32 v3, 3, v116
	s_delay_alu instid0(VALU_DEP_2) | instskip(SKIP_1) | instid1(SALU_CYCLE_1)
	v_cmp_ne_u32_e32 vcc_lo, 0x7c, v0
                                        ; implicit-def: $vgpr0
	s_and_saveexec_b32 s11, vcc_lo
	s_xor_b32 s11, exec_lo, s11
	s_cbranch_execz .LBB6_16400
; %bb.16397:                            ;   in Loop: Header=BB6_14012 Depth=2
	v_and_b32_e32 v0, 0xff, v116
	s_mov_b32 s28, exec_lo
	s_delay_alu instid0(VALU_DEP_1) | instskip(NEXT) | instid1(VALU_DEP_1)
	v_bfe_u32 v0, v0, 2, 5
	v_cmpx_eq_u32_e32 0, v0
	s_cbranch_execz .LBB6_16399
; %bb.16398:                            ;   in Loop: Header=BB6_14012 Depth=2
	v_clz_i32_u32_e32 v0, v3
	s_delay_alu instid0(VALU_DEP_1) | instskip(SKIP_1) | instid1(VALU_DEP_2)
	v_min_u32_e32 v0, 32, v0
	v_mov_b32_e32 v117, v1
	v_subrev_nc_u32_e32 v3, 29, v0
	v_sub_nc_u32_e32 v0, 30, v0
	s_delay_alu instid0(VALU_DEP_2) | instskip(NEXT) | instid1(VALU_DEP_1)
	v_lshlrev_b64_e32 v[4:5], v3, v[116:117]
	v_and_b32_e32 v3, 3, v4
.LBB6_16399:                            ;   in Loop: Header=BB6_14012 Depth=2
	s_or_b32 exec_lo, exec_lo, s28
	v_bfe_i32 v4, v116, 0, 16
                                        ; implicit-def: $vgpr116
	s_delay_alu instid0(VALU_DEP_1) | instskip(NEXT) | instid1(VALU_DEP_1)
	v_and_b32_e32 v4, 0x80000000, v4
	v_lshl_add_u32 v0, v0, 23, v4
	s_delay_alu instid0(VALU_DEP_1) | instskip(NEXT) | instid1(VALU_DEP_1)
	v_lshl_or_b32 v0, v3, 21, v0
                                        ; implicit-def: $vgpr3
	v_add_nc_u32_e32 v0, 0x38000000, v0
.LBB6_16400:                            ;   in Loop: Header=BB6_14012 Depth=2
	s_and_not1_saveexec_b32 s11, s11
; %bb.16401:                            ;   in Loop: Header=BB6_14012 Depth=2
	v_cmp_lt_i16_e32 vcc_lo, -1, v116
	v_mov_b32_e32 v0, 0x7f800000
	s_delay_alu instid0(VALU_DEP_1) | instskip(SKIP_1) | instid1(VALU_DEP_2)
	v_cndmask_b32_e32 v0, 0xff800000, v0, vcc_lo
	v_cmp_eq_u32_e32 vcc_lo, 0, v3
	v_cndmask_b32_e32 v0, 0x7f800001, v0, vcc_lo
; %bb.16402:                            ;   in Loop: Header=BB6_14012 Depth=2
	s_or_b32 exec_lo, exec_lo, s11
.LBB6_16403:                            ;   in Loop: Header=BB6_14012 Depth=2
	s_delay_alu instid0(SALU_CYCLE_1)
	s_or_b32 exec_lo, exec_lo, s10
.LBB6_16404:                            ;   in Loop: Header=BB6_14012 Depth=2
	s_delay_alu instid0(SALU_CYCLE_1) | instskip(NEXT) | instid1(VALU_DEP_1)
	s_or_b32 exec_lo, exec_lo, s7
	v_dual_add_f32 v2, v2, v0 :: v_dual_mov_b32 v5, v1
                                        ; implicit-def: $vgpr50
	s_mov_b32 s7, exec_lo
	s_delay_alu instid0(VALU_DEP_1) | instskip(SKIP_1) | instid1(VALU_DEP_2)
	v_and_b32_e32 v4, 0x7f800000, v2
	v_and_b32_e32 v0, 0x7fffff, v2
	v_cmpx_ne_u64_e32 0x7f800000, v[4:5]
	s_xor_b32 s10, exec_lo, s7
	s_cbranch_execz .LBB6_16422
; %bb.16405:                            ;   in Loop: Header=BB6_14012 Depth=2
	v_dual_mov_b32 v5, v1 :: v_dual_lshrrev_b32 v3, 24, v2
	v_and_b32_e32 v4, 0x7fffffff, v2
                                        ; implicit-def: $vgpr50
	s_mov_b32 s7, exec_lo
	s_delay_alu instid0(VALU_DEP_2) | instskip(NEXT) | instid1(VALU_DEP_2)
	v_and_b32_e32 v19, 0x80, v3
	v_cmpx_gt_u64_e32 0x47600001, v[4:5]
	s_xor_b32 s11, exec_lo, s7
	s_cbranch_execz .LBB6_16419
; %bb.16406:                            ;   in Loop: Header=BB6_14012 Depth=2
	v_mov_b32_e32 v50, 0
	s_mov_b32 s28, exec_lo
	v_cmpx_ne_u32_e32 0, v2
	s_cbranch_execz .LBB6_16418
; %bb.16407:                            ;   in Loop: Header=BB6_14012 Depth=2
	v_bfe_u32 v50, v2, 23, 8
	v_or_b32_e32 v4, 0x800000, v0
	s_mov_b32 s29, exec_lo
	s_delay_alu instid0(VALU_DEP_2) | instskip(SKIP_1) | instid1(VALU_DEP_2)
	v_dual_mov_b32 v5, v1 :: v_dual_sub_nc_u32 v2, 0x71, v50
	v_cmp_gt_u32_e32 vcc_lo, 0x72, v50
	v_cndmask_b32_e32 v2, 0, v2, vcc_lo
	v_cmp_eq_u32_e32 vcc_lo, 0, v50
	s_delay_alu instid0(VALU_DEP_2) | instskip(NEXT) | instid1(VALU_DEP_1)
	v_cndmask_b32_e64 v51, v2, 0x70, vcc_lo
	v_dual_cndmask_b32 v4, v4, v0, vcc_lo :: v_dual_add_nc_u32 v2, 21, v51
	v_add_nc_u32_e32 v52, 20, v51
	s_delay_alu instid0(VALU_DEP_2) | instskip(NEXT) | instid1(VALU_DEP_2)
	v_lshlrev_b64_e64 v[2:3], v2, -1
	v_lshlrev_b64_e64 v[54:55], v52, 1
	s_delay_alu instid0(VALU_DEP_2) | instskip(NEXT) | instid1(VALU_DEP_3)
	v_bfi_b32 v65, v3, 0, 0
	v_bfi_b32 v64, v2, 0, v4
	v_lshrrev_b64 v[2:3], v51, v[4:5]
	s_delay_alu instid0(VALU_DEP_1) | instskip(NEXT) | instid1(VALU_DEP_3)
	v_mov_b64_e32 v[4:5], v[2:3]
	v_cmpx_eq_u64_e64 v[64:65], v[54:55]
; %bb.16408:                            ;   in Loop: Header=BB6_14012 Depth=2
	v_bfe_u32 v4, v2, 21, 1
	v_mov_b32_e32 v5, v1
	s_delay_alu instid0(VALU_DEP_1) | instskip(NEXT) | instid1(VALU_DEP_1)
	v_add_nc_u64_e32 v[4:5], v[2:3], v[4:5]
	v_add_nc_u64_e32 v[4:5], -1, v[4:5]
; %bb.16409:                            ;   in Loop: Header=BB6_14012 Depth=2
	s_or_b32 exec_lo, exec_lo, s29
	v_add_nc_u32_e32 v0, 0xffffff81, v50
	s_delay_alu instid0(VALU_DEP_2) | instskip(SKIP_2) | instid1(VALU_DEP_3)
	v_and_b32_e32 v4, 0x1fffff, v4
	v_lshrrev_b32_e32 v3, 23, v2
	s_mov_b32 s7, exec_lo
	v_cndmask_b32_e64 v0, v0, 0xffffff82, vcc_lo
	s_delay_alu instid0(VALU_DEP_1) | instskip(SKIP_1) | instid1(VALU_DEP_2)
	v_add3_u32 v5, v51, v0, v3
	v_add_nc_u32_e32 v0, v4, v2
                                        ; implicit-def: $vgpr2_vgpr3
                                        ; implicit-def: $vgpr4
	v_add_nc_u32_e32 v50, 14, v5
	s_delay_alu instid0(VALU_DEP_1)
	v_cmpx_ne_u32_e32 0, v50
	s_xor_b32 s7, exec_lo, s7
; %bb.16410:                            ;   in Loop: Header=BB6_14012 Depth=2
	s_delay_alu instid0(VALU_DEP_3) | instskip(SKIP_1) | instid1(VALU_DEP_1)
	v_cmp_lt_u64_e32 vcc_lo, 0xffffff, v[0:1]
	v_add_nc_u32_e32 v2, 15, v5
	v_cndmask_b32_e32 v4, v50, v2, vcc_lo
	v_cndmask_b32_e64 v2, 0, 1, vcc_lo
	s_delay_alu instid0(VALU_DEP_1)
	v_lshrrev_b64 v[2:3], v2, v[0:1]
; %bb.16411:                            ;   in Loop: Header=BB6_14012 Depth=2
	s_and_not1_saveexec_b32 s7, s7
; %bb.16412:                            ;   in Loop: Header=BB6_14012 Depth=2
	v_mov_b64_e32 v[2:3], v[0:1]
	v_bfe_u32 v4, v0, 23, 1
; %bb.16413:                            ;   in Loop: Header=BB6_14012 Depth=2
	s_or_b32 exec_lo, exec_lo, s7
	s_delay_alu instid0(VALU_DEP_2) | instskip(NEXT) | instid1(VALU_DEP_2)
	v_lshrrev_b64 v[2:3], 21, v[2:3]
	v_cmp_gt_i32_e32 vcc_lo, 32, v4
	v_cmp_ne_u32_e64 s7, 0, v4
                                        ; implicit-def: $vgpr50
	s_delay_alu instid0(VALU_DEP_3) | instskip(NEXT) | instid1(VALU_DEP_1)
	v_dual_cndmask_b32 v3, 0, v3 :: v_dual_cndmask_b32 v2, 3, v2
	v_cmp_ne_u64_e32 vcc_lo, 0, v[2:3]
	s_or_b32 s7, s7, vcc_lo
	s_delay_alu instid0(SALU_CYCLE_1) | instskip(NEXT) | instid1(SALU_CYCLE_1)
	s_and_saveexec_b32 s29, s7
	s_xor_b32 s7, exec_lo, s29
; %bb.16414:                            ;   in Loop: Header=BB6_14012 Depth=2
	v_min_i32_e32 v0, 31, v4
	s_delay_alu instid0(VALU_DEP_1) | instskip(NEXT) | instid1(VALU_DEP_1)
	v_lshl_or_b32 v0, v0, 2, v19
                                        ; implicit-def: $vgpr19
	v_and_or_b32 v50, v2, 3, v0
; %bb.16415:                            ;   in Loop: Header=BB6_14012 Depth=2
	s_and_not1_saveexec_b32 s7, s7
; %bb.16416:                            ;   in Loop: Header=BB6_14012 Depth=2
	v_mov_b32_e32 v50, v19
; %bb.16417:                            ;   in Loop: Header=BB6_14012 Depth=2
	s_or_b32 exec_lo, exec_lo, s7
.LBB6_16418:                            ;   in Loop: Header=BB6_14012 Depth=2
	s_delay_alu instid0(SALU_CYCLE_1)
	s_or_b32 exec_lo, exec_lo, s28
                                        ; implicit-def: $vgpr19
.LBB6_16419:                            ;   in Loop: Header=BB6_14012 Depth=2
	s_and_not1_saveexec_b32 s7, s11
; %bb.16420:                            ;   in Loop: Header=BB6_14012 Depth=2
	v_or_b32_e32 v50, 0x7b, v19
; %bb.16421:                            ;   in Loop: Header=BB6_14012 Depth=2
	s_or_b32 exec_lo, exec_lo, s7
                                        ; implicit-def: $vgpr2
.LBB6_16422:                            ;   in Loop: Header=BB6_14012 Depth=2
	s_and_not1_saveexec_b32 s7, s10
	s_cbranch_execz .LBB6_16428
; %bb.16423:                            ;   in Loop: Header=BB6_14012 Depth=2
	s_mov_b32 s10, exec_lo
                                        ; implicit-def: $vgpr50
	v_cmpx_ne_u64_e32 0, v[0:1]
	s_xor_b32 s10, exec_lo, s10
; %bb.16424:                            ;   in Loop: Header=BB6_14012 Depth=2
	v_lshrrev_b32_e32 v0, 24, v2
                                        ; implicit-def: $vgpr2
	s_delay_alu instid0(VALU_DEP_1)
	v_or_b32_e32 v50, 0x7f, v0
; %bb.16425:                            ;   in Loop: Header=BB6_14012 Depth=2
	s_and_not1_saveexec_b32 s10, s10
; %bb.16426:                            ;   in Loop: Header=BB6_14012 Depth=2
	v_cmp_lt_i32_e32 vcc_lo, -1, v2
	v_cndmask_b32_e64 v50, -4, 0x7c, vcc_lo
; %bb.16427:                            ;   in Loop: Header=BB6_14012 Depth=2
	s_or_b32 exec_lo, exec_lo, s10
.LBB6_16428:                            ;   in Loop: Header=BB6_14012 Depth=2
	s_delay_alu instid0(SALU_CYCLE_1)
	s_or_b32 exec_lo, exec_lo, s7
	scratch_load_b64 v[2:3], off, s33 offset:228 ; 8-byte Folded Reload
	v_mov_b32_e32 v0, 0
	s_mov_b32 s7, exec_lo
	s_wait_loadcnt 0x0
	v_and_b32_e32 v4, 0xff, v2
	v_mov_b32_e32 v2, 0
	s_wait_xcnt 0x0
	s_delay_alu instid0(VALU_DEP_2)
	v_cmpx_ne_u16_e32 0, v4
	s_cbranch_execz .LBB6_16438
; %bb.16429:                            ;   in Loop: Header=BB6_14012 Depth=2
	v_bfrev_b32_e32 v2, 1
	s_mov_b32 s10, exec_lo
	v_cmpx_ne_u16_e32 0x80, v4
	s_cbranch_execz .LBB6_16437
; %bb.16430:                            ;   in Loop: Header=BB6_14012 Depth=2
	scratch_load_b64 v[2:3], off, s33 offset:228 ; 8-byte Folded Reload
	s_wait_loadcnt 0x0
	v_mov_b32_e32 v52, v2
	s_delay_alu instid0(VALU_DEP_1) | instskip(SKIP_1) | instid1(VALU_DEP_2)
	v_and_b32_e32 v2, 0x7c, v52
	v_and_b32_e32 v3, 3, v52
	v_cmp_ne_u32_e32 vcc_lo, 0x7c, v2
                                        ; implicit-def: $vgpr2
	s_wait_xcnt 0x0
	s_and_saveexec_b32 s11, vcc_lo
	s_delay_alu instid0(SALU_CYCLE_1)
	s_xor_b32 s11, exec_lo, s11
	s_cbranch_execz .LBB6_16434
; %bb.16431:                            ;   in Loop: Header=BB6_14012 Depth=2
	v_bfe_u32 v2, v4, 2, 5
	s_mov_b32 s28, exec_lo
	s_delay_alu instid0(VALU_DEP_1)
	v_cmpx_eq_u32_e32 0, v2
	s_cbranch_execz .LBB6_16433
; %bb.16432:                            ;   in Loop: Header=BB6_14012 Depth=2
	scratch_load_b64 v[4:5], off, s33 offset:228 th:TH_LOAD_LU ; 8-byte Folded Reload
	v_clz_i32_u32_e32 v2, v3
	s_wait_loadcnt 0x0
	v_mov_b32_e32 v5, v1
	s_delay_alu instid0(VALU_DEP_2) | instskip(NEXT) | instid1(VALU_DEP_1)
	v_min_u32_e32 v2, 32, v2
	v_subrev_nc_u32_e32 v3, 29, v2
	v_mov_b32_e32 v52, v4
	s_delay_alu instid0(VALU_DEP_2)
	v_lshlrev_b64_e32 v[4:5], v3, v[4:5]
	v_sub_nc_u32_e32 v2, 30, v2
	scratch_store_b64 off, v[52:53], s33 offset:228 ; 8-byte Folded Spill
	v_and_b32_e32 v3, 3, v4
.LBB6_16433:                            ;   in Loop: Header=BB6_14012 Depth=2
	s_wait_xcnt 0x0
	s_or_b32 exec_lo, exec_lo, s28
	scratch_load_b64 v[4:5], off, s33 offset:228 th:TH_LOAD_LU ; 8-byte Folded Reload
	s_wait_loadcnt 0x0
	v_lshlrev_b32_e32 v4, 24, v4
	s_delay_alu instid0(VALU_DEP_1) | instskip(NEXT) | instid1(VALU_DEP_1)
	v_and_b32_e32 v4, 0x80000000, v4
	v_lshl_add_u32 v2, v2, 23, v4
                                        ; implicit-def: $vgpr4
	scratch_store_b64 off, v[4:5], s33 offset:228 ; 8-byte Folded Spill
	v_lshl_or_b32 v2, v3, 21, v2
                                        ; implicit-def: $vgpr3
	s_delay_alu instid0(VALU_DEP_1)
	v_add_nc_u32_e32 v2, 0x38000000, v2
.LBB6_16434:                            ;   in Loop: Header=BB6_14012 Depth=2
	s_wait_xcnt 0x0
	s_and_not1_saveexec_b32 s11, s11
	s_cbranch_execz .LBB6_16436
; %bb.16435:                            ;   in Loop: Header=BB6_14012 Depth=2
	scratch_load_b64 v[4:5], off, s33 offset:228 th:TH_LOAD_LU ; 8-byte Folded Reload
	s_wait_loadcnt 0x0
	v_bfe_i32 v2, v4, 0, 8
	s_delay_alu instid0(VALU_DEP_1) | instskip(SKIP_1) | instid1(VALU_DEP_1)
	v_cmp_lt_i16_e32 vcc_lo, -1, v2
	v_mov_b32_e32 v2, 0x7f800000
	v_cndmask_b32_e32 v2, 0xff800000, v2, vcc_lo
	v_cmp_eq_u32_e32 vcc_lo, 0, v3
	s_delay_alu instid0(VALU_DEP_2)
	v_cndmask_b32_e32 v2, 0x7f800001, v2, vcc_lo
.LBB6_16436:                            ;   in Loop: Header=BB6_14012 Depth=2
	s_wait_xcnt 0x0
	s_or_b32 exec_lo, exec_lo, s11
.LBB6_16437:                            ;   in Loop: Header=BB6_14012 Depth=2
	s_delay_alu instid0(SALU_CYCLE_1)
	s_or_b32 exec_lo, exec_lo, s10
.LBB6_16438:                            ;   in Loop: Header=BB6_14012 Depth=2
	s_delay_alu instid0(SALU_CYCLE_1) | instskip(NEXT) | instid1(SALU_CYCLE_1)
	s_or_b32 exec_lo, exec_lo, s7
	s_mov_b32 s7, exec_lo
	s_wait_dscnt 0x1
	v_cmpx_ne_u16_e32 0, v98
	s_cbranch_execz .LBB6_16448
; %bb.16439:                            ;   in Loop: Header=BB6_14012 Depth=2
	v_bfrev_b32_e32 v0, 1
	s_mov_b32 s10, exec_lo
	v_cmpx_ne_u16_e32 0xff80, v98
	s_cbranch_execz .LBB6_16447
; %bb.16440:                            ;   in Loop: Header=BB6_14012 Depth=2
	v_and_b32_e32 v0, 0x7c, v98
	v_and_b32_e32 v3, 3, v98
	s_delay_alu instid0(VALU_DEP_2) | instskip(SKIP_1) | instid1(SALU_CYCLE_1)
	v_cmp_ne_u32_e32 vcc_lo, 0x7c, v0
                                        ; implicit-def: $vgpr0
	s_and_saveexec_b32 s11, vcc_lo
	s_xor_b32 s11, exec_lo, s11
	s_cbranch_execz .LBB6_16444
; %bb.16441:                            ;   in Loop: Header=BB6_14012 Depth=2
	v_and_b32_e32 v0, 0xff, v98
	s_mov_b32 s28, exec_lo
	s_delay_alu instid0(VALU_DEP_1) | instskip(NEXT) | instid1(VALU_DEP_1)
	v_bfe_u32 v0, v0, 2, 5
	v_cmpx_eq_u32_e32 0, v0
	s_cbranch_execz .LBB6_16443
; %bb.16442:                            ;   in Loop: Header=BB6_14012 Depth=2
	v_clz_i32_u32_e32 v0, v3
	v_dual_mov_b32 v19, v99 :: v_dual_mov_b32 v99, v1
	s_delay_alu instid0(VALU_DEP_2) | instskip(NEXT) | instid1(VALU_DEP_1)
	v_min_u32_e32 v0, 32, v0
	v_subrev_nc_u32_e32 v3, 29, v0
	v_sub_nc_u32_e32 v0, 30, v0
	s_delay_alu instid0(VALU_DEP_2) | instskip(NEXT) | instid1(VALU_DEP_1)
	v_lshlrev_b64_e32 v[4:5], v3, v[98:99]
	v_dual_mov_b32 v99, v19 :: v_dual_bitop2_b32 v3, 3, v4 bitop3:0x40
.LBB6_16443:                            ;   in Loop: Header=BB6_14012 Depth=2
	s_or_b32 exec_lo, exec_lo, s28
	v_bfe_i32 v4, v98, 0, 16
                                        ; implicit-def: $vgpr98
	s_delay_alu instid0(VALU_DEP_1) | instskip(NEXT) | instid1(VALU_DEP_1)
	v_and_b32_e32 v4, 0x80000000, v4
	v_lshl_add_u32 v0, v0, 23, v4
	s_delay_alu instid0(VALU_DEP_1) | instskip(NEXT) | instid1(VALU_DEP_1)
	v_lshl_or_b32 v0, v3, 21, v0
                                        ; implicit-def: $vgpr3
	v_add_nc_u32_e32 v0, 0x38000000, v0
.LBB6_16444:                            ;   in Loop: Header=BB6_14012 Depth=2
	s_and_not1_saveexec_b32 s11, s11
; %bb.16445:                            ;   in Loop: Header=BB6_14012 Depth=2
	v_cmp_lt_i16_e32 vcc_lo, -1, v98
	v_mov_b32_e32 v0, 0x7f800000
	s_delay_alu instid0(VALU_DEP_1) | instskip(SKIP_1) | instid1(VALU_DEP_2)
	v_cndmask_b32_e32 v0, 0xff800000, v0, vcc_lo
	v_cmp_eq_u32_e32 vcc_lo, 0, v3
	v_cndmask_b32_e32 v0, 0x7f800001, v0, vcc_lo
; %bb.16446:                            ;   in Loop: Header=BB6_14012 Depth=2
	s_or_b32 exec_lo, exec_lo, s11
.LBB6_16447:                            ;   in Loop: Header=BB6_14012 Depth=2
	s_delay_alu instid0(SALU_CYCLE_1)
	s_or_b32 exec_lo, exec_lo, s10
.LBB6_16448:                            ;   in Loop: Header=BB6_14012 Depth=2
	s_delay_alu instid0(SALU_CYCLE_1) | instskip(NEXT) | instid1(VALU_DEP_1)
	s_or_b32 exec_lo, exec_lo, s7
	v_dual_add_f32 v2, v2, v0 :: v_dual_mov_b32 v5, v1
                                        ; implicit-def: $vgpr51
	s_mov_b32 s7, exec_lo
	s_delay_alu instid0(VALU_DEP_1) | instskip(SKIP_1) | instid1(VALU_DEP_2)
	v_and_b32_e32 v4, 0x7f800000, v2
	v_and_b32_e32 v0, 0x7fffff, v2
	v_cmpx_ne_u64_e32 0x7f800000, v[4:5]
	s_xor_b32 s10, exec_lo, s7
	s_cbranch_execz .LBB6_16466
; %bb.16449:                            ;   in Loop: Header=BB6_14012 Depth=2
	v_dual_mov_b32 v5, v1 :: v_dual_lshrrev_b32 v3, 24, v2
	v_and_b32_e32 v4, 0x7fffffff, v2
                                        ; implicit-def: $vgpr51
	s_mov_b32 s7, exec_lo
	s_delay_alu instid0(VALU_DEP_2) | instskip(NEXT) | instid1(VALU_DEP_2)
	v_and_b32_e32 v19, 0x80, v3
	v_cmpx_gt_u64_e32 0x47600001, v[4:5]
	s_xor_b32 s11, exec_lo, s7
	s_cbranch_execz .LBB6_16463
; %bb.16450:                            ;   in Loop: Header=BB6_14012 Depth=2
	v_mov_b32_e32 v51, 0
	s_mov_b32 s28, exec_lo
	v_cmpx_ne_u32_e32 0, v2
	s_cbranch_execz .LBB6_16462
; %bb.16451:                            ;   in Loop: Header=BB6_14012 Depth=2
	v_bfe_u32 v51, v2, 23, 8
	v_or_b32_e32 v4, 0x800000, v0
	s_mov_b32 s29, exec_lo
	s_delay_alu instid0(VALU_DEP_2) | instskip(SKIP_1) | instid1(VALU_DEP_2)
	v_dual_mov_b32 v5, v1 :: v_dual_sub_nc_u32 v2, 0x71, v51
	v_cmp_gt_u32_e32 vcc_lo, 0x72, v51
	v_cndmask_b32_e32 v2, 0, v2, vcc_lo
	v_cmp_eq_u32_e32 vcc_lo, 0, v51
	s_delay_alu instid0(VALU_DEP_2) | instskip(SKIP_1) | instid1(VALU_DEP_2)
	v_cndmask_b32_e64 v52, v2, 0x70, vcc_lo
	v_cndmask_b32_e32 v4, v4, v0, vcc_lo
	v_dual_add_nc_u32 v2, 21, v52 :: v_dual_add_nc_u32 v54, 20, v52
	s_delay_alu instid0(VALU_DEP_1) | instskip(NEXT) | instid1(VALU_DEP_2)
	v_lshlrev_b64_e64 v[2:3], v2, -1
	v_lshlrev_b64_e64 v[54:55], v54, 1
	s_delay_alu instid0(VALU_DEP_2) | instskip(NEXT) | instid1(VALU_DEP_3)
	v_bfi_b32 v65, v3, 0, 0
	v_bfi_b32 v64, v2, 0, v4
	v_lshrrev_b64 v[2:3], v52, v[4:5]
	s_delay_alu instid0(VALU_DEP_1) | instskip(NEXT) | instid1(VALU_DEP_3)
	v_mov_b64_e32 v[4:5], v[2:3]
	v_cmpx_eq_u64_e64 v[64:65], v[54:55]
; %bb.16452:                            ;   in Loop: Header=BB6_14012 Depth=2
	v_bfe_u32 v4, v2, 21, 1
	v_mov_b32_e32 v5, v1
	s_delay_alu instid0(VALU_DEP_1) | instskip(NEXT) | instid1(VALU_DEP_1)
	v_add_nc_u64_e32 v[4:5], v[2:3], v[4:5]
	v_add_nc_u64_e32 v[4:5], -1, v[4:5]
; %bb.16453:                            ;   in Loop: Header=BB6_14012 Depth=2
	s_or_b32 exec_lo, exec_lo, s29
	v_add_nc_u32_e32 v0, 0xffffff81, v51
	s_delay_alu instid0(VALU_DEP_2) | instskip(SKIP_2) | instid1(VALU_DEP_3)
	v_and_b32_e32 v4, 0x1fffff, v4
	v_lshrrev_b32_e32 v3, 23, v2
	s_mov_b32 s7, exec_lo
	v_cndmask_b32_e64 v0, v0, 0xffffff82, vcc_lo
	s_delay_alu instid0(VALU_DEP_1) | instskip(SKIP_1) | instid1(VALU_DEP_2)
	v_add3_u32 v5, v52, v0, v3
	v_add_nc_u32_e32 v0, v4, v2
                                        ; implicit-def: $vgpr2_vgpr3
                                        ; implicit-def: $vgpr4
	v_add_nc_u32_e32 v51, 14, v5
	s_delay_alu instid0(VALU_DEP_1)
	v_cmpx_ne_u32_e32 0, v51
	s_xor_b32 s7, exec_lo, s7
; %bb.16454:                            ;   in Loop: Header=BB6_14012 Depth=2
	s_delay_alu instid0(VALU_DEP_3) | instskip(SKIP_1) | instid1(VALU_DEP_1)
	v_cmp_lt_u64_e32 vcc_lo, 0xffffff, v[0:1]
	v_add_nc_u32_e32 v2, 15, v5
	v_cndmask_b32_e32 v4, v51, v2, vcc_lo
	v_cndmask_b32_e64 v2, 0, 1, vcc_lo
	s_delay_alu instid0(VALU_DEP_1)
	v_lshrrev_b64 v[2:3], v2, v[0:1]
; %bb.16455:                            ;   in Loop: Header=BB6_14012 Depth=2
	s_and_not1_saveexec_b32 s7, s7
; %bb.16456:                            ;   in Loop: Header=BB6_14012 Depth=2
	v_mov_b64_e32 v[2:3], v[0:1]
	v_bfe_u32 v4, v0, 23, 1
; %bb.16457:                            ;   in Loop: Header=BB6_14012 Depth=2
	s_or_b32 exec_lo, exec_lo, s7
	s_delay_alu instid0(VALU_DEP_2) | instskip(NEXT) | instid1(VALU_DEP_2)
	v_lshrrev_b64 v[2:3], 21, v[2:3]
	v_cmp_gt_i32_e32 vcc_lo, 32, v4
	v_cmp_ne_u32_e64 s7, 0, v4
                                        ; implicit-def: $vgpr51
	s_delay_alu instid0(VALU_DEP_3) | instskip(NEXT) | instid1(VALU_DEP_1)
	v_dual_cndmask_b32 v3, 0, v3 :: v_dual_cndmask_b32 v2, 3, v2
	v_cmp_ne_u64_e32 vcc_lo, 0, v[2:3]
	s_or_b32 s7, s7, vcc_lo
	s_delay_alu instid0(SALU_CYCLE_1) | instskip(NEXT) | instid1(SALU_CYCLE_1)
	s_and_saveexec_b32 s29, s7
	s_xor_b32 s7, exec_lo, s29
; %bb.16458:                            ;   in Loop: Header=BB6_14012 Depth=2
	v_min_i32_e32 v0, 31, v4
	s_delay_alu instid0(VALU_DEP_1) | instskip(NEXT) | instid1(VALU_DEP_1)
	v_lshl_or_b32 v0, v0, 2, v19
                                        ; implicit-def: $vgpr19
	v_and_or_b32 v51, v2, 3, v0
; %bb.16459:                            ;   in Loop: Header=BB6_14012 Depth=2
	s_and_not1_saveexec_b32 s7, s7
; %bb.16460:                            ;   in Loop: Header=BB6_14012 Depth=2
	v_mov_b32_e32 v51, v19
; %bb.16461:                            ;   in Loop: Header=BB6_14012 Depth=2
	s_or_b32 exec_lo, exec_lo, s7
.LBB6_16462:                            ;   in Loop: Header=BB6_14012 Depth=2
	s_delay_alu instid0(SALU_CYCLE_1)
	s_or_b32 exec_lo, exec_lo, s28
                                        ; implicit-def: $vgpr19
.LBB6_16463:                            ;   in Loop: Header=BB6_14012 Depth=2
	s_and_not1_saveexec_b32 s7, s11
; %bb.16464:                            ;   in Loop: Header=BB6_14012 Depth=2
	v_or_b32_e32 v51, 0x7b, v19
; %bb.16465:                            ;   in Loop: Header=BB6_14012 Depth=2
	s_or_b32 exec_lo, exec_lo, s7
                                        ; implicit-def: $vgpr2
.LBB6_16466:                            ;   in Loop: Header=BB6_14012 Depth=2
	s_and_not1_saveexec_b32 s7, s10
	s_cbranch_execz .LBB6_16472
; %bb.16467:                            ;   in Loop: Header=BB6_14012 Depth=2
	s_mov_b32 s10, exec_lo
                                        ; implicit-def: $vgpr51
	v_cmpx_ne_u64_e32 0, v[0:1]
	s_xor_b32 s10, exec_lo, s10
; %bb.16468:                            ;   in Loop: Header=BB6_14012 Depth=2
	v_lshrrev_b32_e32 v0, 24, v2
                                        ; implicit-def: $vgpr2
	s_delay_alu instid0(VALU_DEP_1)
	v_or_b32_e32 v51, 0x7f, v0
; %bb.16469:                            ;   in Loop: Header=BB6_14012 Depth=2
	s_and_not1_saveexec_b32 s10, s10
; %bb.16470:                            ;   in Loop: Header=BB6_14012 Depth=2
	v_cmp_lt_i32_e32 vcc_lo, -1, v2
	v_cndmask_b32_e64 v51, -4, 0x7c, vcc_lo
; %bb.16471:                            ;   in Loop: Header=BB6_14012 Depth=2
	s_or_b32 exec_lo, exec_lo, s10
.LBB6_16472:                            ;   in Loop: Header=BB6_14012 Depth=2
	s_delay_alu instid0(SALU_CYCLE_1) | instskip(SKIP_3) | instid1(VALU_DEP_2)
	s_or_b32 exec_lo, exec_lo, s7
	v_and_b32_e32 v4, 0xff, v96
	v_dual_mov_b32 v0, 0 :: v_dual_mov_b32 v2, 0
	s_mov_b32 s7, exec_lo
	v_cmpx_ne_u16_e32 0, v4
	s_cbranch_execz .LBB6_16482
; %bb.16473:                            ;   in Loop: Header=BB6_14012 Depth=2
	v_bfrev_b32_e32 v2, 1
	s_mov_b32 s10, exec_lo
	v_cmpx_ne_u16_e32 0x80, v4
	s_cbranch_execz .LBB6_16481
; %bb.16474:                            ;   in Loop: Header=BB6_14012 Depth=2
	v_and_b32_e32 v2, 0x7c, v96
	v_and_b32_e32 v3, 3, v96
	s_delay_alu instid0(VALU_DEP_2) | instskip(SKIP_1) | instid1(SALU_CYCLE_1)
	v_cmp_ne_u32_e32 vcc_lo, 0x7c, v2
                                        ; implicit-def: $vgpr2
	s_and_saveexec_b32 s11, vcc_lo
	s_xor_b32 s11, exec_lo, s11
	s_cbranch_execz .LBB6_16478
; %bb.16475:                            ;   in Loop: Header=BB6_14012 Depth=2
	v_bfe_u32 v2, v4, 2, 5
	s_mov_b32 s28, exec_lo
	s_delay_alu instid0(VALU_DEP_1)
	v_cmpx_eq_u32_e32 0, v2
	s_cbranch_execz .LBB6_16477
; %bb.16476:                            ;   in Loop: Header=BB6_14012 Depth=2
	v_clz_i32_u32_e32 v2, v3
	s_delay_alu instid0(VALU_DEP_1) | instskip(SKIP_1) | instid1(VALU_DEP_2)
	v_min_u32_e32 v2, 32, v2
	v_mov_b32_e32 v97, v1
	v_subrev_nc_u32_e32 v3, 29, v2
	v_sub_nc_u32_e32 v2, 30, v2
	s_delay_alu instid0(VALU_DEP_2) | instskip(NEXT) | instid1(VALU_DEP_1)
	v_lshlrev_b64_e32 v[4:5], v3, v[96:97]
	v_and_b32_e32 v3, 3, v4
.LBB6_16477:                            ;   in Loop: Header=BB6_14012 Depth=2
	s_or_b32 exec_lo, exec_lo, s28
	v_lshlrev_b32_e32 v4, 24, v96
                                        ; implicit-def: $vgpr96
	s_delay_alu instid0(VALU_DEP_1) | instskip(NEXT) | instid1(VALU_DEP_1)
	v_and_b32_e32 v4, 0x80000000, v4
	v_lshl_add_u32 v2, v2, 23, v4
	s_delay_alu instid0(VALU_DEP_1) | instskip(NEXT) | instid1(VALU_DEP_1)
	v_lshl_or_b32 v2, v3, 21, v2
                                        ; implicit-def: $vgpr3
	v_add_nc_u32_e32 v2, 0x38000000, v2
.LBB6_16478:                            ;   in Loop: Header=BB6_14012 Depth=2
	s_and_not1_saveexec_b32 s11, s11
; %bb.16479:                            ;   in Loop: Header=BB6_14012 Depth=2
	v_bfe_i32 v2, v96, 0, 8
	s_delay_alu instid0(VALU_DEP_1) | instskip(SKIP_1) | instid1(VALU_DEP_1)
	v_cmp_lt_i16_e32 vcc_lo, -1, v2
	v_mov_b32_e32 v2, 0x7f800000
	v_cndmask_b32_e32 v2, 0xff800000, v2, vcc_lo
	v_cmp_eq_u32_e32 vcc_lo, 0, v3
	s_delay_alu instid0(VALU_DEP_2)
	v_cndmask_b32_e32 v2, 0x7f800001, v2, vcc_lo
; %bb.16480:                            ;   in Loop: Header=BB6_14012 Depth=2
	s_or_b32 exec_lo, exec_lo, s11
.LBB6_16481:                            ;   in Loop: Header=BB6_14012 Depth=2
	s_delay_alu instid0(SALU_CYCLE_1)
	s_or_b32 exec_lo, exec_lo, s10
.LBB6_16482:                            ;   in Loop: Header=BB6_14012 Depth=2
	s_delay_alu instid0(SALU_CYCLE_1) | instskip(NEXT) | instid1(SALU_CYCLE_1)
	s_or_b32 exec_lo, exec_lo, s7
	s_mov_b32 s7, exec_lo
	s_wait_dscnt 0x0
	v_cmpx_ne_u16_e32 0, v18
	s_cbranch_execz .LBB6_16492
; %bb.16483:                            ;   in Loop: Header=BB6_14012 Depth=2
	v_bfrev_b32_e32 v0, 1
	s_mov_b32 s10, exec_lo
	v_cmpx_ne_u16_e32 0xff80, v18
	s_cbranch_execz .LBB6_16491
; %bb.16484:                            ;   in Loop: Header=BB6_14012 Depth=2
	v_and_b32_e32 v0, 0x7c, v18
	v_and_b32_e32 v3, 3, v18
	s_delay_alu instid0(VALU_DEP_2) | instskip(SKIP_1) | instid1(SALU_CYCLE_1)
	v_cmp_ne_u32_e32 vcc_lo, 0x7c, v0
                                        ; implicit-def: $vgpr0
	s_and_saveexec_b32 s11, vcc_lo
	s_xor_b32 s11, exec_lo, s11
	s_cbranch_execz .LBB6_16488
; %bb.16485:                            ;   in Loop: Header=BB6_14012 Depth=2
	v_and_b32_e32 v0, 0xff, v18
	s_mov_b32 s28, exec_lo
	s_delay_alu instid0(VALU_DEP_1) | instskip(NEXT) | instid1(VALU_DEP_1)
	v_bfe_u32 v0, v0, 2, 5
	v_cmpx_eq_u32_e32 0, v0
	s_cbranch_execz .LBB6_16487
; %bb.16486:                            ;   in Loop: Header=BB6_14012 Depth=2
	v_clz_i32_u32_e32 v0, v3
	s_delay_alu instid0(VALU_DEP_1) | instskip(SKIP_1) | instid1(VALU_DEP_2)
	v_min_u32_e32 v0, 32, v0
	v_mov_b32_e32 v19, v1
	v_subrev_nc_u32_e32 v3, 29, v0
	v_sub_nc_u32_e32 v0, 30, v0
	s_delay_alu instid0(VALU_DEP_2) | instskip(NEXT) | instid1(VALU_DEP_1)
	v_lshlrev_b64_e32 v[4:5], v3, v[18:19]
	v_and_b32_e32 v3, 3, v4
.LBB6_16487:                            ;   in Loop: Header=BB6_14012 Depth=2
	s_or_b32 exec_lo, exec_lo, s28
	v_bfe_i32 v4, v18, 0, 16
                                        ; implicit-def: $vgpr18
	s_delay_alu instid0(VALU_DEP_1) | instskip(NEXT) | instid1(VALU_DEP_1)
	v_and_b32_e32 v4, 0x80000000, v4
	v_lshl_add_u32 v0, v0, 23, v4
	s_delay_alu instid0(VALU_DEP_1) | instskip(NEXT) | instid1(VALU_DEP_1)
	v_lshl_or_b32 v0, v3, 21, v0
                                        ; implicit-def: $vgpr3
	v_add_nc_u32_e32 v0, 0x38000000, v0
.LBB6_16488:                            ;   in Loop: Header=BB6_14012 Depth=2
	s_and_not1_saveexec_b32 s11, s11
; %bb.16489:                            ;   in Loop: Header=BB6_14012 Depth=2
	v_cmp_lt_i16_e32 vcc_lo, -1, v18
	v_mov_b32_e32 v0, 0x7f800000
	s_delay_alu instid0(VALU_DEP_1) | instskip(SKIP_1) | instid1(VALU_DEP_2)
	v_cndmask_b32_e32 v0, 0xff800000, v0, vcc_lo
	v_cmp_eq_u32_e32 vcc_lo, 0, v3
	v_cndmask_b32_e32 v0, 0x7f800001, v0, vcc_lo
; %bb.16490:                            ;   in Loop: Header=BB6_14012 Depth=2
	s_or_b32 exec_lo, exec_lo, s11
.LBB6_16491:                            ;   in Loop: Header=BB6_14012 Depth=2
	s_delay_alu instid0(SALU_CYCLE_1)
	s_or_b32 exec_lo, exec_lo, s10
.LBB6_16492:                            ;   in Loop: Header=BB6_14012 Depth=2
	s_delay_alu instid0(SALU_CYCLE_1) | instskip(NEXT) | instid1(VALU_DEP_1)
	s_or_b32 exec_lo, exec_lo, s7
	v_dual_add_f32 v2, v2, v0 :: v_dual_mov_b32 v5, v1
                                        ; implicit-def: $vgpr3
	s_mov_b32 s7, exec_lo
	s_delay_alu instid0(VALU_DEP_1) | instskip(SKIP_1) | instid1(VALU_DEP_2)
	v_and_b32_e32 v4, 0x7f800000, v2
	v_and_b32_e32 v0, 0x7fffff, v2
	v_cmpx_ne_u64_e32 0x7f800000, v[4:5]
	s_xor_b32 s10, exec_lo, s7
	s_cbranch_execz .LBB6_16510
; %bb.16493:                            ;   in Loop: Header=BB6_14012 Depth=2
	v_dual_mov_b32 v5, v1 :: v_dual_lshrrev_b32 v3, 24, v2
	v_and_b32_e32 v4, 0x7fffffff, v2
	s_mov_b32 s7, exec_lo
	s_delay_alu instid0(VALU_DEP_2) | instskip(NEXT) | instid1(VALU_DEP_2)
	v_and_b32_e32 v18, 0x80, v3
                                        ; implicit-def: $vgpr3
	v_cmpx_gt_u64_e32 0x47600001, v[4:5]
	s_xor_b32 s11, exec_lo, s7
	s_cbranch_execz .LBB6_16507
; %bb.16494:                            ;   in Loop: Header=BB6_14012 Depth=2
	v_mov_b32_e32 v3, 0
	s_mov_b32 s28, exec_lo
	v_cmpx_ne_u32_e32 0, v2
	s_cbranch_execz .LBB6_16506
; %bb.16495:                            ;   in Loop: Header=BB6_14012 Depth=2
	v_bfe_u32 v19, v2, 23, 8
	v_or_b32_e32 v4, 0x800000, v0
	s_mov_b32 s29, exec_lo
	s_delay_alu instid0(VALU_DEP_2) | instskip(SKIP_1) | instid1(VALU_DEP_2)
	v_dual_mov_b32 v5, v1 :: v_dual_sub_nc_u32 v2, 0x71, v19
	v_cmp_gt_u32_e32 vcc_lo, 0x72, v19
	v_cndmask_b32_e32 v2, 0, v2, vcc_lo
	v_cmp_eq_u32_e32 vcc_lo, 0, v19
	s_delay_alu instid0(VALU_DEP_2) | instskip(SKIP_1) | instid1(VALU_DEP_2)
	v_cndmask_b32_e64 v52, v2, 0x70, vcc_lo
	v_cndmask_b32_e32 v4, v4, v0, vcc_lo
	v_dual_add_nc_u32 v2, 21, v52 :: v_dual_add_nc_u32 v54, 20, v52
	s_delay_alu instid0(VALU_DEP_1) | instskip(NEXT) | instid1(VALU_DEP_2)
	v_lshlrev_b64_e64 v[2:3], v2, -1
	v_lshlrev_b64_e64 v[54:55], v54, 1
	s_delay_alu instid0(VALU_DEP_2) | instskip(NEXT) | instid1(VALU_DEP_3)
	v_bfi_b32 v65, v3, 0, 0
	v_bfi_b32 v64, v2, 0, v4
	v_lshrrev_b64 v[2:3], v52, v[4:5]
	s_delay_alu instid0(VALU_DEP_1) | instskip(NEXT) | instid1(VALU_DEP_3)
	v_mov_b64_e32 v[4:5], v[2:3]
	v_cmpx_eq_u64_e64 v[64:65], v[54:55]
; %bb.16496:                            ;   in Loop: Header=BB6_14012 Depth=2
	v_bfe_u32 v4, v2, 21, 1
	v_mov_b32_e32 v5, v1
	s_delay_alu instid0(VALU_DEP_1) | instskip(NEXT) | instid1(VALU_DEP_1)
	v_add_nc_u64_e32 v[4:5], v[2:3], v[4:5]
	v_add_nc_u64_e32 v[4:5], -1, v[4:5]
; %bb.16497:                            ;   in Loop: Header=BB6_14012 Depth=2
	s_or_b32 exec_lo, exec_lo, s29
	v_add_nc_u32_e32 v0, 0xffffff81, v19
	s_delay_alu instid0(VALU_DEP_2) | instskip(SKIP_2) | instid1(VALU_DEP_3)
	v_and_b32_e32 v4, 0x1fffff, v4
	v_lshrrev_b32_e32 v3, 23, v2
	s_mov_b32 s7, exec_lo
	v_cndmask_b32_e64 v0, v0, 0xffffff82, vcc_lo
	s_delay_alu instid0(VALU_DEP_1) | instskip(SKIP_1) | instid1(VALU_DEP_2)
	v_add3_u32 v5, v52, v0, v3
	v_add_nc_u32_e32 v0, v4, v2
                                        ; implicit-def: $vgpr2_vgpr3
                                        ; implicit-def: $vgpr4
	v_add_nc_u32_e32 v19, 14, v5
	s_delay_alu instid0(VALU_DEP_1)
	v_cmpx_ne_u32_e32 0, v19
	s_xor_b32 s7, exec_lo, s7
; %bb.16498:                            ;   in Loop: Header=BB6_14012 Depth=2
	s_delay_alu instid0(VALU_DEP_3) | instskip(SKIP_1) | instid1(VALU_DEP_1)
	v_cmp_lt_u64_e32 vcc_lo, 0xffffff, v[0:1]
	v_add_nc_u32_e32 v2, 15, v5
	v_cndmask_b32_e32 v4, v19, v2, vcc_lo
	v_cndmask_b32_e64 v2, 0, 1, vcc_lo
	s_delay_alu instid0(VALU_DEP_1)
	v_lshrrev_b64 v[2:3], v2, v[0:1]
; %bb.16499:                            ;   in Loop: Header=BB6_14012 Depth=2
	s_and_not1_saveexec_b32 s7, s7
; %bb.16500:                            ;   in Loop: Header=BB6_14012 Depth=2
	v_mov_b64_e32 v[2:3], v[0:1]
	v_bfe_u32 v4, v0, 23, 1
; %bb.16501:                            ;   in Loop: Header=BB6_14012 Depth=2
	s_or_b32 exec_lo, exec_lo, s7
	s_delay_alu instid0(VALU_DEP_2) | instskip(NEXT) | instid1(VALU_DEP_2)
	v_lshrrev_b64 v[2:3], 21, v[2:3]
	v_cmp_gt_i32_e32 vcc_lo, 32, v4
	v_cmp_ne_u32_e64 s7, 0, v4
	s_delay_alu instid0(VALU_DEP_3) | instskip(NEXT) | instid1(VALU_DEP_1)
	v_dual_cndmask_b32 v3, 0, v3 :: v_dual_cndmask_b32 v2, 3, v2
	v_cmp_ne_u64_e32 vcc_lo, 0, v[2:3]
                                        ; implicit-def: $vgpr3
	s_or_b32 s7, s7, vcc_lo
	s_delay_alu instid0(SALU_CYCLE_1) | instskip(NEXT) | instid1(SALU_CYCLE_1)
	s_and_saveexec_b32 s29, s7
	s_xor_b32 s7, exec_lo, s29
; %bb.16502:                            ;   in Loop: Header=BB6_14012 Depth=2
	v_min_i32_e32 v0, 31, v4
	s_delay_alu instid0(VALU_DEP_1) | instskip(NEXT) | instid1(VALU_DEP_1)
	v_lshl_or_b32 v0, v0, 2, v18
                                        ; implicit-def: $vgpr18
	v_and_or_b32 v3, v2, 3, v0
; %bb.16503:                            ;   in Loop: Header=BB6_14012 Depth=2
	s_and_not1_saveexec_b32 s7, s7
; %bb.16504:                            ;   in Loop: Header=BB6_14012 Depth=2
	v_mov_b32_e32 v3, v18
; %bb.16505:                            ;   in Loop: Header=BB6_14012 Depth=2
	s_or_b32 exec_lo, exec_lo, s7
.LBB6_16506:                            ;   in Loop: Header=BB6_14012 Depth=2
	s_delay_alu instid0(SALU_CYCLE_1)
	s_or_b32 exec_lo, exec_lo, s28
                                        ; implicit-def: $vgpr18
.LBB6_16507:                            ;   in Loop: Header=BB6_14012 Depth=2
	s_and_not1_saveexec_b32 s7, s11
; %bb.16508:                            ;   in Loop: Header=BB6_14012 Depth=2
	v_or_b32_e32 v3, 0x7b, v18
; %bb.16509:                            ;   in Loop: Header=BB6_14012 Depth=2
	s_or_b32 exec_lo, exec_lo, s7
                                        ; implicit-def: $vgpr2
.LBB6_16510:                            ;   in Loop: Header=BB6_14012 Depth=2
	s_and_not1_saveexec_b32 s7, s10
	s_cbranch_execz .LBB6_14011
; %bb.16511:                            ;   in Loop: Header=BB6_14012 Depth=2
	s_mov_b32 s10, exec_lo
                                        ; implicit-def: $vgpr3
	v_cmpx_ne_u64_e32 0, v[0:1]
	s_xor_b32 s10, exec_lo, s10
; %bb.16512:                            ;   in Loop: Header=BB6_14012 Depth=2
	v_lshrrev_b32_e32 v0, 24, v2
                                        ; implicit-def: $vgpr2
	s_delay_alu instid0(VALU_DEP_1)
	v_or_b32_e32 v3, 0x7f, v0
; %bb.16513:                            ;   in Loop: Header=BB6_14012 Depth=2
	s_and_not1_saveexec_b32 s10, s10
	s_cbranch_execz .LBB6_14010
; %bb.16514:                            ;   in Loop: Header=BB6_14012 Depth=2
	v_cmp_lt_i32_e32 vcc_lo, -1, v2
	v_cndmask_b32_e64 v3, -4, 0x7c, vcc_lo
	s_branch .LBB6_14010
.LBB6_16515:                            ;   in Loop: Header=BB6_8372 Depth=1
	s_or_b32 exec_lo, exec_lo, s27
	s_clause 0x3
	scratch_load_b32 v10, off, s33 offset:340
	scratch_load_b32 v4, off, s33 offset:344
	;; [unrolled: 1-line block ×4, first 2 shown]
.LBB6_16516:                            ;   in Loop: Header=BB6_8372 Depth=1
	s_wait_xcnt 0x0
	s_or_b32 exec_lo, exec_lo, s26
	s_wait_loadcnt 0x2
	v_and_b32_e32 v0, 0xfffffc00, v4
	s_delay_alu instid0(VALU_DEP_1)
	v_cmp_ne_u32_e32 vcc_lo, v4, v0
	s_and_b32 exec_lo, exec_lo, vcc_lo
	s_cbranch_execz .LBB6_16606
; %bb.16517:                            ;   in Loop: Header=BB6_8372 Depth=1
	s_wait_loadcnt 0x0
	v_lshlrev_b32_e32 v2, 5, v6
	v_lshlrev_b32_e32 v3, 5, v126
	s_delay_alu instid0(VALU_DEP_2) | instskip(NEXT) | instid1(VALU_DEP_1)
	v_sub_nc_u32_e32 v2, v5, v2
	v_sub_nc_u32_e32 v2, v2, v3
	v_and_b32_e32 v3, 0x3ff, v4
	s_delay_alu instid0(VALU_DEP_1) | instskip(NEXT) | instid1(VALU_DEP_1)
	v_sub_nc_u32_e32 v12, v3, v2
	v_cmp_lt_i32_e32 vcc_lo, 0, v12
	s_and_b32 exec_lo, exec_lo, vcc_lo
	s_cbranch_execz .LBB6_16606
; %bb.16518:                            ;   in Loop: Header=BB6_8372 Depth=1
	s_trap 2
	ds_load_b128 v[6:9], v0
	ds_load_b64 v[4:5], v0
	v_add3_u32 v10, v0, v10, v2
	s_mov_b32 s26, 0
	s_delay_alu instid0(VALU_DEP_1) | instskip(SKIP_1) | instid1(VALU_DEP_1)
	v_ashrrev_i32_e32 v11, 31, v10
	s_wait_dscnt 0x1
	v_add_nc_u64_e32 v[6:7], v[6:7], v[10:11]
	v_add_nc_u64_e32 v[2:3], v[8:9], v[10:11]
	s_wait_dscnt 0x0
	v_add_nc_u64_e32 v[4:5], v[4:5], v[10:11]
	s_branch .LBB6_16521
.LBB6_16519:                            ;   in Loop: Header=BB6_16521 Depth=2
	s_or_b32 exec_lo, exec_lo, s10
.LBB6_16520:                            ;   in Loop: Header=BB6_16521 Depth=2
	s_delay_alu instid0(SALU_CYCLE_1)
	s_or_b32 exec_lo, exec_lo, s7
	scratch_load_b64 v[10:11], off, s33 offset:300 ; 8-byte Folded Reload
	flat_store_b8 v[4:5], v9 th:TH_STORE_NT
	s_wait_loadcnt 0x0
	v_sub_nc_u32_e32 v12, v12, v10
	v_add_nc_u64_e32 v[6:7], v[6:7], v[10:11]
	v_add_nc_u64_e32 v[2:3], v[2:3], v[10:11]
	s_wait_xcnt 0x0
	v_add_nc_u64_e32 v[4:5], v[4:5], v[10:11]
	v_cmp_gt_i32_e32 vcc_lo, 1, v12
	s_or_b32 s26, vcc_lo, s26
	s_delay_alu instid0(SALU_CYCLE_1)
	s_and_not1_b32 exec_lo, exec_lo, s26
	s_cbranch_execz .LBB6_16606
.LBB6_16521:                            ;   Parent Loop BB6_8372 Depth=1
                                        ; =>  This Inner Loop Header: Depth=2
	s_trap 2
	ds_load_b64 v[8:9], v0
	s_mov_b32 s7, 0
	s_wait_dscnt 0x0
	v_and_b32_e32 v0, 0xff, v8
	v_readfirstlane_b32 s10, v8
	v_readfirstlane_b32 s11, v9
	s_delay_alu instid0(VALU_DEP_3)
	v_cmp_eq_u32_e32 vcc_lo, 0, v0
	s_cbranch_vccnz .LBB6_16529
; %bb.16522:                            ;   in Loop: Header=BB6_16521 Depth=2
	s_bfe_i32 s28, s10, 0x80000
	s_delay_alu instid0(SALU_CYCLE_1) | instskip(NEXT) | instid1(SALU_CYCLE_1)
	s_and_b32 s7, 0xffff, s28
	s_cmp_eq_u32 s7, 0xff80
	s_brev_b32 s7, 1
	s_cbranch_scc1 .LBB6_16529
; %bb.16523:                            ;   in Loop: Header=BB6_16521 Depth=2
	s_and_b32 s7, s10, 0x7c
	s_and_b32 s27, s10, 3
	s_mov_b32 s29, -1
	s_cmp_lg_u32 s7, 0x7c
	s_sext_i32_i16 s28, s28
                                        ; implicit-def: $sgpr7
	s_cbranch_scc0 .LBB6_16527
; %bb.16524:                            ;   in Loop: Header=BB6_16521 Depth=2
	s_bfe_u32 s7, s10, 0x50002
	s_mov_b32 s29, s27
	s_cmp_lg_u32 s7, 0
	s_cbranch_scc1 .LBB6_16526
; %bb.16525:                            ;   in Loop: Header=BB6_16521 Depth=2
	s_clz_i32_u32 s7, s27
	s_delay_alu instid0(SALU_CYCLE_1) | instskip(NEXT) | instid1(SALU_CYCLE_1)
	s_min_u32 s7, s7, 32
	s_sub_co_i32 s29, s7, 29
	s_sub_co_i32 s7, 30, s7
	s_lshl_b64 s[10:11], s[10:11], s29
	s_delay_alu instid0(SALU_CYCLE_1)
	s_and_b32 s29, s10, 3
.LBB6_16526:                            ;   in Loop: Header=BB6_16521 Depth=2
	s_and_b32 s10, s28, 0x80000000
	s_lshl_b32 s7, s7, 23
	s_lshl_b32 s11, s29, 21
	s_add_co_i32 s7, s7, s10
	s_mov_b32 s29, 0
	s_or_b32 s7, s7, s11
	s_delay_alu instid0(SALU_CYCLE_1)
	s_add_co_i32 s7, s7, 0x38000000
.LBB6_16527:                            ;   in Loop: Header=BB6_16521 Depth=2
	s_and_b32 vcc_lo, exec_lo, s29
	s_cbranch_vccz .LBB6_16529
; %bb.16528:                            ;   in Loop: Header=BB6_16521 Depth=2
	s_cmp_gt_i32 s28, -1
	s_cselect_b32 s7, s22, 0xff800000
	s_cmp_eq_u32 s27, 0
	s_cselect_b32 s7, s7, 0x7f800001
.LBB6_16529:                            ;   in Loop: Header=BB6_16521 Depth=2
	flat_load_i8 v8, v[6:7] th:TH_LOAD_NT
	v_mov_b32_e32 v9, 0
	s_mov_b32 s10, exec_lo
	s_wait_loadcnt_dscnt 0x0
	v_cmpx_ne_u16_e32 0, v8
	s_cbranch_execz .LBB6_16539
; %bb.16530:                            ;   in Loop: Header=BB6_16521 Depth=2
	v_bfrev_b32_e32 v9, 1
	s_mov_b32 s11, exec_lo
	v_cmpx_ne_u16_e32 0xff80, v8
	s_cbranch_execz .LBB6_16538
; %bb.16531:                            ;   in Loop: Header=BB6_16521 Depth=2
	v_and_b32_e32 v9, 0x7c, v8
	v_and_b32_e32 v0, 3, v8
	s_delay_alu instid0(VALU_DEP_2) | instskip(SKIP_1) | instid1(SALU_CYCLE_1)
	v_cmp_ne_u32_e32 vcc_lo, 0x7c, v9
                                        ; implicit-def: $vgpr9
	s_and_saveexec_b32 s27, vcc_lo
	s_xor_b32 s27, exec_lo, s27
	s_cbranch_execz .LBB6_16535
; %bb.16532:                            ;   in Loop: Header=BB6_16521 Depth=2
	v_and_b32_e32 v9, 0xff, v8
	s_mov_b32 s28, exec_lo
	s_delay_alu instid0(VALU_DEP_1) | instskip(NEXT) | instid1(VALU_DEP_1)
	v_bfe_u32 v9, v9, 2, 5
	v_cmpx_eq_u32_e32 0, v9
; %bb.16533:                            ;   in Loop: Header=BB6_16521 Depth=2
	v_clz_i32_u32_e32 v0, v0
	v_mov_b32_e32 v9, v1
	s_delay_alu instid0(VALU_DEP_2) | instskip(NEXT) | instid1(VALU_DEP_1)
	v_min_u32_e32 v0, 32, v0
	v_subrev_nc_u32_e32 v10, 29, v0
	s_delay_alu instid0(VALU_DEP_1) | instskip(NEXT) | instid1(VALU_DEP_1)
	v_lshlrev_b64_e32 v[10:11], v10, v[8:9]
	v_dual_sub_nc_u32 v9, 30, v0 :: v_dual_bitop2_b32 v0, 3, v10 bitop3:0x40
; %bb.16534:                            ;   in Loop: Header=BB6_16521 Depth=2
	s_or_b32 exec_lo, exec_lo, s28
	v_bfe_i32 v8, v8, 0, 16
	s_delay_alu instid0(VALU_DEP_1) | instskip(NEXT) | instid1(VALU_DEP_1)
	v_and_b32_e32 v8, 0x80000000, v8
	v_lshl_add_u32 v8, v9, 23, v8
	s_delay_alu instid0(VALU_DEP_1) | instskip(NEXT) | instid1(VALU_DEP_1)
	v_lshl_or_b32 v0, v0, 21, v8
                                        ; implicit-def: $vgpr8
	v_add_nc_u32_e32 v9, 0x38000000, v0
                                        ; implicit-def: $vgpr0
.LBB6_16535:                            ;   in Loop: Header=BB6_16521 Depth=2
	s_and_not1_saveexec_b32 s27, s27
; %bb.16536:                            ;   in Loop: Header=BB6_16521 Depth=2
	v_cmp_lt_i16_e32 vcc_lo, -1, v8
	v_mov_b32_e32 v8, 0x7f800000
	s_delay_alu instid0(VALU_DEP_1) | instskip(SKIP_1) | instid1(VALU_DEP_2)
	v_cndmask_b32_e32 v8, 0xff800000, v8, vcc_lo
	v_cmp_eq_u32_e32 vcc_lo, 0, v0
	v_cndmask_b32_e32 v9, 0x7f800001, v8, vcc_lo
; %bb.16537:                            ;   in Loop: Header=BB6_16521 Depth=2
	s_or_b32 exec_lo, exec_lo, s27
.LBB6_16538:                            ;   in Loop: Header=BB6_16521 Depth=2
	s_delay_alu instid0(SALU_CYCLE_1)
	s_or_b32 exec_lo, exec_lo, s11
.LBB6_16539:                            ;   in Loop: Header=BB6_16521 Depth=2
	s_delay_alu instid0(SALU_CYCLE_1) | instskip(NEXT) | instid1(VALU_DEP_1)
	s_or_b32 exec_lo, exec_lo, s10
	v_dual_mul_f32 v9, s7, v9 :: v_dual_mov_b32 v11, v1
                                        ; implicit-def: $vgpr8
	s_mov_b32 s7, exec_lo
	s_delay_alu instid0(VALU_DEP_1) | instskip(SKIP_1) | instid1(VALU_DEP_2)
	v_and_b32_e32 v10, 0x7f800000, v9
	v_and_b32_e32 v0, 0x7fffff, v9
	v_cmpx_ne_u64_e32 0x7f800000, v[10:11]
	s_xor_b32 s10, exec_lo, s7
	s_cbranch_execz .LBB6_16557
; %bb.16540:                            ;   in Loop: Header=BB6_16521 Depth=2
	v_dual_mov_b32 v11, v1 :: v_dual_lshrrev_b32 v8, 24, v9
	v_and_b32_e32 v10, 0x7fffffff, v9
	s_mov_b32 s7, exec_lo
	s_delay_alu instid0(VALU_DEP_2) | instskip(NEXT) | instid1(VALU_DEP_2)
	v_and_b32_e32 v13, 0x80, v8
                                        ; implicit-def: $vgpr8
	v_cmpx_gt_u64_e32 0x47600001, v[10:11]
	s_xor_b32 s11, exec_lo, s7
	s_cbranch_execz .LBB6_16554
; %bb.16541:                            ;   in Loop: Header=BB6_16521 Depth=2
	v_mov_b32_e32 v8, 0
	s_mov_b32 s27, exec_lo
	v_cmpx_ne_u32_e32 0, v9
	s_cbranch_execz .LBB6_16553
; %bb.16542:                            ;   in Loop: Header=BB6_16521 Depth=2
	v_bfe_u32 v14, v9, 23, 8
	v_or_b32_e32 v10, 0x800000, v0
	s_mov_b32 s28, exec_lo
	s_delay_alu instid0(VALU_DEP_2) | instskip(SKIP_1) | instid1(VALU_DEP_2)
	v_dual_mov_b32 v11, v1 :: v_dual_sub_nc_u32 v8, 0x71, v14
	v_cmp_gt_u32_e32 vcc_lo, 0x72, v14
	v_cndmask_b32_e32 v8, 0, v8, vcc_lo
	v_cmp_eq_u32_e32 vcc_lo, 0, v14
	s_delay_alu instid0(VALU_DEP_2) | instskip(NEXT) | instid1(VALU_DEP_1)
	v_cndmask_b32_e64 v15, v8, 0x70, vcc_lo
	v_dual_cndmask_b32 v10, v10, v0, vcc_lo :: v_dual_add_nc_u32 v8, 21, v15
	v_add_nc_u32_e32 v16, 20, v15
	s_delay_alu instid0(VALU_DEP_2) | instskip(NEXT) | instid1(VALU_DEP_2)
	v_lshlrev_b64_e64 v[8:9], v8, -1
	v_lshlrev_b64_e64 v[16:17], v16, 1
	s_delay_alu instid0(VALU_DEP_2) | instskip(NEXT) | instid1(VALU_DEP_3)
	v_bfi_b32 v19, v9, 0, 0
	v_bfi_b32 v18, v8, 0, v10
	v_lshrrev_b64 v[8:9], v15, v[10:11]
	s_delay_alu instid0(VALU_DEP_1) | instskip(NEXT) | instid1(VALU_DEP_3)
	v_mov_b64_e32 v[10:11], v[8:9]
	v_cmpx_eq_u64_e64 v[18:19], v[16:17]
; %bb.16543:                            ;   in Loop: Header=BB6_16521 Depth=2
	v_bfe_u32 v10, v8, 21, 1
	v_mov_b32_e32 v11, v1
	s_delay_alu instid0(VALU_DEP_1) | instskip(NEXT) | instid1(VALU_DEP_1)
	v_add_nc_u64_e32 v[10:11], v[8:9], v[10:11]
	v_add_nc_u64_e32 v[10:11], -1, v[10:11]
; %bb.16544:                            ;   in Loop: Header=BB6_16521 Depth=2
	s_or_b32 exec_lo, exec_lo, s28
	v_add_nc_u32_e32 v0, 0xffffff81, v14
	s_delay_alu instid0(VALU_DEP_2) | instskip(SKIP_2) | instid1(VALU_DEP_3)
	v_and_b32_e32 v11, 0x1fffff, v10
	v_lshrrev_b32_e32 v9, 23, v8
	s_mov_b32 s7, exec_lo
                                        ; implicit-def: $vgpr14
	v_cndmask_b32_e64 v0, v0, 0xffffff82, vcc_lo
	s_delay_alu instid0(VALU_DEP_1) | instskip(SKIP_1) | instid1(VALU_DEP_2)
	v_add3_u32 v10, v15, v0, v9
	v_add_nc_u32_e32 v0, v11, v8
                                        ; implicit-def: $vgpr8_vgpr9
	v_add_nc_u32_e32 v11, 14, v10
	s_delay_alu instid0(VALU_DEP_1)
	v_cmpx_ne_u32_e32 0, v11
	s_xor_b32 s7, exec_lo, s7
; %bb.16545:                            ;   in Loop: Header=BB6_16521 Depth=2
	s_delay_alu instid0(VALU_DEP_3) | instskip(SKIP_1) | instid1(VALU_DEP_1)
	v_cmp_lt_u64_e32 vcc_lo, 0xffffff, v[0:1]
	v_add_nc_u32_e32 v8, 15, v10
	v_cndmask_b32_e32 v14, v11, v8, vcc_lo
	v_cndmask_b32_e64 v8, 0, 1, vcc_lo
	s_delay_alu instid0(VALU_DEP_1)
	v_lshrrev_b64 v[8:9], v8, v[0:1]
; %bb.16546:                            ;   in Loop: Header=BB6_16521 Depth=2
	s_and_not1_saveexec_b32 s7, s7
; %bb.16547:                            ;   in Loop: Header=BB6_16521 Depth=2
	v_mov_b64_e32 v[8:9], v[0:1]
	v_bfe_u32 v14, v0, 23, 1
; %bb.16548:                            ;   in Loop: Header=BB6_16521 Depth=2
	s_or_b32 exec_lo, exec_lo, s7
	s_delay_alu instid0(VALU_DEP_2) | instskip(NEXT) | instid1(VALU_DEP_2)
	v_lshrrev_b64 v[8:9], 21, v[8:9]
	v_cmp_gt_i32_e32 vcc_lo, 32, v14
	v_cmp_ne_u32_e64 s7, 0, v14
	s_delay_alu instid0(VALU_DEP_3) | instskip(NEXT) | instid1(VALU_DEP_1)
	v_dual_cndmask_b32 v11, 0, v9 :: v_dual_cndmask_b32 v10, 3, v8
                                        ; implicit-def: $vgpr8
	v_cmp_ne_u64_e32 vcc_lo, 0, v[10:11]
	s_or_b32 s7, s7, vcc_lo
	s_delay_alu instid0(SALU_CYCLE_1) | instskip(NEXT) | instid1(SALU_CYCLE_1)
	s_and_saveexec_b32 s28, s7
	s_xor_b32 s7, exec_lo, s28
; %bb.16549:                            ;   in Loop: Header=BB6_16521 Depth=2
	v_min_i32_e32 v0, 31, v14
	s_delay_alu instid0(VALU_DEP_1) | instskip(NEXT) | instid1(VALU_DEP_1)
	v_lshl_or_b32 v0, v0, 2, v13
                                        ; implicit-def: $vgpr13
	v_and_or_b32 v8, v10, 3, v0
; %bb.16550:                            ;   in Loop: Header=BB6_16521 Depth=2
	s_and_not1_saveexec_b32 s7, s7
; %bb.16551:                            ;   in Loop: Header=BB6_16521 Depth=2
	v_mov_b32_e32 v8, v13
; %bb.16552:                            ;   in Loop: Header=BB6_16521 Depth=2
	s_or_b32 exec_lo, exec_lo, s7
.LBB6_16553:                            ;   in Loop: Header=BB6_16521 Depth=2
	s_delay_alu instid0(SALU_CYCLE_1)
	s_or_b32 exec_lo, exec_lo, s27
                                        ; implicit-def: $vgpr13
.LBB6_16554:                            ;   in Loop: Header=BB6_16521 Depth=2
	s_and_not1_saveexec_b32 s7, s11
; %bb.16555:                            ;   in Loop: Header=BB6_16521 Depth=2
	v_or_b32_e32 v8, 0x7b, v13
; %bb.16556:                            ;   in Loop: Header=BB6_16521 Depth=2
	s_or_b32 exec_lo, exec_lo, s7
                                        ; implicit-def: $vgpr9
.LBB6_16557:                            ;   in Loop: Header=BB6_16521 Depth=2
	s_and_not1_saveexec_b32 s7, s10
	s_cbranch_execz .LBB6_16563
; %bb.16558:                            ;   in Loop: Header=BB6_16521 Depth=2
	s_mov_b32 s10, exec_lo
                                        ; implicit-def: $vgpr8
	v_cmpx_ne_u64_e32 0, v[0:1]
	s_xor_b32 s10, exec_lo, s10
; %bb.16559:                            ;   in Loop: Header=BB6_16521 Depth=2
	v_lshrrev_b32_e32 v0, 24, v9
                                        ; implicit-def: $vgpr9
	s_delay_alu instid0(VALU_DEP_1)
	v_or_b32_e32 v8, 0x7f, v0
; %bb.16560:                            ;   in Loop: Header=BB6_16521 Depth=2
	s_and_not1_saveexec_b32 s10, s10
; %bb.16561:                            ;   in Loop: Header=BB6_16521 Depth=2
	v_cmp_lt_i32_e32 vcc_lo, -1, v9
	v_cndmask_b32_e64 v8, -4, 0x7c, vcc_lo
; %bb.16562:                            ;   in Loop: Header=BB6_16521 Depth=2
	s_or_b32 exec_lo, exec_lo, s10
.LBB6_16563:                            ;   in Loop: Header=BB6_16521 Depth=2
	s_delay_alu instid0(SALU_CYCLE_1)
	s_or_b32 exec_lo, exec_lo, s7
	flat_load_i8 v10, v[2:3] th:TH_LOAD_NT
	v_and_b32_e32 v13, 0xff, v8
	v_dual_mov_b32 v0, 0 :: v_dual_mov_b32 v9, 0
	s_mov_b32 s7, exec_lo
	s_wait_xcnt 0x0
	s_delay_alu instid0(VALU_DEP_2)
	v_cmpx_ne_u16_e32 0, v13
	s_cbranch_execz .LBB6_16573
; %bb.16564:                            ;   in Loop: Header=BB6_16521 Depth=2
	v_bfrev_b32_e32 v9, 1
	s_mov_b32 s10, exec_lo
	v_cmpx_ne_u16_e32 0x80, v13
	s_cbranch_execz .LBB6_16572
; %bb.16565:                            ;   in Loop: Header=BB6_16521 Depth=2
	v_and_b32_e32 v9, 0x7c, v8
	v_and_b32_e32 v11, 3, v8
	s_delay_alu instid0(VALU_DEP_2) | instskip(SKIP_1) | instid1(SALU_CYCLE_1)
	v_cmp_ne_u32_e32 vcc_lo, 0x7c, v9
                                        ; implicit-def: $vgpr9
	s_and_saveexec_b32 s11, vcc_lo
	s_xor_b32 s11, exec_lo, s11
	s_cbranch_execz .LBB6_16569
; %bb.16566:                            ;   in Loop: Header=BB6_16521 Depth=2
	v_bfe_u32 v9, v13, 2, 5
	s_mov_b32 s27, exec_lo
	s_delay_alu instid0(VALU_DEP_1)
	v_cmpx_eq_u32_e32 0, v9
; %bb.16567:                            ;   in Loop: Header=BB6_16521 Depth=2
	v_clz_i32_u32_e32 v9, v11
	s_delay_alu instid0(VALU_DEP_1) | instskip(SKIP_1) | instid1(VALU_DEP_2)
	v_min_u32_e32 v11, 32, v9
	v_mov_b32_e32 v9, v1
	v_subrev_nc_u32_e32 v13, 29, v11
	s_delay_alu instid0(VALU_DEP_1) | instskip(NEXT) | instid1(VALU_DEP_1)
	v_lshlrev_b64_e32 v[14:15], v13, v[8:9]
	v_dual_sub_nc_u32 v9, 30, v11 :: v_dual_bitop2_b32 v11, 3, v14 bitop3:0x40
; %bb.16568:                            ;   in Loop: Header=BB6_16521 Depth=2
	s_or_b32 exec_lo, exec_lo, s27
	v_lshlrev_b32_e32 v8, 24, v8
	s_delay_alu instid0(VALU_DEP_1) | instskip(NEXT) | instid1(VALU_DEP_1)
	v_and_b32_e32 v8, 0x80000000, v8
	v_lshl_add_u32 v8, v9, 23, v8
	s_delay_alu instid0(VALU_DEP_1) | instskip(NEXT) | instid1(VALU_DEP_1)
	v_lshl_or_b32 v8, v11, 21, v8
                                        ; implicit-def: $vgpr11
	v_add_nc_u32_e32 v9, 0x38000000, v8
                                        ; implicit-def: $vgpr8
.LBB6_16569:                            ;   in Loop: Header=BB6_16521 Depth=2
	s_and_not1_saveexec_b32 s11, s11
; %bb.16570:                            ;   in Loop: Header=BB6_16521 Depth=2
	v_bfe_i32 v8, v8, 0, 8
	s_delay_alu instid0(VALU_DEP_1) | instskip(SKIP_1) | instid1(VALU_DEP_1)
	v_cmp_lt_i16_e32 vcc_lo, -1, v8
	v_mov_b32_e32 v8, 0x7f800000
	v_cndmask_b32_e32 v8, 0xff800000, v8, vcc_lo
	v_cmp_eq_u32_e32 vcc_lo, 0, v11
	s_delay_alu instid0(VALU_DEP_2)
	v_cndmask_b32_e32 v9, 0x7f800001, v8, vcc_lo
; %bb.16571:                            ;   in Loop: Header=BB6_16521 Depth=2
	s_or_b32 exec_lo, exec_lo, s11
.LBB6_16572:                            ;   in Loop: Header=BB6_16521 Depth=2
	s_delay_alu instid0(SALU_CYCLE_1)
	s_or_b32 exec_lo, exec_lo, s10
.LBB6_16573:                            ;   in Loop: Header=BB6_16521 Depth=2
	s_delay_alu instid0(SALU_CYCLE_1) | instskip(NEXT) | instid1(SALU_CYCLE_1)
	s_or_b32 exec_lo, exec_lo, s7
	s_mov_b32 s7, exec_lo
	s_wait_loadcnt_dscnt 0x0
	v_cmpx_ne_u16_e32 0, v10
	s_cbranch_execz .LBB6_16583
; %bb.16574:                            ;   in Loop: Header=BB6_16521 Depth=2
	v_bfrev_b32_e32 v0, 1
	s_mov_b32 s10, exec_lo
	v_cmpx_ne_u16_e32 0xff80, v10
	s_cbranch_execz .LBB6_16582
; %bb.16575:                            ;   in Loop: Header=BB6_16521 Depth=2
	v_and_b32_e32 v0, 0x7c, v10
	v_and_b32_e32 v8, 3, v10
	s_delay_alu instid0(VALU_DEP_2) | instskip(SKIP_1) | instid1(SALU_CYCLE_1)
	v_cmp_ne_u32_e32 vcc_lo, 0x7c, v0
                                        ; implicit-def: $vgpr0
	s_and_saveexec_b32 s11, vcc_lo
	s_xor_b32 s11, exec_lo, s11
	s_cbranch_execz .LBB6_16579
; %bb.16576:                            ;   in Loop: Header=BB6_16521 Depth=2
	v_and_b32_e32 v0, 0xff, v10
	s_mov_b32 s27, exec_lo
	s_delay_alu instid0(VALU_DEP_1) | instskip(NEXT) | instid1(VALU_DEP_1)
	v_bfe_u32 v0, v0, 2, 5
	v_cmpx_eq_u32_e32 0, v0
	s_cbranch_execz .LBB6_16578
; %bb.16577:                            ;   in Loop: Header=BB6_16521 Depth=2
	v_clz_i32_u32_e32 v0, v8
	s_delay_alu instid0(VALU_DEP_1) | instskip(SKIP_1) | instid1(VALU_DEP_2)
	v_min_u32_e32 v0, 32, v0
	v_mov_b32_e32 v11, v1
	v_subrev_nc_u32_e32 v8, 29, v0
	v_sub_nc_u32_e32 v0, 30, v0
	s_delay_alu instid0(VALU_DEP_2) | instskip(NEXT) | instid1(VALU_DEP_1)
	v_lshlrev_b64_e32 v[14:15], v8, v[10:11]
	v_and_b32_e32 v8, 3, v14
.LBB6_16578:                            ;   in Loop: Header=BB6_16521 Depth=2
	s_or_b32 exec_lo, exec_lo, s27
	v_bfe_i32 v10, v10, 0, 16
	s_delay_alu instid0(VALU_DEP_1) | instskip(NEXT) | instid1(VALU_DEP_1)
	v_and_b32_e32 v10, 0x80000000, v10
	v_lshl_add_u32 v0, v0, 23, v10
                                        ; implicit-def: $vgpr10
	s_delay_alu instid0(VALU_DEP_1) | instskip(NEXT) | instid1(VALU_DEP_1)
	v_lshl_or_b32 v0, v8, 21, v0
                                        ; implicit-def: $vgpr8
	v_add_nc_u32_e32 v0, 0x38000000, v0
.LBB6_16579:                            ;   in Loop: Header=BB6_16521 Depth=2
	s_and_not1_saveexec_b32 s11, s11
; %bb.16580:                            ;   in Loop: Header=BB6_16521 Depth=2
	v_cmp_lt_i16_e32 vcc_lo, -1, v10
	v_mov_b32_e32 v0, 0x7f800000
	s_delay_alu instid0(VALU_DEP_1) | instskip(SKIP_1) | instid1(VALU_DEP_2)
	v_cndmask_b32_e32 v0, 0xff800000, v0, vcc_lo
	v_cmp_eq_u32_e32 vcc_lo, 0, v8
	v_cndmask_b32_e32 v0, 0x7f800001, v0, vcc_lo
; %bb.16581:                            ;   in Loop: Header=BB6_16521 Depth=2
	s_or_b32 exec_lo, exec_lo, s11
.LBB6_16582:                            ;   in Loop: Header=BB6_16521 Depth=2
	s_delay_alu instid0(SALU_CYCLE_1)
	s_or_b32 exec_lo, exec_lo, s10
.LBB6_16583:                            ;   in Loop: Header=BB6_16521 Depth=2
	s_delay_alu instid0(SALU_CYCLE_1) | instskip(NEXT) | instid1(VALU_DEP_1)
	s_or_b32 exec_lo, exec_lo, s7
	v_add_f32_e32 v8, v9, v0
	v_mov_b32_e32 v11, v1
                                        ; implicit-def: $vgpr9
	s_mov_b32 s7, exec_lo
	s_delay_alu instid0(VALU_DEP_2) | instskip(SKIP_1) | instid1(VALU_DEP_2)
	v_and_b32_e32 v10, 0x7f800000, v8
	v_and_b32_e32 v0, 0x7fffff, v8
	v_cmpx_ne_u64_e32 0x7f800000, v[10:11]
	s_xor_b32 s10, exec_lo, s7
	s_cbranch_execz .LBB6_16601
; %bb.16584:                            ;   in Loop: Header=BB6_16521 Depth=2
	v_dual_mov_b32 v11, v1 :: v_dual_lshrrev_b32 v9, 24, v8
	v_and_b32_e32 v10, 0x7fffffff, v8
	s_mov_b32 s7, exec_lo
	s_delay_alu instid0(VALU_DEP_2) | instskip(NEXT) | instid1(VALU_DEP_2)
	v_and_b32_e32 v13, 0x80, v9
                                        ; implicit-def: $vgpr9
	v_cmpx_gt_u64_e32 0x47600001, v[10:11]
	s_xor_b32 s11, exec_lo, s7
	s_cbranch_execz .LBB6_16598
; %bb.16585:                            ;   in Loop: Header=BB6_16521 Depth=2
	v_mov_b32_e32 v9, 0
	s_mov_b32 s27, exec_lo
	v_cmpx_ne_u32_e32 0, v8
	s_cbranch_execz .LBB6_16597
; %bb.16586:                            ;   in Loop: Header=BB6_16521 Depth=2
	v_bfe_u32 v14, v8, 23, 8
	v_or_b32_e32 v10, 0x800000, v0
	s_mov_b32 s28, exec_lo
	s_delay_alu instid0(VALU_DEP_2) | instskip(SKIP_1) | instid1(VALU_DEP_2)
	v_dual_mov_b32 v11, v1 :: v_dual_sub_nc_u32 v8, 0x71, v14
	v_cmp_gt_u32_e32 vcc_lo, 0x72, v14
	v_cndmask_b32_e32 v8, 0, v8, vcc_lo
	v_cmp_eq_u32_e32 vcc_lo, 0, v14
	s_delay_alu instid0(VALU_DEP_2) | instskip(NEXT) | instid1(VALU_DEP_1)
	v_cndmask_b32_e64 v15, v8, 0x70, vcc_lo
	v_dual_cndmask_b32 v10, v10, v0, vcc_lo :: v_dual_add_nc_u32 v8, 21, v15
	v_add_nc_u32_e32 v16, 20, v15
	s_delay_alu instid0(VALU_DEP_2) | instskip(NEXT) | instid1(VALU_DEP_2)
	v_lshlrev_b64_e64 v[8:9], v8, -1
	v_lshlrev_b64_e64 v[16:17], v16, 1
	s_delay_alu instid0(VALU_DEP_2) | instskip(NEXT) | instid1(VALU_DEP_3)
	v_bfi_b32 v19, v9, 0, 0
	v_bfi_b32 v18, v8, 0, v10
	v_lshrrev_b64 v[8:9], v15, v[10:11]
	s_delay_alu instid0(VALU_DEP_1) | instskip(NEXT) | instid1(VALU_DEP_3)
	v_mov_b64_e32 v[10:11], v[8:9]
	v_cmpx_eq_u64_e64 v[18:19], v[16:17]
; %bb.16587:                            ;   in Loop: Header=BB6_16521 Depth=2
	v_bfe_u32 v10, v8, 21, 1
	v_mov_b32_e32 v11, v1
	s_delay_alu instid0(VALU_DEP_1) | instskip(NEXT) | instid1(VALU_DEP_1)
	v_add_nc_u64_e32 v[10:11], v[8:9], v[10:11]
	v_add_nc_u64_e32 v[10:11], -1, v[10:11]
; %bb.16588:                            ;   in Loop: Header=BB6_16521 Depth=2
	s_or_b32 exec_lo, exec_lo, s28
	v_add_nc_u32_e32 v0, 0xffffff81, v14
	s_delay_alu instid0(VALU_DEP_2) | instskip(SKIP_2) | instid1(VALU_DEP_3)
	v_and_b32_e32 v10, 0x1fffff, v10
	v_lshrrev_b32_e32 v9, 23, v8
	s_mov_b32 s7, exec_lo
	v_cndmask_b32_e64 v0, v0, 0xffffff82, vcc_lo
	s_delay_alu instid0(VALU_DEP_1) | instskip(SKIP_1) | instid1(VALU_DEP_2)
	v_add3_u32 v11, v15, v0, v9
	v_add_nc_u32_e32 v0, v10, v8
                                        ; implicit-def: $vgpr8_vgpr9
                                        ; implicit-def: $vgpr10
	v_add_nc_u32_e32 v14, 14, v11
	s_delay_alu instid0(VALU_DEP_1)
	v_cmpx_ne_u32_e32 0, v14
	s_xor_b32 s7, exec_lo, s7
; %bb.16589:                            ;   in Loop: Header=BB6_16521 Depth=2
	s_delay_alu instid0(VALU_DEP_3) | instskip(SKIP_1) | instid1(VALU_DEP_1)
	v_cmp_lt_u64_e32 vcc_lo, 0xffffff, v[0:1]
	v_add_nc_u32_e32 v8, 15, v11
	v_cndmask_b32_e32 v10, v14, v8, vcc_lo
	v_cndmask_b32_e64 v8, 0, 1, vcc_lo
	s_delay_alu instid0(VALU_DEP_1)
	v_lshrrev_b64 v[8:9], v8, v[0:1]
; %bb.16590:                            ;   in Loop: Header=BB6_16521 Depth=2
	s_and_not1_saveexec_b32 s7, s7
; %bb.16591:                            ;   in Loop: Header=BB6_16521 Depth=2
	v_mov_b64_e32 v[8:9], v[0:1]
	v_bfe_u32 v10, v0, 23, 1
; %bb.16592:                            ;   in Loop: Header=BB6_16521 Depth=2
	s_or_b32 exec_lo, exec_lo, s7
	s_delay_alu instid0(VALU_DEP_2) | instskip(NEXT) | instid1(VALU_DEP_2)
	v_lshrrev_b64 v[8:9], 21, v[8:9]
	v_cmp_gt_i32_e32 vcc_lo, 32, v10
	v_cmp_ne_u32_e64 s7, 0, v10
	s_delay_alu instid0(VALU_DEP_3) | instskip(NEXT) | instid1(VALU_DEP_1)
	v_dual_cndmask_b32 v9, 0, v9 :: v_dual_cndmask_b32 v8, 3, v8
	v_cmp_ne_u64_e32 vcc_lo, 0, v[8:9]
                                        ; implicit-def: $vgpr9
	s_or_b32 s7, s7, vcc_lo
	s_delay_alu instid0(SALU_CYCLE_1) | instskip(NEXT) | instid1(SALU_CYCLE_1)
	s_and_saveexec_b32 s28, s7
	s_xor_b32 s7, exec_lo, s28
; %bb.16593:                            ;   in Loop: Header=BB6_16521 Depth=2
	v_min_i32_e32 v0, 31, v10
	s_delay_alu instid0(VALU_DEP_1) | instskip(NEXT) | instid1(VALU_DEP_1)
	v_lshl_or_b32 v0, v0, 2, v13
                                        ; implicit-def: $vgpr13
	v_and_or_b32 v9, v8, 3, v0
; %bb.16594:                            ;   in Loop: Header=BB6_16521 Depth=2
	s_and_not1_saveexec_b32 s7, s7
; %bb.16595:                            ;   in Loop: Header=BB6_16521 Depth=2
	v_mov_b32_e32 v9, v13
; %bb.16596:                            ;   in Loop: Header=BB6_16521 Depth=2
	s_or_b32 exec_lo, exec_lo, s7
.LBB6_16597:                            ;   in Loop: Header=BB6_16521 Depth=2
	s_delay_alu instid0(SALU_CYCLE_1)
	s_or_b32 exec_lo, exec_lo, s27
                                        ; implicit-def: $vgpr13
.LBB6_16598:                            ;   in Loop: Header=BB6_16521 Depth=2
	s_and_not1_saveexec_b32 s7, s11
; %bb.16599:                            ;   in Loop: Header=BB6_16521 Depth=2
	v_or_b32_e32 v9, 0x7b, v13
; %bb.16600:                            ;   in Loop: Header=BB6_16521 Depth=2
	s_or_b32 exec_lo, exec_lo, s7
                                        ; implicit-def: $vgpr8
.LBB6_16601:                            ;   in Loop: Header=BB6_16521 Depth=2
	s_and_not1_saveexec_b32 s7, s10
	s_cbranch_execz .LBB6_16520
; %bb.16602:                            ;   in Loop: Header=BB6_16521 Depth=2
	s_mov_b32 s10, exec_lo
                                        ; implicit-def: $vgpr9
	v_cmpx_ne_u64_e32 0, v[0:1]
	s_xor_b32 s10, exec_lo, s10
; %bb.16603:                            ;   in Loop: Header=BB6_16521 Depth=2
	v_lshrrev_b32_e32 v0, 24, v8
                                        ; implicit-def: $vgpr8
	s_delay_alu instid0(VALU_DEP_1)
	v_or_b32_e32 v9, 0x7f, v0
; %bb.16604:                            ;   in Loop: Header=BB6_16521 Depth=2
	s_and_not1_saveexec_b32 s10, s10
	s_cbranch_execz .LBB6_16519
; %bb.16605:                            ;   in Loop: Header=BB6_16521 Depth=2
	v_cmp_lt_i32_e32 vcc_lo, -1, v8
	v_cndmask_b32_e64 v9, -4, 0x7c, vcc_lo
	s_branch .LBB6_16519
.LBB6_16606:                            ;   in Loop: Header=BB6_8372 Depth=1
	s_or_b32 exec_lo, exec_lo, s25
	v_cmp_ne_u32_e64 s7, 0, v103
.LBB6_16607:                            ;   in Loop: Header=BB6_8372 Depth=1
	s_clause 0x1
	scratch_load_b64 v[12:13], off, s33 offset:308
	scratch_load_b64 v[14:15], off, s33 offset:316
	s_wait_xcnt 0x0
	s_and_saveexec_b32 s10, s2
	s_cbranch_execz .LBB6_16626
.LBB6_16608:                            ;   in Loop: Header=BB6_8372 Depth=1
	s_and_saveexec_b32 s11, s3
	s_delay_alu instid0(SALU_CYCLE_1)
	s_xor_b32 s11, exec_lo, s11
	s_cbranch_execz .LBB6_16623
; %bb.16609:                            ;   in Loop: Header=BB6_8372 Depth=1
	s_and_saveexec_b32 s25, s4
	s_cbranch_execz .LBB6_16622
; %bb.16610:                            ;   in Loop: Header=BB6_8372 Depth=1
	s_mov_b32 s27, exec_lo
	s_mov_b32 s26, exec_lo
	v_mbcnt_lo_u32_b32 v0, s27, 0
	global_wb scope:SCOPE_DEV
	s_wait_storecnt 0x0
	s_wait_loadcnt_dscnt 0x0
	global_inv scope:SCOPE_DEV
	v_cmpx_eq_u32_e32 0, v0
	s_cbranch_execz .LBB6_16612
; %bb.16611:                            ;   in Loop: Header=BB6_8372 Depth=1
	s_bcnt1_i32_b32 s27, s27
	s_delay_alu instid0(SALU_CYCLE_1)
	v_dual_mov_b32 v3, v1 :: v_dual_mov_b32 v2, s27
	s_wait_loadcnt 0x0
	ds_add_u64 v0, v[2:3]
	s_trap 2
.LBB6_16612:                            ;   in Loop: Header=BB6_8372 Depth=1
	s_or_b32 exec_lo, exec_lo, s26
	s_trap 2
	ds_load_b64 v[2:3], v0
	s_wait_dscnt 0x0
	s_clause 0x1
	scratch_load_b64 v[4:5], off, s33 offset:220 th:TH_LOAD_LU
	scratch_load_b64 v[6:7], off, s33 offset:276
	s_mov_b32 s26, exec_lo
	s_wait_loadcnt 0x0
	v_add_nc_u64_e32 v[4:5], v[4:5], v[6:7]
	scratch_store_b64 off, v[4:5], s33 offset:220 ; 8-byte Folded Spill
	s_wait_xcnt 0x0
	v_cmpx_lt_u64_e64 v[2:3], v[4:5]
	s_cbranch_execz .LBB6_16621
; %bb.16613:                            ;   in Loop: Header=BB6_8372 Depth=1
	s_mov_b32 s27, 0
	s_mov_b32 s40, 0
                                        ; implicit-def: $sgpr28
                                        ; implicit-def: $sgpr29
	s_branch .LBB6_16615
.LBB6_16614:                            ;   in Loop: Header=BB6_16615 Depth=2
	s_wait_xcnt 0x0
	s_or_b32 exec_lo, exec_lo, s42
	s_delay_alu instid0(SALU_CYCLE_1) | instskip(NEXT) | instid1(SALU_CYCLE_1)
	s_and_b32 s41, exec_lo, s43
	s_or_b32 s27, s41, s27
	s_and_not1_b32 s28, s28, exec_lo
	s_and_b32 s41, s29, exec_lo
	s_delay_alu instid0(SALU_CYCLE_1)
	s_or_b32 s28, s28, s41
	s_and_not1_b32 exec_lo, exec_lo, s27
	s_cbranch_execz .LBB6_16619
.LBB6_16615:                            ;   Parent Loop BB6_8372 Depth=1
                                        ; =>  This Inner Loop Header: Depth=2
	s_add_co_i32 s40, s40, 1
	s_delay_alu instid0(SALU_CYCLE_1) | instskip(SKIP_1) | instid1(SALU_CYCLE_1)
	s_cmp_lg_u32 s40, 0x2710
	s_cselect_b32 s41, -1, 0
	s_and_b32 vcc_lo, exec_lo, s41
	s_cbranch_vccz .LBB6_16617
; %bb.16616:                            ;   in Loop: Header=BB6_16615 Depth=2
	s_mov_b32 s43, -1
	s_or_b32 s29, s29, exec_lo
	s_and_saveexec_b32 s42, s41
	s_cbranch_execz .LBB6_16614
	s_branch .LBB6_16618
.LBB6_16617:                            ;   in Loop: Header=BB6_16615 Depth=2
	s_trap 2
	ds_load_b64 v[2:3], v0
	s_and_not1_b32 s41, s41, exec_lo
	s_mov_b32 s40, 0
	s_wait_storecnt_dscnt 0x0
	flat_load_b32 v0, v[2:3] scope:SCOPE_SYS
	s_wait_loadcnt_dscnt 0x0
	global_inv scope:SCOPE_SYS
	v_cmp_eq_u32_e32 vcc_lo, 0, v0
	s_and_b32 s42, vcc_lo, exec_lo
	s_delay_alu instid0(SALU_CYCLE_1)
	s_or_b32 s41, s41, s42
	s_mov_b32 s43, -1
	s_or_b32 s29, s29, exec_lo
	s_wait_xcnt 0x0
	s_and_saveexec_b32 s42, s41
	s_cbranch_execz .LBB6_16614
.LBB6_16618:                            ;   in Loop: Header=BB6_16615 Depth=2
	s_sleep 1
	s_trap 2
	ds_load_b64 v[2:3], v0
	s_wait_dscnt 0x0
	scratch_load_b64 v[4:5], off, s33 offset:220 ; 8-byte Folded Reload
	s_and_not1_b32 s29, s29, exec_lo
	s_wait_loadcnt 0x0
	v_cmp_ge_u64_e32 vcc_lo, v[2:3], v[4:5]
	s_or_not1_b32 s43, vcc_lo, exec_lo
	s_branch .LBB6_16614
.LBB6_16619:                            ;   in Loop: Header=BB6_8372 Depth=1
	s_or_b32 exec_lo, exec_lo, s27
	s_and_saveexec_b32 s27, s28
	s_delay_alu instid0(SALU_CYCLE_1)
	s_xor_b32 s27, exec_lo, s27
	s_cbranch_execz .LBB6_16621
; %bb.16620:                            ;   in Loop: Header=BB6_8372 Depth=1
	v_mov_b32_e32 v0, 1
	ds_store_b32 v0, v0
	s_trap 2
.LBB6_16621:                            ;   in Loop: Header=BB6_8372 Depth=1
	s_or_b32 exec_lo, exec_lo, s26
	;;#ASMSTART
	s_wakeup
	;;#ASMEND
.LBB6_16622:                            ;   in Loop: Header=BB6_8372 Depth=1
	s_or_b32 exec_lo, exec_lo, s25
.LBB6_16623:                            ;   in Loop: Header=BB6_8372 Depth=1
	s_and_not1_saveexec_b32 s11, s11
	s_cbranch_execz .LBB6_16625
; %bb.16624:                            ;   in Loop: Header=BB6_8372 Depth=1
	global_wb scope:SCOPE_DEV
	s_wait_storecnt 0x0
	s_wait_loadcnt_dscnt 0x0
	global_inv scope:SCOPE_DEV
	s_barrier_signal -1
	s_barrier_wait -1
.LBB6_16625:                            ;   in Loop: Header=BB6_8372 Depth=1
	s_or_b32 exec_lo, exec_lo, s11
.LBB6_16626:                            ;   in Loop: Header=BB6_8372 Depth=1
	s_delay_alu instid0(SALU_CYCLE_1) | instskip(SKIP_1) | instid1(VALU_DEP_1)
	s_or_b32 exec_lo, exec_lo, s10
	v_and_b32_e32 v0, 16, v101
	v_cmp_ne_u32_e32 vcc_lo, 0, v0
	s_and_b32 s10, vcc_lo, s7
	s_delay_alu instid0(SALU_CYCLE_1)
	s_and_saveexec_b32 s7, s10
	s_cbranch_execz .LBB6_16628
; %bb.16627:                            ;   in Loop: Header=BB6_8372 Depth=1
	global_wb scope:SCOPE_SYS
	s_wait_storecnt 0x0
	s_wait_loadcnt_dscnt 0x0
	global_inv scope:SCOPE_SYS
.LBB6_16628:                            ;   in Loop: Header=BB6_8372 Depth=1
	s_or_b32 exec_lo, exec_lo, s7
	v_and_b32_e32 v0, 32, v101
	s_mov_b32 s7, exec_lo
	s_delay_alu instid0(VALU_DEP_1)
	v_cmpx_ne_u32_e32 0, v0
	s_cbranch_execz .LBB6_16630
; %bb.16629:                            ;   in Loop: Header=BB6_8372 Depth=1
	s_wait_loadcnt 0x2
	scratch_load_b128 v[2:5], off, s33 offset:204 th:TH_LOAD_LU ; 16-byte Folded Reload
	s_wait_loadcnt 0x0
	v_add_nc_u64_e32 v[4:5], 1, v[4:5]
	s_clause 0x1
	scratch_store_b128 off, v[2:5], s33 offset:204
	scratch_load_b64 v[2:3], off, s33 offset:196
	global_wb scope:SCOPE_SYS
	s_wait_storecnt 0x0
	s_wait_xcnt 0x0
	s_wait_loadcnt_dscnt 0x0
	flat_store_b64 v[2:3], v[4:5] scope:SCOPE_SYS
.LBB6_16630:                            ;   in Loop: Header=BB6_8372 Depth=1
	s_wait_xcnt 0x0
	s_or_b32 exec_lo, exec_lo, s7
	v_mov_b32_e32 v0, v99
.LBB6_16631:                            ;   in Loop: Header=BB6_8372 Depth=1
	s_or_b32 exec_lo, exec_lo, s24
	s_and_saveexec_b32 s10, s23
	s_cbranch_execnz .LBB6_16632
; %bb.22422:                            ;   in Loop: Header=BB6_8372 Depth=1
	s_add_pc_i64 .LBB6_8371-.Lpost_addpc47
.Lpost_addpc47:
.LBB6_16632:                            ;   in Loop: Header=BB6_8372 Depth=1
	v_and_b32_e32 v2, 4, v101
	s_mov_b32 s11, exec_lo
	s_delay_alu instid0(VALU_DEP_1)
	v_cmpx_ne_u32_e32 0, v2
	s_cbranch_execz .LBB6_16654
; %bb.16633:                            ;   in Loop: Header=BB6_8372 Depth=1
	s_wait_loadcnt 0x2
	scratch_load_b128 v[2:5], off, s33 offset:204 ; 16-byte Folded Reload
	s_mov_b32 s23, exec_lo
	s_wait_loadcnt 0x0
	v_add_nc_u64_e32 v[2:3], 1, v[4:5]
	scratch_load_b64 v[4:5], off, s33 offset:188 ; 8-byte Folded Reload
	s_wait_loadcnt 0x0
	v_cmpx_lt_u64_e64 v[4:5], v[2:3]
	s_cbranch_execz .LBB6_16645
; %bb.16634:                            ;   in Loop: Header=BB6_8372 Depth=1
	v_and_b32_e32 v4, 64, v101
	s_mov_b32 s24, 0
	s_mov_b32 s28, 0
                                        ; implicit-def: $sgpr25
                                        ; implicit-def: $sgpr26
                                        ; implicit-def: $sgpr27
	s_delay_alu instid0(VALU_DEP_1)
	v_cmp_eq_u32_e32 vcc_lo, 0, v4
	s_branch .LBB6_16637
.LBB6_16635:                            ;   in Loop: Header=BB6_16637 Depth=2
	s_wait_xcnt 0x0
	s_or_b32 exec_lo, exec_lo, s43
	s_delay_alu instid0(SALU_CYCLE_1)
	s_and_not1_b32 s7, s27, exec_lo
	s_and_b32 s27, s41, exec_lo
	s_and_not1_b32 s26, s26, exec_lo
	s_and_b32 s40, s40, exec_lo
	s_or_b32 s27, s7, s27
	s_or_b32 s26, s26, s40
.LBB6_16636:                            ;   in Loop: Header=BB6_16637 Depth=2
	s_or_b32 exec_lo, exec_lo, s29
	s_delay_alu instid0(SALU_CYCLE_1) | instskip(NEXT) | instid1(SALU_CYCLE_1)
	s_and_b32 s7, exec_lo, s26
	s_or_b32 s24, s7, s24
	s_and_not1_b32 s7, s25, exec_lo
	s_and_b32 s25, s27, exec_lo
	s_delay_alu instid0(SALU_CYCLE_1)
	s_or_b32 s25, s7, s25
	s_and_not1_b32 exec_lo, exec_lo, s24
	s_cbranch_execz .LBB6_16642
.LBB6_16637:                            ;   Parent Loop BB6_8372 Depth=1
                                        ; =>  This Inner Loop Header: Depth=2
	s_sleep 1
	scratch_load_b64 v[4:5], off, s33 offset:196 ; 8-byte Folded Reload
	s_or_b32 s27, s27, exec_lo
	s_or_b32 s26, s26, exec_lo
	s_wait_loadcnt 0x0
	flat_load_b64 v[4:5], v[4:5] scope:SCOPE_SYS
	s_wait_loadcnt_dscnt 0x0
	scratch_store_b64 off, v[4:5], s33 offset:188 ; 8-byte Folded Spill
                                        ; implicit-def: $vgpr4
	s_wait_xcnt 0x0
	s_and_saveexec_b32 s29, vcc_lo
	s_cbranch_execz .LBB6_16636
; %bb.16638:                            ;   in Loop: Header=BB6_16637 Depth=2
	s_cmp_lt_i32 s28, 0x270f
	s_mov_b32 s40, -1
	s_cselect_b32 s42, -1, 0
	s_cmp_gt_i32 s28, 0x270e
	s_cbranch_scc0 .LBB6_16640
; %bb.16639:                            ;   in Loop: Header=BB6_16637 Depth=2
	s_trap 2
	ds_load_b64 v[4:5], v0
	s_and_not1_b32 s28, s42, exec_lo
	s_mov_b32 s41, 0
	s_wait_storecnt_dscnt 0x0
	flat_load_b32 v4, v[4:5] scope:SCOPE_SYS
	s_wait_loadcnt_dscnt 0x0
	global_inv scope:SCOPE_SYS
	v_cmp_eq_u32_e64 s7, 0, v4
	s_and_b32 s7, s7, exec_lo
	s_delay_alu instid0(SALU_CYCLE_1)
	s_or_b32 s42, s28, s7
	s_mov_b32 s28, 0
	s_and_saveexec_b32 s43, s42
	s_cbranch_execz .LBB6_16635
	s_branch .LBB6_16641
.LBB6_16640:                            ;   in Loop: Header=BB6_16637 Depth=2
	s_add_co_i32 s28, s28, 1
	s_mov_b32 s41, -1
                                        ; implicit-def: $vgpr4
	s_and_saveexec_b32 s43, s42
	s_cbranch_execz .LBB6_16635
.LBB6_16641:                            ;   in Loop: Header=BB6_16637 Depth=2
	scratch_load_b64 v[6:7], off, s33 offset:188 ; 8-byte Folded Reload
	s_or_b32 s41, s41, exec_lo
	s_wait_loadcnt 0x0
	v_cmp_ge_u64_e64 s7, v[6:7], v[2:3]
	s_or_not1_b32 s40, s7, exec_lo
	s_branch .LBB6_16635
.LBB6_16642:                            ;   in Loop: Header=BB6_8372 Depth=1
	s_or_b32 exec_lo, exec_lo, s24
	s_xor_b32 s7, s25, -1
	s_delay_alu instid0(SALU_CYCLE_1) | instskip(NEXT) | instid1(SALU_CYCLE_1)
	s_and_saveexec_b32 s24, s7
	s_xor_b32 s7, exec_lo, s24
	s_cbranch_execz .LBB6_16644
; %bb.16643:                            ;   in Loop: Header=BB6_8372 Depth=1
	v_or_b32_e32 v101, 64, v101
	s_wait_loadcnt 0x0
	s_wait_storecnt 0x0
	ds_store_b32 v0, v4
	s_trap 2
.LBB6_16644:                            ;   in Loop: Header=BB6_8372 Depth=1
	s_or_b32 exec_lo, exec_lo, s7
.LBB6_16645:                            ;   in Loop: Header=BB6_8372 Depth=1
	s_delay_alu instid0(SALU_CYCLE_1) | instskip(SKIP_4) | instid1(VALU_DEP_1)
	s_or_b32 exec_lo, exec_lo, s23
	scratch_load_b128 v[6:9], off, s33 offset:204 ; 16-byte Folded Reload
	v_and_b32_e32 v5, 0x100, v101
	s_mov_b32 s7, -1
	;;#ASMSTART
	s_wakeup
	;;#ASMEND
                                        ; implicit-def: $vgpr6_vgpr7
	v_cmp_ne_u32_e32 vcc_lo, 0, v5
	s_wait_loadcnt 0x0
	v_dual_mov_b32 v5, v1 :: v_dual_bitop2_b32 v4, 7, v8 bitop3:0x40
	s_wait_xcnt 0x0
	s_and_saveexec_b32 s23, vcc_lo
	s_cbranch_execz .LBB6_16649
; %bb.16646:                            ;   in Loop: Header=BB6_8372 Depth=1
	scratch_load_b128 v[6:9], off, s33 offset:204 ; 16-byte Folded Reload
	s_wait_loadcnt 0x0
	v_mad_nc_u64_u32 v[8:9], v4, 24, v[6:7]
	flat_load_b32 v6, v[8:9]
	s_wait_loadcnt_dscnt 0x0
	v_cmp_eq_u32_e64 s7, 1, v6
	v_cmp_ne_u32_e32 vcc_lo, 1, v6
                                        ; implicit-def: $vgpr6_vgpr7
	s_wait_xcnt 0x0
	s_and_saveexec_b32 s24, s7
	s_cbranch_execz .LBB6_16648
; %bb.16647:                            ;   in Loop: Header=BB6_8372 Depth=1
	flat_load_b32 v6, v[8:9] offset:4 scope:SCOPE_SYS
	s_wait_loadcnt_dscnt 0x0
	v_ashrrev_i32_e32 v7, 31, v6
.LBB6_16648:                            ;   in Loop: Header=BB6_8372 Depth=1
	s_wait_xcnt 0x0
	s_or_b32 exec_lo, exec_lo, s24
	s_delay_alu instid0(SALU_CYCLE_1)
	s_or_not1_b32 s7, vcc_lo, exec_lo
.LBB6_16649:                            ;   in Loop: Header=BB6_8372 Depth=1
	s_or_b32 exec_lo, exec_lo, s23
	s_and_saveexec_b32 s23, s7
	s_cbranch_execz .LBB6_16651
; %bb.16650:                            ;   in Loop: Header=BB6_8372 Depth=1
	scratch_load_b64 v[6:7], off, s33 offset:460 ; 8-byte Folded Reload
	s_wait_loadcnt 0x0
	v_mul_u64_e32 v[6:7], v[4:5], v[6:7]
.LBB6_16651:                            ;   in Loop: Header=BB6_8372 Depth=1
	s_wait_xcnt 0x0
	s_or_b32 exec_lo, exec_lo, s23
	scratch_load_b64 v[4:5], off, s33 offset:448 ; 8-byte Folded Reload
	v_and_b32_e32 v8, 0x2000, v101
	s_mov_b32 s7, exec_lo
	s_wait_loadcnt 0x0
	v_add_nc_u64_e32 v[4:5], v[4:5], v[6:7]
	ds_store_b64 v0, v[4:5] offset:728
	s_wait_xcnt 0x0
	v_cmpx_ne_u32_e32 0, v8
	s_cbranch_execz .LBB6_16653
; %bb.16652:                            ;   in Loop: Header=BB6_8372 Depth=1
	ds_load_b64 v[4:5], v0 offset:872
	s_wait_dscnt 0x0
	v_add_nc_u64_e32 v[4:5], 1, v[4:5]
	ds_store_b64 v0, v[4:5] offset:872
.LBB6_16653:                            ;   in Loop: Header=BB6_8372 Depth=1
	s_or_b32 exec_lo, exec_lo, s7
	scratch_load_b128 v[4:7], off, s33 offset:204 ; 16-byte Folded Reload
	s_wait_loadcnt 0x0
	v_mov_b64_e32 v[6:7], v[2:3]
	scratch_store_b128 off, v[4:7], s33 offset:204 ; 16-byte Folded Spill
.LBB6_16654:                            ;   in Loop: Header=BB6_8372 Depth=1
	s_wait_xcnt 0x0
	s_or_b32 exec_lo, exec_lo, s11
	s_and_saveexec_b32 s7, s2
	s_cbranch_execz .LBB6_16673
; %bb.16655:                            ;   in Loop: Header=BB6_8372 Depth=1
	s_and_saveexec_b32 s11, s3
	s_delay_alu instid0(SALU_CYCLE_1)
	s_xor_b32 s11, exec_lo, s11
	s_cbranch_execz .LBB6_16670
; %bb.16656:                            ;   in Loop: Header=BB6_8372 Depth=1
	s_and_saveexec_b32 s23, s4
	s_cbranch_execz .LBB6_16669
; %bb.16657:                            ;   in Loop: Header=BB6_8372 Depth=1
	s_mov_b32 s25, exec_lo
	s_mov_b32 s24, exec_lo
	v_mbcnt_lo_u32_b32 v2, s25, 0
	global_wb scope:SCOPE_DEV
	s_wait_storecnt 0x0
	s_wait_loadcnt_dscnt 0x0
	global_inv scope:SCOPE_DEV
	v_cmpx_eq_u32_e32 0, v2
	s_cbranch_execz .LBB6_16659
; %bb.16658:                            ;   in Loop: Header=BB6_8372 Depth=1
	s_bcnt1_i32_b32 s25, s25
	s_delay_alu instid0(SALU_CYCLE_1)
	v_dual_mov_b32 v3, v1 :: v_dual_mov_b32 v2, s25
	s_wait_loadcnt 0x0
	ds_add_u64 v0, v[2:3]
	s_trap 2
.LBB6_16659:                            ;   in Loop: Header=BB6_8372 Depth=1
	s_or_b32 exec_lo, exec_lo, s24
	s_trap 2
	ds_load_b64 v[2:3], v0
	s_wait_dscnt 0x0
	s_clause 0x1
	scratch_load_b64 v[4:5], off, s33 offset:220 th:TH_LOAD_LU
	scratch_load_b64 v[6:7], off, s33 offset:276
	s_mov_b32 s24, exec_lo
	s_wait_loadcnt 0x0
	v_add_nc_u64_e32 v[4:5], v[4:5], v[6:7]
	scratch_store_b64 off, v[4:5], s33 offset:220 ; 8-byte Folded Spill
	s_wait_xcnt 0x0
	v_cmpx_lt_u64_e64 v[2:3], v[4:5]
	s_cbranch_execz .LBB6_16668
; %bb.16660:                            ;   in Loop: Header=BB6_8372 Depth=1
	s_mov_b32 s25, 0
	s_mov_b32 s28, 0
                                        ; implicit-def: $sgpr26
                                        ; implicit-def: $sgpr27
	s_branch .LBB6_16662
.LBB6_16661:                            ;   in Loop: Header=BB6_16662 Depth=2
	s_wait_xcnt 0x0
	s_or_b32 exec_lo, exec_lo, s40
	s_delay_alu instid0(SALU_CYCLE_1) | instskip(NEXT) | instid1(SALU_CYCLE_1)
	s_and_b32 s29, exec_lo, s41
	s_or_b32 s25, s29, s25
	s_and_not1_b32 s26, s26, exec_lo
	s_and_b32 s29, s27, exec_lo
	s_delay_alu instid0(SALU_CYCLE_1)
	s_or_b32 s26, s26, s29
	s_and_not1_b32 exec_lo, exec_lo, s25
	s_cbranch_execz .LBB6_16666
.LBB6_16662:                            ;   Parent Loop BB6_8372 Depth=1
                                        ; =>  This Inner Loop Header: Depth=2
	s_add_co_i32 s28, s28, 1
	s_delay_alu instid0(SALU_CYCLE_1) | instskip(SKIP_1) | instid1(SALU_CYCLE_1)
	s_cmp_lg_u32 s28, 0x2710
	s_cselect_b32 s29, -1, 0
	s_and_b32 vcc_lo, exec_lo, s29
	s_cbranch_vccz .LBB6_16664
; %bb.16663:                            ;   in Loop: Header=BB6_16662 Depth=2
	s_mov_b32 s41, -1
	s_or_b32 s27, s27, exec_lo
	s_and_saveexec_b32 s40, s29
	s_cbranch_execz .LBB6_16661
	s_branch .LBB6_16665
.LBB6_16664:                            ;   in Loop: Header=BB6_16662 Depth=2
	s_trap 2
	ds_load_b64 v[2:3], v0
	s_and_not1_b32 s29, s29, exec_lo
	s_mov_b32 s28, 0
	s_wait_storecnt_dscnt 0x0
	flat_load_b32 v2, v[2:3] scope:SCOPE_SYS
	s_wait_loadcnt_dscnt 0x0
	global_inv scope:SCOPE_SYS
	v_cmp_eq_u32_e32 vcc_lo, 0, v2
	s_and_b32 s40, vcc_lo, exec_lo
	s_delay_alu instid0(SALU_CYCLE_1)
	s_or_b32 s29, s29, s40
	s_mov_b32 s41, -1
	s_or_b32 s27, s27, exec_lo
	s_wait_xcnt 0x0
	s_and_saveexec_b32 s40, s29
	s_cbranch_execz .LBB6_16661
.LBB6_16665:                            ;   in Loop: Header=BB6_16662 Depth=2
	s_sleep 1
	s_trap 2
	ds_load_b64 v[2:3], v0
	s_wait_dscnt 0x0
	scratch_load_b64 v[4:5], off, s33 offset:220 ; 8-byte Folded Reload
	s_and_not1_b32 s27, s27, exec_lo
	s_wait_loadcnt 0x0
	v_cmp_ge_u64_e32 vcc_lo, v[2:3], v[4:5]
	s_or_not1_b32 s41, vcc_lo, exec_lo
	s_branch .LBB6_16661
.LBB6_16666:                            ;   in Loop: Header=BB6_8372 Depth=1
	s_or_b32 exec_lo, exec_lo, s25
	s_and_saveexec_b32 s25, s26
	s_delay_alu instid0(SALU_CYCLE_1)
	s_xor_b32 s25, exec_lo, s25
	s_cbranch_execz .LBB6_16668
; %bb.16667:                            ;   in Loop: Header=BB6_8372 Depth=1
	v_mov_b32_e32 v2, 1
	ds_store_b32 v0, v2
	s_trap 2
.LBB6_16668:                            ;   in Loop: Header=BB6_8372 Depth=1
	s_or_b32 exec_lo, exec_lo, s24
	;;#ASMSTART
	s_wakeup
	;;#ASMEND
.LBB6_16669:                            ;   in Loop: Header=BB6_8372 Depth=1
	s_or_b32 exec_lo, exec_lo, s23
.LBB6_16670:                            ;   in Loop: Header=BB6_8372 Depth=1
	s_and_not1_saveexec_b32 s11, s11
	s_cbranch_execz .LBB6_16672
; %bb.16671:                            ;   in Loop: Header=BB6_8372 Depth=1
	global_wb scope:SCOPE_DEV
	s_wait_storecnt 0x0
	s_wait_loadcnt_dscnt 0x0
	global_inv scope:SCOPE_DEV
	s_barrier_signal -1
	s_barrier_wait -1
.LBB6_16672:                            ;   in Loop: Header=BB6_8372 Depth=1
	s_or_b32 exec_lo, exec_lo, s11
.LBB6_16673:                            ;   in Loop: Header=BB6_8372 Depth=1
	s_delay_alu instid0(SALU_CYCLE_1)
	s_or_b32 exec_lo, exec_lo, s7
	s_trap 2
	ds_load_b32 v2, v0
	s_wait_loadcnt 0x0
	v_sub_nc_u32_e32 v0, v14, v0
	s_wait_dscnt 0x0
	v_readfirstlane_b32 s7, v2
	v_and_b32_e32 v2, 16, v101
	s_delay_alu instid0(VALU_DEP_3) | instskip(SKIP_1) | instid1(VALU_DEP_2)
	v_min_i32_e32 v0, v99, v0
	s_cmp_eq_u32 s7, 0
	v_cmp_ne_u32_e64 s7, 0, v2
	s_delay_alu instid0(VALU_DEP_2) | instskip(SKIP_1) | instid1(SALU_CYCLE_1)
	v_cmp_lt_i32_e32 vcc_lo, 0, v0
	s_cselect_b32 s11, -1, 0
	s_and_b32 s11, vcc_lo, s11
	s_delay_alu instid0(SALU_CYCLE_1) | instskip(NEXT) | instid1(SALU_CYCLE_1)
	s_and_b32 s11, s7, s11
	s_and_saveexec_b32 s7, s11
	s_cbranch_execz .LBB6_16675
; %bb.16674:                            ;   in Loop: Header=BB6_8372 Depth=1
	global_wb scope:SCOPE_SYS
	s_wait_storecnt 0x0
	global_inv scope:SCOPE_SYS
.LBB6_16675:                            ;   in Loop: Header=BB6_8372 Depth=1
	s_or_b32 exec_lo, exec_lo, s7
	v_and_b32_e32 v0, 32, v101
	s_mov_b32 s7, exec_lo
	s_delay_alu instid0(VALU_DEP_1)
	v_cmpx_ne_u32_e32 0, v0
	s_cbranch_execnz .LBB6_16676
; %bb.22424:                            ;   in Loop: Header=BB6_8372 Depth=1
	s_add_pc_i64 .LBB6_8370-.Lpost_addpc48
.Lpost_addpc48:
.LBB6_16676:                            ;   in Loop: Header=BB6_8372 Depth=1
	scratch_load_b128 v[2:5], off, s33 offset:204 th:TH_LOAD_LU ; 16-byte Folded Reload
	s_wait_loadcnt 0x0
	v_add_nc_u64_e32 v[4:5], 1, v[4:5]
	s_clause 0x1
	scratch_store_b128 off, v[2:5], s33 offset:204
	scratch_load_b64 v[2:3], off, s33 offset:196
	global_wb scope:SCOPE_SYS
	s_wait_loadcnt 0x0
	s_wait_storecnt 0x0
	s_wait_xcnt 0x0
	flat_store_b64 v[2:3], v[4:5] scope:SCOPE_SYS
; %bb.22378:                            ;   in Loop: Header=BB6_8372 Depth=1
	s_add_pc_i64 .LBB6_8370-.Lpost_addpc25
.Lpost_addpc25:
.LBB6_16677:
	s_or_b32 exec_lo, exec_lo, s20
.LBB6_16678:
	s_delay_alu instid0(SALU_CYCLE_1)
	s_or_b32 exec_lo, exec_lo, s18
.LBB6_16679:
	s_delay_alu instid0(SALU_CYCLE_1)
	s_or_b32 exec_lo, exec_lo, s17
                                        ; implicit-def: $vgpr0_vgpr1
                                        ; kill: killed $vgpr0_vgpr1
                                        ; implicit-def: $vgpr7
                                        ; implicit-def: $vgpr0_vgpr1
	s_clause 0x1
	scratch_store_b128 off, v[0:3], s33 offset:408
	; meta instruction
	; meta instruction
	;; [unrolled: 1-line block ×3, first 2 shown]
	scratch_store_b64 off, v[0:1], s33 offset:460
                                        ; implicit-def: $vgpr0_vgpr1
                                        ; kill: killed $vgpr0_vgpr1
                                        ; implicit-def: $vgpr0_vgpr1
                                        ; kill: killed $vgpr0_vgpr1
	;; [unrolled: 2-line block ×3, first 2 shown]
                                        ; implicit-def: $vgpr0
                                        ; kill: killed $vgpr0
                                        ; implicit-def: $vgpr0_vgpr1
                                        ; kill: killed $vgpr0_vgpr1
.LBB6_16680:
	s_wait_xcnt 0x0
	s_and_not1_saveexec_b32 s16, s16
	s_cbranch_execnz .LBB6_16681
; %bb.22426:
	s_add_pc_i64 .LBB6_22327-.Lpost_addpc49
.Lpost_addpc49:
.LBB6_16681:
	v_mov_b64_e32 v[0:1], 0
	s_mov_b32 s17, exec_lo
	s_clause 0x1
	scratch_store_b64 off, v[0:1], s33 offset:220
	scratch_load_b128 v[0:3], off, s33 offset:408
	s_wait_loadcnt 0x0
	v_cmpx_ne_u64_e32 0, v[0:1]
	s_cbranch_execnz .LBB6_16682
; %bb.22428:
	s_add_pc_i64 .LBB6_22326-.Lpost_addpc50
.Lpost_addpc50:
.LBB6_16682:
	s_clause 0x4
	scratch_load_b32 v1, off, s33 offset:480
	scratch_load_b32 v2, off, s33 offset:456
	scratch_load_b64 v[4:5], off, s33 offset:460
	scratch_load_b32 v0, off, s33 offset:500
	scratch_load_b32 v3, off, s33 offset:504
	s_ashr_i32 s2, s15, 31
	v_mov_b64_e32 v[84:85], 0
	s_lshr_b32 s2, s2, 24
	v_dual_mov_b32 v71, 1 :: v_dual_mov_b32 v30, 0x7c
	s_add_co_i32 s15, s15, s2
	v_mov_b32_e32 v29, 0x7f800000
	s_ashr_i32 s15, s15, 8
	s_mov_b64 s[12:13], 0xffffffffffffff
	s_mov_b32 s18, 0
	s_mov_b32 s20, 0x7f800000
	v_mov_b32_e32 v55, 0
	s_delay_alu instid0(VALU_DEP_1)
	v_dual_mov_b32 v41, v55 :: v_dual_mov_b32 v87, v55
	v_dual_mov_b32 v81, v55 :: v_dual_mov_b32 v83, v55
	s_wait_loadcnt 0x4
	v_lshrrev_b32_e32 v40, 5, v1
	s_wait_loadcnt 0x3
	v_cmp_ge_u32_e64 s1, v2, v1
	s_wait_loadcnt 0x2
	v_ashrrev_i32_e32 v5, 31, v4
	s_wait_loadcnt 0x1
	v_and_b32_e32 v0, 31, v0
	v_cmp_eq_u32_e32 vcc_lo, 32, v1
	v_cmp_ne_u32_e64 s2, 32, v1
	s_wait_loadcnt 0x0
	v_cmp_ne_u32_e64 s3, v1, v3
	scratch_store_b64 off, v[4:5], s33 offset:460 ; 8-byte Folded Spill
	s_wait_xcnt 0x0
	v_and_b32_e32 v4, 31, v2
	v_cmp_eq_u32_e64 s4, 0, v0
	v_dual_lshrrev_b32 v70, 5, v2 :: v_dual_lshlrev_b32 v2, 12, v40
	s_delay_alu instid0(VALU_DEP_3)
	v_dual_mov_b32 v3, v55 :: v_dual_lshlrev_b32 v0, 4, v4
	v_and_b32_e32 v86, 0x1fe0, v1
	v_mov_b32_e32 v1, v55
	v_cmp_eq_u32_e64 s5, 0, v4
	v_cmp_lt_u32_e64 s6, v4, v7
	v_lshl_or_b32 v0, v70, 12, v0
	scratch_store_b32 off, v4, s33 offset:528 ; 4-byte Folded Spill
	v_dual_lshlrev_b32 v80, 9, v40 :: v_dual_lshlrev_b32 v82, 10, v40
	s_xor_b32 s19, vcc_lo, -1
	scratch_store_b64 off, v[0:1], s33 offset:424 ; 8-byte Folded Spill
	s_wait_xcnt 0x0
	v_mov_b64_e32 v[0:1], 0
	s_clause 0x2
	scratch_store_b64 off, v[2:3], s33 offset:440
	scratch_load_b64 v[2:3], off, s33 offset:484
	scratch_store_b64 off, v[0:1], s33 offset:220
	s_trap 2
	s_wait_loadcnt 0x0
	v_cmp_ne_u64_e64 s7, 0, v[2:3]
	s_clause 0x5
	scratch_load_b128 v[0:3], off, s33 offset:408
	scratch_load_b64 v[4:5], off, s33 offset:432
	scratch_store_b32 off, v70, s33 offset:532
	scratch_store_b64 off, v[80:81], s33 offset:536
	scratch_store_b64 off, v[82:83], s33 offset:544
	scratch_store_b64 off, v[86:87], s33 offset:552
	s_branch .LBB6_16686
.LBB6_16683:                            ;   in Loop: Header=BB6_16686 Depth=1
	s_wait_xcnt 0x0
	s_or_b32 exec_lo, exec_lo, s21
	scratch_load_b128 v[0:3], off, s33 offset:204 th:TH_LOAD_LU ; 16-byte Folded Reload
	s_wait_loadcnt 0x0
	v_add_nc_u64_e32 v[2:3], 1, v[2:3]
	s_clause 0x1
	scratch_store_b128 off, v[0:3], s33 offset:204
	scratch_load_b64 v[0:1], off, s33 offset:196
	global_wb scope:SCOPE_SYS
	s_wait_storecnt 0x0
	s_wait_xcnt 0x0
	s_wait_loadcnt_dscnt 0x0
	flat_store_b64 v[0:1], v[2:3] scope:SCOPE_SYS
.LBB6_16684:                            ;   in Loop: Header=BB6_16686 Depth=1
	s_wait_xcnt 0x0
	s_or_b32 exec_lo, exec_lo, s10
.LBB6_16685:                            ;   in Loop: Header=BB6_16686 Depth=1
	s_delay_alu instid0(SALU_CYCLE_1)
	s_or_b32 exec_lo, exec_lo, s11
	s_clause 0x1
	scratch_load_b64 v[4:5], off, s33 offset:432
	scratch_load_b128 v[0:3], off, s33 offset:408
	s_wait_loadcnt 0x1
	v_add_nc_u64_e32 v[84:85], v[84:85], v[4:5]
	s_wait_loadcnt 0x0
	s_delay_alu instid0(VALU_DEP_1)
	v_cmp_ge_u64_e32 vcc_lo, v[84:85], v[0:1]
	s_or_b32 s18, vcc_lo, s18
	s_wait_xcnt 0x0
	s_and_not1_b32 exec_lo, exec_lo, s18
	s_cbranch_execnz .LBB6_16686
; %bb.22430:
	s_add_pc_i64 .LBB6_22325-.Lpost_addpc51
.Lpost_addpc51:
.LBB6_16686:                            ; =>This Loop Header: Depth=1
                                        ;     Child Loop BB6_16694 Depth 2
                                        ;     Child Loop BB6_16719 Depth 2
	;; [unrolled: 1-line block ×10, first 2 shown]
	s_wait_loadcnt 0x1
	v_sub_nc_u64_e32 v[0:1], v[0:1], v[84:85]
	s_wait_loadcnt 0x0
	s_delay_alu instid0(VALU_DEP_1) | instskip(NEXT) | instid1(VALU_DEP_1)
	v_min_u64 v[96:97], v[4:5], v[0:1]
	v_add_nc_u32_e32 v0, 15, v96
	s_delay_alu instid0(VALU_DEP_2) | instskip(NEXT) | instid1(VALU_DEP_2)
	v_cmp_eq_u64_e32 vcc_lo, 0, v[96:97]
	v_and_b32_e32 v0, 0x7ffffff0, v0
	s_or_b32 s21, s1, vcc_lo
	s_delay_alu instid0(SALU_CYCLE_1) | instskip(NEXT) | instid1(VALU_DEP_1)
	s_xor_b32 s10, s21, -1
	v_dual_mov_b32 v0, v55 :: v_dual_max_i32 v102, s15, v0
	s_wait_xcnt 0x0
	s_and_saveexec_b32 s22, s10
	s_cbranch_execnz .LBB6_16687
; %bb.22432:                            ;   in Loop: Header=BB6_16686 Depth=1
	s_add_pc_i64 .LBB6_22278-.Lpost_addpc52
.Lpost_addpc52:
.LBB6_16687:                            ;   in Loop: Header=BB6_16686 Depth=1
	s_and_saveexec_b32 s10, s0
	s_cbranch_execz .LBB6_16689
; %bb.16688:                            ;   in Loop: Header=BB6_16686 Depth=1
	s_trap 2
	scratch_load_b64 v[2:3], off, s33 offset:472 ; 8-byte Folded Reload
	ds_load_b64 v[0:1], v0
	s_wait_loadcnt_dscnt 0x0
	v_add_nc_u64_e32 v[0:1], v[0:1], v[2:3]
	v_mov_b64_e32 v[2:3], 0
	s_delay_alu instid0(VALU_DEP_2)
	v_add_nc_u64_e32 v[0:1], v[0:1], v[84:85]
	ds_store_b64 v0, v[0:1]
	ds_store_b64 v0, v[2:3]
.LBB6_16689:                            ;   in Loop: Header=BB6_16686 Depth=1
	s_wait_xcnt 0x0
	s_or_b32 exec_lo, exec_lo, s10
	v_and_b32_e32 v0, 8, v101
	v_min_u32_e32 v102, v102, v96
	s_mov_b32 s11, exec_lo
	s_delay_alu instid0(VALU_DEP_2)
	v_cmpx_ne_u32_e32 0, v0
	s_cbranch_execz .LBB6_16711
; %bb.16690:                            ;   in Loop: Header=BB6_16686 Depth=1
	s_clause 0x1
	scratch_load_b64 v[0:1], off, s33 offset:188
	scratch_load_b128 v[4:7], off, s33 offset:204
	s_mov_b32 s23, exec_lo
	s_wait_loadcnt 0x1
	v_add_nc_u64_e32 v[2:3], 8, v[0:1]
	s_wait_loadcnt 0x0
	v_add_nc_u64_e32 v[0:1], 1, v[6:7]
	s_wait_xcnt 0x0
	s_delay_alu instid0(VALU_DEP_1)
	v_cmpx_lt_u64_e64 v[2:3], v[0:1]
	s_cbranch_execz .LBB6_16702
; %bb.16691:                            ;   in Loop: Header=BB6_16686 Depth=1
	v_and_b32_e32 v2, 64, v101
	s_mov_b32 s24, 0
	s_mov_b32 s28, 0
                                        ; implicit-def: $sgpr25
                                        ; implicit-def: $sgpr26
                                        ; implicit-def: $sgpr27
	s_delay_alu instid0(VALU_DEP_1)
	v_cmp_eq_u32_e32 vcc_lo, 0, v2
	s_branch .LBB6_16694
.LBB6_16692:                            ;   in Loop: Header=BB6_16694 Depth=2
	s_wait_xcnt 0x0
	s_or_b32 exec_lo, exec_lo, s43
	s_delay_alu instid0(SALU_CYCLE_1)
	s_and_not1_b32 s10, s27, exec_lo
	s_and_b32 s27, s41, exec_lo
	s_and_not1_b32 s26, s26, exec_lo
	s_and_b32 s40, s40, exec_lo
	s_or_b32 s27, s10, s27
	s_or_b32 s26, s26, s40
.LBB6_16693:                            ;   in Loop: Header=BB6_16694 Depth=2
	s_or_b32 exec_lo, exec_lo, s29
	s_delay_alu instid0(SALU_CYCLE_1) | instskip(NEXT) | instid1(SALU_CYCLE_1)
	s_and_b32 s10, exec_lo, s26
	s_or_b32 s24, s10, s24
	s_and_not1_b32 s10, s25, exec_lo
	s_and_b32 s25, s27, exec_lo
	s_delay_alu instid0(SALU_CYCLE_1)
	s_or_b32 s25, s10, s25
	s_and_not1_b32 exec_lo, exec_lo, s24
	s_cbranch_execz .LBB6_16699
.LBB6_16694:                            ;   Parent Loop BB6_16686 Depth=1
                                        ; =>  This Inner Loop Header: Depth=2
	s_sleep 1
	scratch_load_b64 v[2:3], off, s33 offset:196 ; 8-byte Folded Reload
	s_or_b32 s27, s27, exec_lo
	s_or_b32 s26, s26, exec_lo
	s_wait_loadcnt 0x0
	flat_load_b64 v[2:3], v[2:3] scope:SCOPE_SYS
	s_wait_loadcnt_dscnt 0x0
	scratch_store_b64 off, v[2:3], s33 offset:188 ; 8-byte Folded Spill
                                        ; implicit-def: $vgpr2
	s_wait_xcnt 0x0
	s_and_saveexec_b32 s29, vcc_lo
	s_cbranch_execz .LBB6_16693
; %bb.16695:                            ;   in Loop: Header=BB6_16694 Depth=2
	s_cmp_lt_i32 s28, 0x270f
	s_mov_b32 s40, -1
	s_cselect_b32 s42, -1, 0
	s_cmp_gt_i32 s28, 0x270e
	s_cbranch_scc0 .LBB6_16697
; %bb.16696:                            ;   in Loop: Header=BB6_16694 Depth=2
	s_trap 2
	ds_load_b64 v[2:3], v0
	s_and_not1_b32 s28, s42, exec_lo
	s_mov_b32 s41, 0
	s_wait_storecnt_dscnt 0x0
	flat_load_b32 v2, v[2:3] scope:SCOPE_SYS
	s_wait_loadcnt_dscnt 0x0
	global_inv scope:SCOPE_SYS
	v_cmp_eq_u32_e64 s10, 0, v2
	s_and_b32 s10, s10, exec_lo
	s_delay_alu instid0(SALU_CYCLE_1)
	s_or_b32 s42, s28, s10
	s_mov_b32 s28, 0
	s_wait_xcnt 0x0
	s_and_saveexec_b32 s43, s42
	s_cbranch_execz .LBB6_16692
	s_branch .LBB6_16698
.LBB6_16697:                            ;   in Loop: Header=BB6_16694 Depth=2
	s_add_co_i32 s28, s28, 1
	s_mov_b32 s41, -1
                                        ; implicit-def: $vgpr2
	s_and_saveexec_b32 s43, s42
	s_cbranch_execz .LBB6_16692
.LBB6_16698:                            ;   in Loop: Header=BB6_16694 Depth=2
	scratch_load_b64 v[4:5], off, s33 offset:188 ; 8-byte Folded Reload
	s_or_b32 s41, s41, exec_lo
	s_wait_loadcnt 0x0
	v_add_nc_u64_e32 v[4:5], 8, v[4:5]
	s_delay_alu instid0(VALU_DEP_1)
	v_cmp_ge_u64_e64 s10, v[4:5], v[0:1]
	s_or_not1_b32 s40, s10, exec_lo
	s_branch .LBB6_16692
.LBB6_16699:                            ;   in Loop: Header=BB6_16686 Depth=1
	s_or_b32 exec_lo, exec_lo, s24
	s_xor_b32 s10, s25, -1
	s_delay_alu instid0(SALU_CYCLE_1) | instskip(NEXT) | instid1(SALU_CYCLE_1)
	s_and_saveexec_b32 s24, s10
	s_xor_b32 s10, exec_lo, s24
	s_cbranch_execz .LBB6_16701
; %bb.16700:                            ;   in Loop: Header=BB6_16686 Depth=1
	v_or_b32_e32 v101, 64, v101
	s_wait_loadcnt 0x0
	s_wait_storecnt 0x0
	ds_store_b32 v0, v2
	s_trap 2
.LBB6_16701:                            ;   in Loop: Header=BB6_16686 Depth=1
	s_or_b32 exec_lo, exec_lo, s10
.LBB6_16702:                            ;   in Loop: Header=BB6_16686 Depth=1
	s_delay_alu instid0(SALU_CYCLE_1) | instskip(SKIP_4) | instid1(VALU_DEP_1)
	s_or_b32 exec_lo, exec_lo, s23
	scratch_load_b128 v[4:7], off, s33 offset:204 ; 16-byte Folded Reload
	v_and_b32_e32 v3, 0x100, v101
	s_mov_b32 s10, -1
	;;#ASMSTART
	s_wakeup
	;;#ASMEND
                                        ; implicit-def: $vgpr4_vgpr5
	v_cmp_ne_u32_e32 vcc_lo, 0, v3
	s_wait_loadcnt 0x0
	v_dual_mov_b32 v3, v55 :: v_dual_bitop2_b32 v2, 7, v6 bitop3:0x40
	s_wait_xcnt 0x0
	s_and_saveexec_b32 s23, vcc_lo
	s_cbranch_execz .LBB6_16706
; %bb.16703:                            ;   in Loop: Header=BB6_16686 Depth=1
	scratch_load_b128 v[4:7], off, s33 offset:204 ; 16-byte Folded Reload
	v_mov_b32_e32 v103, v55
	s_wait_loadcnt 0x0
	v_mad_nc_u64_u32 v[6:7], v2, 24, v[4:5]
	s_clause 0x1
	flat_load_b32 v4, v[6:7]
	flat_store_b64 v[6:7], v[102:103] offset:8
	s_wait_loadcnt_dscnt 0x1
	v_cmp_eq_u32_e64 s10, 1, v4
	v_cmp_ne_u32_e32 vcc_lo, 1, v4
                                        ; implicit-def: $vgpr4_vgpr5
	s_wait_xcnt 0x0
	s_and_saveexec_b32 s24, s10
	s_cbranch_execz .LBB6_16705
; %bb.16704:                            ;   in Loop: Header=BB6_16686 Depth=1
	flat_load_b32 v4, v[6:7] offset:4 scope:SCOPE_SYS
	s_wait_loadcnt_dscnt 0x0
	v_ashrrev_i32_e32 v5, 31, v4
.LBB6_16705:                            ;   in Loop: Header=BB6_16686 Depth=1
	s_wait_xcnt 0x0
	s_or_b32 exec_lo, exec_lo, s24
	s_delay_alu instid0(SALU_CYCLE_1)
	s_or_not1_b32 s10, vcc_lo, exec_lo
.LBB6_16706:                            ;   in Loop: Header=BB6_16686 Depth=1
	s_or_b32 exec_lo, exec_lo, s23
	s_and_saveexec_b32 s23, s10
	s_cbranch_execz .LBB6_16708
; %bb.16707:                            ;   in Loop: Header=BB6_16686 Depth=1
	scratch_load_b64 v[4:5], off, s33 offset:460 ; 8-byte Folded Reload
	s_wait_loadcnt 0x0
	v_mul_u64_e32 v[4:5], v[2:3], v[4:5]
.LBB6_16708:                            ;   in Loop: Header=BB6_16686 Depth=1
	s_wait_xcnt 0x0
	s_or_b32 exec_lo, exec_lo, s23
	scratch_load_b64 v[2:3], off, s33 offset:448 ; 8-byte Folded Reload
	v_and_b32_e32 v6, 0x2000, v101
	s_mov_b32 s10, exec_lo
	s_wait_loadcnt 0x0
	v_add_nc_u64_e32 v[2:3], v[2:3], v[4:5]
	ds_store_b64 v0, v[2:3] offset:784
	s_wait_xcnt 0x0
	v_cmpx_ne_u32_e32 0, v6
	s_cbranch_execz .LBB6_16710
; %bb.16709:                            ;   in Loop: Header=BB6_16686 Depth=1
	ds_load_b64 v[2:3], v0 offset:872
	s_wait_dscnt 0x0
	v_add_nc_u64_e32 v[2:3], 1, v[2:3]
	ds_store_b64 v0, v[2:3] offset:872
.LBB6_16710:                            ;   in Loop: Header=BB6_16686 Depth=1
	s_or_b32 exec_lo, exec_lo, s10
	scratch_load_b128 v[2:5], off, s33 offset:204 ; 16-byte Folded Reload
	s_wait_loadcnt 0x0
	v_mov_b64_e32 v[4:5], v[0:1]
	scratch_store_b128 off, v[2:5], s33 offset:204 ; 16-byte Folded Spill
.LBB6_16711:                            ;   in Loop: Header=BB6_16686 Depth=1
	s_wait_xcnt 0x0
	s_or_b32 exec_lo, exec_lo, s11
	s_and_saveexec_b32 s10, s2
	s_cbranch_execz .LBB6_16730
; %bb.16712:                            ;   in Loop: Header=BB6_16686 Depth=1
	s_and_saveexec_b32 s11, s3
	s_delay_alu instid0(SALU_CYCLE_1)
	s_xor_b32 s11, exec_lo, s11
	s_cbranch_execz .LBB6_16727
; %bb.16713:                            ;   in Loop: Header=BB6_16686 Depth=1
	s_and_saveexec_b32 s23, s4
	s_cbranch_execz .LBB6_16726
; %bb.16714:                            ;   in Loop: Header=BB6_16686 Depth=1
	s_mov_b32 s25, exec_lo
	s_mov_b32 s24, exec_lo
	v_mbcnt_lo_u32_b32 v0, s25, 0
	global_wb scope:SCOPE_DEV
	s_wait_storecnt_dscnt 0x0
	global_inv scope:SCOPE_DEV
	v_cmpx_eq_u32_e32 0, v0
	s_cbranch_execz .LBB6_16716
; %bb.16715:                            ;   in Loop: Header=BB6_16686 Depth=1
	s_bcnt1_i32_b32 s25, s25
	s_delay_alu instid0(SALU_CYCLE_1)
	v_dual_mov_b32 v1, v55 :: v_dual_mov_b32 v0, s25
	s_wait_loadcnt 0x0
	ds_add_u64 v0, v[0:1]
	s_trap 2
.LBB6_16716:                            ;   in Loop: Header=BB6_16686 Depth=1
	s_or_b32 exec_lo, exec_lo, s24
	s_trap 2
	ds_load_b64 v[0:1], v0
	s_wait_dscnt 0x0
	scratch_load_b64 v[2:3], off, s33 offset:220 th:TH_LOAD_LU ; 8-byte Folded Reload
	s_mov_b32 s24, exec_lo
	s_wait_loadcnt 0x0
	v_add_nc_u64_e32 v[2:3], v[2:3], v[40:41]
	scratch_store_b64 off, v[2:3], s33 offset:220 ; 8-byte Folded Spill
	s_wait_xcnt 0x0
	v_cmpx_lt_u64_e64 v[0:1], v[2:3]
	s_cbranch_execz .LBB6_16725
; %bb.16717:                            ;   in Loop: Header=BB6_16686 Depth=1
	s_mov_b32 s25, 0
	s_mov_b32 s28, 0
                                        ; implicit-def: $sgpr26
                                        ; implicit-def: $sgpr27
	s_branch .LBB6_16719
.LBB6_16718:                            ;   in Loop: Header=BB6_16719 Depth=2
	s_wait_xcnt 0x0
	s_or_b32 exec_lo, exec_lo, s40
	s_delay_alu instid0(SALU_CYCLE_1) | instskip(NEXT) | instid1(SALU_CYCLE_1)
	s_and_b32 s29, exec_lo, s41
	s_or_b32 s25, s29, s25
	s_and_not1_b32 s26, s26, exec_lo
	s_and_b32 s29, s27, exec_lo
	s_delay_alu instid0(SALU_CYCLE_1)
	s_or_b32 s26, s26, s29
	s_and_not1_b32 exec_lo, exec_lo, s25
	s_cbranch_execz .LBB6_16723
.LBB6_16719:                            ;   Parent Loop BB6_16686 Depth=1
                                        ; =>  This Inner Loop Header: Depth=2
	s_add_co_i32 s28, s28, 1
	s_delay_alu instid0(SALU_CYCLE_1) | instskip(SKIP_1) | instid1(SALU_CYCLE_1)
	s_cmp_lg_u32 s28, 0x2710
	s_cselect_b32 s29, -1, 0
	s_and_b32 vcc_lo, exec_lo, s29
	s_cbranch_vccz .LBB6_16721
; %bb.16720:                            ;   in Loop: Header=BB6_16719 Depth=2
	s_mov_b32 s41, -1
	s_or_b32 s27, s27, exec_lo
	s_and_saveexec_b32 s40, s29
	s_cbranch_execz .LBB6_16718
	s_branch .LBB6_16722
.LBB6_16721:                            ;   in Loop: Header=BB6_16719 Depth=2
	s_trap 2
	ds_load_b64 v[0:1], v0
	s_and_not1_b32 s29, s29, exec_lo
	s_mov_b32 s28, 0
	s_wait_storecnt_dscnt 0x0
	flat_load_b32 v0, v[0:1] scope:SCOPE_SYS
	s_wait_loadcnt_dscnt 0x0
	global_inv scope:SCOPE_SYS
	v_cmp_eq_u32_e32 vcc_lo, 0, v0
	s_and_b32 s40, vcc_lo, exec_lo
	s_delay_alu instid0(SALU_CYCLE_1)
	s_or_b32 s29, s29, s40
	s_mov_b32 s41, -1
	s_or_b32 s27, s27, exec_lo
	s_wait_xcnt 0x0
	s_and_saveexec_b32 s40, s29
	s_cbranch_execz .LBB6_16718
.LBB6_16722:                            ;   in Loop: Header=BB6_16719 Depth=2
	s_sleep 1
	s_trap 2
	ds_load_b64 v[0:1], v0
	s_wait_dscnt 0x0
	scratch_load_b64 v[2:3], off, s33 offset:220 ; 8-byte Folded Reload
	s_and_not1_b32 s27, s27, exec_lo
	s_wait_loadcnt 0x0
	v_cmp_ge_u64_e32 vcc_lo, v[0:1], v[2:3]
	s_or_not1_b32 s41, vcc_lo, exec_lo
	s_branch .LBB6_16718
.LBB6_16723:                            ;   in Loop: Header=BB6_16686 Depth=1
	s_or_b32 exec_lo, exec_lo, s25
	s_and_saveexec_b32 s25, s26
	s_delay_alu instid0(SALU_CYCLE_1)
	s_xor_b32 s25, exec_lo, s25
	s_cbranch_execz .LBB6_16725
; %bb.16724:                            ;   in Loop: Header=BB6_16686 Depth=1
	ds_store_b32 v0, v71
	s_trap 2
.LBB6_16725:                            ;   in Loop: Header=BB6_16686 Depth=1
	s_or_b32 exec_lo, exec_lo, s24
	;;#ASMSTART
	s_wakeup
	;;#ASMEND
.LBB6_16726:                            ;   in Loop: Header=BB6_16686 Depth=1
	s_or_b32 exec_lo, exec_lo, s23
.LBB6_16727:                            ;   in Loop: Header=BB6_16686 Depth=1
	s_and_not1_saveexec_b32 s11, s11
	s_cbranch_execz .LBB6_16729
; %bb.16728:                            ;   in Loop: Header=BB6_16686 Depth=1
	global_wb scope:SCOPE_DEV
	s_wait_storecnt 0x0
	s_wait_loadcnt_dscnt 0x0
	global_inv scope:SCOPE_DEV
	s_barrier_signal -1
	s_barrier_wait -1
.LBB6_16729:                            ;   in Loop: Header=BB6_16686 Depth=1
	s_or_b32 exec_lo, exec_lo, s11
.LBB6_16730:                            ;   in Loop: Header=BB6_16686 Depth=1
	s_delay_alu instid0(SALU_CYCLE_1) | instskip(SKIP_3) | instid1(VALU_DEP_1)
	s_or_b32 exec_lo, exec_lo, s10
	s_trap 2
	ds_load_b32 v0, v0
	v_and_b32_e32 v1, 0x4000, v101
	v_cmp_ne_u32_e32 vcc_lo, 0, v1
	s_and_b32 s11, s19, vcc_lo
	s_delay_alu instid0(SALU_CYCLE_1)
	s_and_saveexec_b32 s10, s11
	s_cbranch_execz .LBB6_16749
; %bb.16731:                            ;   in Loop: Header=BB6_16686 Depth=1
	s_and_saveexec_b32 s11, s3
	s_delay_alu instid0(SALU_CYCLE_1)
	s_xor_b32 s11, exec_lo, s11
	s_cbranch_execz .LBB6_16746
; %bb.16732:                            ;   in Loop: Header=BB6_16686 Depth=1
	s_and_saveexec_b32 s23, s4
	s_cbranch_execz .LBB6_16745
; %bb.16733:                            ;   in Loop: Header=BB6_16686 Depth=1
	s_mov_b32 s25, exec_lo
	s_mov_b32 s24, exec_lo
	v_mbcnt_lo_u32_b32 v1, s25, 0
	global_wb scope:SCOPE_DEV
	s_wait_storecnt 0x0
	s_wait_loadcnt_dscnt 0x0
	global_inv scope:SCOPE_DEV
	v_cmpx_eq_u32_e32 0, v1
	s_cbranch_execz .LBB6_16735
; %bb.16734:                            ;   in Loop: Header=BB6_16686 Depth=1
	s_bcnt1_i32_b32 s25, s25
	s_delay_alu instid0(SALU_CYCLE_1)
	v_dual_mov_b32 v3, v55 :: v_dual_mov_b32 v2, s25
	s_wait_loadcnt 0x0
	ds_add_u64 v0, v[2:3]
	s_trap 2
.LBB6_16735:                            ;   in Loop: Header=BB6_16686 Depth=1
	s_or_b32 exec_lo, exec_lo, s24
	s_trap 2
	ds_load_b64 v[2:3], v0
	s_wait_dscnt 0x0
	scratch_load_b64 v[4:5], off, s33 offset:220 th:TH_LOAD_LU ; 8-byte Folded Reload
	s_mov_b32 s24, exec_lo
	s_wait_loadcnt 0x0
	v_add_nc_u64_e32 v[4:5], v[4:5], v[40:41]
	scratch_store_b64 off, v[4:5], s33 offset:220 ; 8-byte Folded Spill
	s_wait_xcnt 0x0
	v_cmpx_lt_u64_e64 v[2:3], v[4:5]
	s_cbranch_execz .LBB6_16744
; %bb.16736:                            ;   in Loop: Header=BB6_16686 Depth=1
	s_mov_b32 s25, 0
	s_mov_b32 s28, 0
                                        ; implicit-def: $sgpr26
                                        ; implicit-def: $sgpr27
	s_branch .LBB6_16738
.LBB6_16737:                            ;   in Loop: Header=BB6_16738 Depth=2
	s_wait_xcnt 0x0
	s_or_b32 exec_lo, exec_lo, s40
	s_delay_alu instid0(SALU_CYCLE_1) | instskip(NEXT) | instid1(SALU_CYCLE_1)
	s_and_b32 s29, exec_lo, s41
	s_or_b32 s25, s29, s25
	s_and_not1_b32 s26, s26, exec_lo
	s_and_b32 s29, s27, exec_lo
	s_delay_alu instid0(SALU_CYCLE_1)
	s_or_b32 s26, s26, s29
	s_and_not1_b32 exec_lo, exec_lo, s25
	s_cbranch_execz .LBB6_16742
.LBB6_16738:                            ;   Parent Loop BB6_16686 Depth=1
                                        ; =>  This Inner Loop Header: Depth=2
	s_add_co_i32 s28, s28, 1
	s_delay_alu instid0(SALU_CYCLE_1) | instskip(SKIP_1) | instid1(SALU_CYCLE_1)
	s_cmp_lg_u32 s28, 0x2710
	s_cselect_b32 s29, -1, 0
	s_and_b32 vcc_lo, exec_lo, s29
	s_cbranch_vccz .LBB6_16740
; %bb.16739:                            ;   in Loop: Header=BB6_16738 Depth=2
	s_mov_b32 s41, -1
	s_or_b32 s27, s27, exec_lo
	s_and_saveexec_b32 s40, s29
	s_cbranch_execz .LBB6_16737
	s_branch .LBB6_16741
.LBB6_16740:                            ;   in Loop: Header=BB6_16738 Depth=2
	s_trap 2
	ds_load_b64 v[2:3], v0
	s_and_not1_b32 s29, s29, exec_lo
	s_mov_b32 s28, 0
	s_wait_storecnt_dscnt 0x0
	flat_load_b32 v1, v[2:3] scope:SCOPE_SYS
	s_wait_loadcnt_dscnt 0x0
	global_inv scope:SCOPE_SYS
	v_cmp_eq_u32_e32 vcc_lo, 0, v1
	s_and_b32 s40, vcc_lo, exec_lo
	s_delay_alu instid0(SALU_CYCLE_1)
	s_or_b32 s29, s29, s40
	s_mov_b32 s41, -1
	s_or_b32 s27, s27, exec_lo
	s_wait_xcnt 0x0
	s_and_saveexec_b32 s40, s29
	s_cbranch_execz .LBB6_16737
.LBB6_16741:                            ;   in Loop: Header=BB6_16738 Depth=2
	s_sleep 1
	s_trap 2
	ds_load_b64 v[2:3], v0
	s_wait_dscnt 0x0
	scratch_load_b64 v[4:5], off, s33 offset:220 ; 8-byte Folded Reload
	s_and_not1_b32 s27, s27, exec_lo
	s_wait_loadcnt 0x0
	v_cmp_ge_u64_e32 vcc_lo, v[2:3], v[4:5]
	s_or_not1_b32 s41, vcc_lo, exec_lo
	s_branch .LBB6_16737
.LBB6_16742:                            ;   in Loop: Header=BB6_16686 Depth=1
	s_or_b32 exec_lo, exec_lo, s25
	s_and_saveexec_b32 s25, s26
	s_delay_alu instid0(SALU_CYCLE_1)
	s_xor_b32 s25, exec_lo, s25
	s_cbranch_execz .LBB6_16744
; %bb.16743:                            ;   in Loop: Header=BB6_16686 Depth=1
	ds_store_b32 v0, v71
	s_trap 2
.LBB6_16744:                            ;   in Loop: Header=BB6_16686 Depth=1
	s_or_b32 exec_lo, exec_lo, s24
	;;#ASMSTART
	s_wakeup
	;;#ASMEND
.LBB6_16745:                            ;   in Loop: Header=BB6_16686 Depth=1
	s_or_b32 exec_lo, exec_lo, s23
.LBB6_16746:                            ;   in Loop: Header=BB6_16686 Depth=1
	s_and_not1_saveexec_b32 s11, s11
	s_cbranch_execz .LBB6_16748
; %bb.16747:                            ;   in Loop: Header=BB6_16686 Depth=1
	global_wb scope:SCOPE_DEV
	s_wait_storecnt 0x0
	s_wait_loadcnt_dscnt 0x0
	global_inv scope:SCOPE_DEV
	s_barrier_signal -1
	s_barrier_wait -1
.LBB6_16748:                            ;   in Loop: Header=BB6_16686 Depth=1
	s_or_b32 exec_lo, exec_lo, s11
.LBB6_16749:                            ;   in Loop: Header=BB6_16686 Depth=1
	s_delay_alu instid0(SALU_CYCLE_1)
	s_or_b32 exec_lo, exec_lo, s10
	s_trap 2
	s_wait_dscnt 0x0
	ds_load_b64 v[98:99], v0
	s_wait_dscnt 0x0
	v_cmp_eq_u64_e32 vcc_lo, 0, v[98:99]
	s_cbranch_vccnz .LBB6_16757
; %bb.16750:                            ;   in Loop: Header=BB6_16686 Depth=1
	scratch_store_b32 off, v101, s33 offset:468 ; 4-byte Folded Spill
	s_trap 2
	s_wait_xcnt 0x0
	ds_load_b64 v[100:101], v0
	s_wait_dscnt 0x0
	v_cmp_eq_u64_e32 vcc_lo, 0, v[100:101]
	s_cbranch_vccnz .LBB6_16758
; %bb.16751:                            ;   in Loop: Header=BB6_16686 Depth=1
	s_mov_b32 s10, -1
	s_and_saveexec_b32 s11, s5
	s_cbranch_execz .LBB6_16753
; %bb.16752:                            ;   in Loop: Header=BB6_16686 Depth=1
	ds_load_b32 v1, v0 offset:720
	s_wait_dscnt 0x0
	v_and_b32_e32 v1, 15, v1
	s_delay_alu instid0(VALU_DEP_1)
	v_cmp_eq_u32_e32 vcc_lo, 0, v1
	s_or_not1_b32 s10, vcc_lo, exec_lo
.LBB6_16753:                            ;   in Loop: Header=BB6_16686 Depth=1
	s_or_b32 exec_lo, exec_lo, s11
	s_and_saveexec_b32 s11, s6
	s_cbranch_execz .LBB6_16755
; %bb.16754:                            ;   in Loop: Header=BB6_16686 Depth=1
	ds_load_b32 v1, v0 offset:784
	s_wait_dscnt 0x0
	v_and_b32_e32 v1, 15, v1
	s_delay_alu instid0(VALU_DEP_1) | instskip(SKIP_3) | instid1(SALU_CYCLE_1)
	v_cmp_eq_u32_e32 vcc_lo, 0, v1
	s_and_b32 s23, s10, vcc_lo
	s_and_not1_b32 s10, s10, exec_lo
	s_and_b32 s23, s23, exec_lo
	s_or_b32 s10, s10, s23
.LBB6_16755:                            ;   in Loop: Header=BB6_16686 Depth=1
	s_or_b32 exec_lo, exec_lo, s11
	scratch_load_b32 v8, off, s33 offset:456 ; 4-byte Folded Reload
	v_cmp_eq_u32_e32 vcc_lo, 0, v0
	s_xor_b32 s10, s10, -1
	v_mov_b32_e32 v6, 0
	v_cndmask_b32_e64 v1, 0, 1, s10
	s_mov_b32 s10, -1
	v_cndmask_b32_e32 v97, 0, v102, vcc_lo
	s_delay_alu instid0(VALU_DEP_2) | instskip(NEXT) | instid1(VALU_DEP_2)
	v_cmp_ne_u32_e32 vcc_lo, 0, v1
	v_mov_b32_e32 v7, v97
	s_cbranch_vccz .LBB6_16759
; %bb.16756:                            ;   in Loop: Header=BB6_16686 Depth=1
	s_wait_xcnt 0x0
	s_and_saveexec_b32 s23, s10
	s_cbranch_execnz .LBB6_21106
; %bb.22380:                            ;   in Loop: Header=BB6_16686 Depth=1
	s_add_pc_i64 .LBB6_22252-.Lpost_addpc26
.Lpost_addpc26:
.LBB6_16757:                            ;   in Loop: Header=BB6_16686 Depth=1
	s_mov_b32 s10, 0
	s_and_saveexec_b32 s11, s2
	s_cbranch_execz .LBB6_22382
; %bb.22434:                            ;   in Loop: Header=BB6_16686 Depth=1
	s_add_pc_i64 .LBB6_22253-.Lpost_addpc53
.Lpost_addpc53:
.LBB6_22382:                            ;   in Loop: Header=BB6_16686 Depth=1
	s_add_pc_i64 .LBB6_22271-.Lpost_addpc27
.Lpost_addpc27:
.LBB6_16758:                            ;   in Loop: Header=BB6_16686 Depth=1
	scratch_load_b32 v101, off, s33 offset:468 ; 4-byte Folded Reload
	s_mov_b32 s10, 0
	s_wait_xcnt 0x0
	s_and_saveexec_b32 s11, s2
	s_cbranch_execz .LBB6_22384
; %bb.22436:                            ;   in Loop: Header=BB6_16686 Depth=1
	s_add_pc_i64 .LBB6_22253-.Lpost_addpc54
.Lpost_addpc54:
.LBB6_22384:                            ;   in Loop: Header=BB6_16686 Depth=1
	s_add_pc_i64 .LBB6_22271-.Lpost_addpc28
.Lpost_addpc28:
.LBB6_16759:                            ;   in Loop: Header=BB6_16686 Depth=1
	v_lshrrev_b32_e32 v0, 12, v97
	s_mov_b32 s11, exec_lo
	s_delay_alu instid0(VALU_DEP_1) | instskip(SKIP_1) | instid1(VALU_DEP_1)
	v_sub_nc_u32_e32 v4, v0, v70
	s_wait_xcnt 0x0
	v_cmpx_lt_i32_e32 0, v4
	s_cbranch_execz .LBB6_20611
; %bb.16760:                            ;   in Loop: Header=BB6_16686 Depth=1
	s_clause 0x2
	scratch_store_b32 off, v97, s33 offset:524
	scratch_store_b64 off, v[102:103], s33 offset:516
	scratch_store_b64 off, v[96:97], s33 offset:508
	s_trap 2
	ds_load_b64 v[0:1], v0
	s_wait_xcnt 0x1
	v_mov_b64_e32 v[102:103], v[100:101]
	v_mov_b64_e32 v[112:113], v[98:99]
	s_wait_dscnt 0x0
	v_readfirstlane_b32 s24, v0
	v_readfirstlane_b32 s25, v1
	s_and_b32 s23, s24, 3
	s_bfe_i32 s10, s24, 0x80000
	s_clz_i32_u32 s28, s23
	s_bfe_u32 s26, s24, 0x50002
	s_min_u32 s28, s28, 32
	s_and_b32 s27, s24, 0x7c
	s_sub_co_i32 s41, s28, 29
	s_lshl_b32 s29, s24, 24
	s_sext_i32_i8 s40, s24
	s_lshl_b64 s[24:25], s[24:25], s41
	s_and_b32 s29, s29, 0x80000000
	s_sub_co_i32 s25, 30, s28
	s_and_b32 s24, s24, 3
	s_cmp_gt_i32 s40, -1
	s_cselect_b32 s28, s20, 0xff800000
	s_cmp_eq_u32 s23, 0
	s_cselect_b32 s28, s28, 0x7f800001
	s_cmp_eq_u32 s26, 0
	s_cselect_b32 s25, s25, s26
	s_cselect_b32 s23, s24, s23
	s_lshl_b32 s24, s25, 23
	s_lshl_b32 s23, s23, 21
	s_add_co_i32 s24, s24, s29
	s_delay_alu instid0(SALU_CYCLE_1)
	s_or_b32 s23, s24, s23
	s_mov_b32 s24, 0
	s_add_co_i32 s23, s23, 0x38000000
	s_cmp_eq_u32 s27, 0x7c
	s_cselect_b32 s23, s28, s23
	s_and_b32 s25, s10, 0xff
	s_delay_alu instid0(SALU_CYCLE_1)
	s_and_b32 s26, 0xffff, s25
	s_branch .LBB6_16763
.LBB6_16761:                            ;   in Loop: Header=BB6_16763 Depth=2
	s_or_b32 exec_lo, exec_lo, s27
.LBB6_16762:                            ;   in Loop: Header=BB6_16763 Depth=2
	s_delay_alu instid0(SALU_CYCLE_1)
	s_or_b32 exec_lo, exec_lo, s10
	v_lshl_or_b32 v1, v8, 8, v7
	v_lshl_or_b32 v2, v71, 8, v70
	v_dual_lshlrev_b32 v3, 16, v9 :: v_dual_lshlrev_b32 v7, 24, v96
	v_dual_lshlrev_b32 v5, 16, v5 :: v_dual_lshlrev_b32 v6, 24, v6
	v_lshl_or_b32 v8, v18, 8, v17
	v_dual_lshlrev_b32 v9, 16, v19 :: v_dual_lshlrev_b32 v18, 24, v20
	s_delay_alu instid0(VALU_DEP_4) | instskip(NEXT) | instid1(VALU_DEP_4)
	v_or3_b32 v11, v1, v3, v7
	v_or3_b32 v10, v2, v5, v6
	v_lshl_or_b32 v1, v33, 8, v32
	v_dual_lshlrev_b32 v2, 16, v34 :: v_dual_lshlrev_b32 v3, 24, v35
	v_dual_lshlrev_b32 v6, 16, v125 :: v_dual_lshlrev_b32 v7, 24, v126
	v_lshlrev_b32_e32 v5, 24, v31
	v_lshl_or_b32 v20, v109, 8, v108
	s_delay_alu instid0(VALU_DEP_4)
	v_or3_b32 v12, v1, v2, v3
	v_lshl_or_b32 v1, v37, 8, v36
	v_dual_lshlrev_b32 v2, 24, v64 :: v_dual_lshlrev_b32 v3, 16, v38
	v_lshl_or_b32 v31, v121, 8, v120
	v_lshl_or_b32 v32, v23, 8, v22
	v_dual_lshlrev_b32 v33, 16, v24 :: v_dual_lshlrev_b32 v34, 24, v25
	s_delay_alu instid0(VALU_DEP_4) | instskip(SKIP_4) | instid1(VALU_DEP_3)
	v_or3_b32 v13, v1, v3, v2
	v_lshl_or_b32 v1, v26, 8, v27
	v_lshl_or_b32 v2, v124, 8, v16
	v_dual_lshlrev_b32 v3, 16, v28 :: v_dual_lshlrev_b32 v26, 24, v111
	v_dual_lshlrev_b32 v27, 24, v123 :: v_dual_lshlrev_b32 v28, 16, v122
	v_or3_b32 v14, v2, v6, v7
	s_delay_alu instid0(VALU_DEP_3)
	v_or3_b32 v15, v1, v3, v5
	v_lshl_or_b32 v5, v105, 8, v21
	v_dual_lshlrev_b32 v6, 16, v106 :: v_dual_lshlrev_b32 v7, 24, v107
	v_lshlrev_b32_e32 v21, 16, v110
	v_lshl_or_b32 v1, v69, 8, v68
	v_dual_lshlrev_b32 v2, 16, v80 :: v_dual_lshlrev_b32 v3, 24, v81
	s_delay_alu instid0(VALU_DEP_4) | instskip(NEXT) | instid1(VALU_DEP_4)
	v_or3_b32 v19, v5, v6, v7
	v_or3_b32 v20, v20, v21, v26
	;; [unrolled: 1-line block ×3, first 2 shown]
	v_lshl_or_b32 v5, v74, 8, v73
	v_dual_lshlrev_b32 v6, 16, v75 :: v_dual_lshlrev_b32 v7, 24, v76
	v_dual_lshlrev_b32 v27, 24, v104 :: v_dual_lshlrev_b32 v28, 16, v95
	v_lshl_or_b32 v31, v94, 8, v93
	v_or3_b32 v16, v1, v2, v3
	s_delay_alu instid0(VALU_DEP_4)
	v_or3_b32 v22, v5, v6, v7
	v_or3_b32 v7, v32, v33, v34
	v_dual_lshlrev_b32 v1, 24, v83 :: v_dual_lshlrev_b32 v2, 16, v82
	v_or3_b32 v25, v31, v28, v27
	s_clause 0x1
	scratch_load_b32 v6, off, s33 offset:368 th:TH_LOAD_LU
	scratch_load_b32 v31, off, s33 offset:376 th:TH_LOAD_LU
	v_lshl_or_b32 v3, v67, 8, v66
	v_or3_b32 v18, v8, v9, v18
	v_lshl_or_b32 v8, v90, 8, v89
	v_dual_lshlrev_b32 v9, 16, v91 :: v_dual_lshlrev_b32 v26, 24, v92
	s_delay_alu instid0(VALU_DEP_4) | instskip(SKIP_2) | instid1(VALU_DEP_4)
	v_or3_b32 v17, v3, v2, v1
	v_lshl_or_b32 v1, v78, 8, v77
	v_dual_lshlrev_b32 v2, 16, v79 :: v_dual_lshlrev_b32 v3, 24, v88
	v_or3_b32 v24, v8, v9, v26
	v_lshl_or_b32 v5, v58, 8, v57
	v_dual_lshlrev_b32 v8, 16, v59 :: v_dual_lshlrev_b32 v9, 24, v60
	s_delay_alu instid0(VALU_DEP_4)
	v_or3_b32 v23, v1, v2, v3
	v_lshl_or_b32 v1, v46, 8, v45
	v_dual_lshlrev_b32 v2, 16, v47 :: v_dual_lshlrev_b32 v3, 24, v56
	v_dual_lshlrev_b32 v26, 24, v72 :: v_dual_lshlrev_b32 v27, 16, v63
	v_lshl_or_b32 v28, v62, 8, v61
	v_or3_b32 v8, v5, v8, v9
	v_lshlrev_b32_e32 v5, 24, v44
	v_sub_nc_u32_e32 v4, v4, v40
	v_dual_lshlrev_b32 v48, 16, v48 :: v_dual_lshlrev_b32 v49, 24, v49
	v_or3_b32 v9, v28, v27, v26
	v_lshlrev_b32_e32 v26, 16, v43
	s_delay_alu instid0(VALU_DEP_4)
	v_cmp_gt_i32_e32 vcc_lo, 1, v4
	s_or_b32 s24, vcc_lo, s24
	s_wait_loadcnt 0x0
	v_lshl_or_b32 v31, v31, 8, v6
	scratch_load_b32 v6, off, s33 offset:380 th:TH_LOAD_LU ; 4-byte Folded Reload
	s_wait_loadcnt 0x0
	v_lshlrev_b32_e32 v32, 16, v6
	scratch_load_b32 v6, off, s33 offset:384 th:TH_LOAD_LU ; 4-byte Folded Reload
	s_wait_loadcnt 0x0
	v_lshlrev_b32_e32 v33, 24, v6
	s_clause 0x1
	scratch_load_b32 v6, off, s33 offset:348 th:TH_LOAD_LU
	scratch_load_b32 v34, off, s33 offset:352 th:TH_LOAD_LU
	v_or3_b32 v33, v31, v32, v33
	s_wait_loadcnt 0x0
	v_lshl_or_b32 v34, v34, 8, v6
	scratch_load_b32 v6, off, s33 offset:356 th:TH_LOAD_LU ; 4-byte Folded Reload
	s_wait_loadcnt 0x0
	v_lshlrev_b32_e32 v35, 16, v6
	scratch_load_b32 v6, off, s33 offset:360 th:TH_LOAD_LU ; 4-byte Folded Reload
	s_wait_loadcnt 0x0
	v_lshlrev_b32_e32 v36, 24, v6
	v_or3_b32 v6, v1, v2, v3
	s_clause 0x3
	scratch_load_b32 v1, off, s33 offset:388 th:TH_LOAD_LU
	scratch_load_b32 v2, off, s33 offset:392 th:TH_LOAD_LU
	;; [unrolled: 1-line block ×4, first 2 shown]
	v_or3_b32 v32, v34, v35, v36
	s_wait_loadcnt 0x2
	v_lshl_or_b32 v1, v2, 8, v1
	s_clause 0x3
	scratch_load_b32 v2, off, s33 offset:396 th:TH_LOAD_LU
	scratch_load_b32 v28, off, s33 offset:260 th:TH_LOAD_LU
	;; [unrolled: 1-line block ×4, first 2 shown]
	s_wait_loadcnt 0x5
	v_lshlrev_b32_e32 v3, 24, v3
	s_wait_loadcnt 0x4
	v_lshl_or_b32 v27, v42, 8, v27
	s_wait_loadcnt 0x3
	v_lshlrev_b32_e32 v2, 16, v2
	s_wait_loadcnt 0x1
	v_lshl_or_b32 v28, v31, 8, v28
	scratch_load_b32 v31, off, s33 offset:276 th:TH_LOAD_LU ; 4-byte Folded Reload
	s_wait_loadcnt 0x1
	v_lshlrev_b32_e32 v36, 24, v34
	s_clause 0x1
	scratch_load_b32 v34, off, s33 offset:228 th:TH_LOAD_LU
	scratch_load_b32 v35, off, s33 offset:236 th:TH_LOAD_LU
	s_wait_loadcnt 0x2
	v_lshlrev_b32_e32 v31, 16, v31
	s_wait_loadcnt 0x0
	v_lshl_or_b32 v38, v35, 8, v34
	scratch_load_b32 v34, off, s33 offset:244 th:TH_LOAD_LU ; 4-byte Folded Reload
	v_or3_b32 v37, v28, v31, v36
	v_dual_lshlrev_b32 v28, 16, v52 :: v_dual_lshlrev_b32 v31, 24, v86
	s_wait_loadcnt 0x0
	v_dual_lshlrev_b32 v52, 16, v97 :: v_dual_lshlrev_b32 v54, 16, v34
	scratch_load_b32 v34, off, s33 offset:252 th:TH_LOAD_LU ; 4-byte Folded Reload
	s_wait_loadcnt 0x0
	v_lshlrev_b32_e32 v64, 24, v34
	s_clause 0x1
	scratch_load_b32 v34, off, s33 offset:292 th:TH_LOAD_LU
	scratch_load_b32 v35, off, s33 offset:300 th:TH_LOAD_LU
	v_or3_b32 v36, v38, v54, v64
	v_dual_lshlrev_b32 v54, 24, v0 :: v_dual_lshlrev_b32 v64, 16, v117
	s_wait_loadcnt 0x0
	v_lshl_or_b32 v66, v35, 8, v34
	scratch_load_b32 v34, off, s33 offset:308 th:TH_LOAD_LU ; 4-byte Folded Reload
	v_or3_b32 v35, v27, v26, v5
	s_wait_loadcnt 0x0
	v_lshlrev_b32_e32 v67, 16, v34
	scratch_load_b32 v34, off, s33 offset:316 th:TH_LOAD_LU ; 4-byte Folded Reload
	s_wait_loadcnt 0x0
	v_lshlrev_b32_e32 v68, 24, v34
	v_or3_b32 v34, v1, v2, v3
	s_clause 0x4
	scratch_load_b32 v1, off, s33 offset:344 th:TH_LOAD_LU
	scratch_load_b32 v2, off, s33 offset:340 th:TH_LOAD_LU
	scratch_load_b32 v3, off, s33 offset:324 th:TH_LOAD_LU
	scratch_load_b32 v5, off, s33 offset:332 th:TH_LOAD_LU
	scratch_load_b64 v[26:27], off, s33 offset:424
	v_or3_b32 v38, v66, v67, v68
	s_wait_loadcnt 0x3
	v_dual_lshlrev_b32 v1, 24, v1 :: v_dual_lshlrev_b32 v2, 16, v2
	s_wait_loadcnt 0x1
	v_lshl_or_b32 v3, v5, 8, v3
	s_wait_loadcnt 0x0
	v_add_nc_u64_e32 v[26:27], v[26:27], v[102:103]
	v_lshl_or_b32 v5, v51, 8, v50
	v_lshl_or_b32 v50, v39, 8, v65
	;; [unrolled: 1-line block ×3, first 2 shown]
	v_lshlrev_b32_e32 v53, 24, v114
	v_lshl_or_b32 v65, v116, 8, v115
	v_or3_b32 v39, v3, v2, v1
	v_or3_b32 v1, v5, v28, v31
	;; [unrolled: 1-line block ×5, first 2 shown]
	s_clause 0x1
	global_store_b128 v[26:27], v[36:39], off th:TH_STORE_NT
	global_store_b128 v[26:27], v[32:35], off offset:512 th:TH_STORE_NT
	scratch_load_b64 v[32:33], off, s33 offset:440 ; 8-byte Folded Reload
	s_clause 0x5
	global_store_b128 v[26:27], v[6:9], off offset:1024 th:TH_STORE_NT
	global_store_b128 v[26:27], v[22:25], off offset:1536 th:TH_STORE_NT
	;; [unrolled: 1-line block ×6, first 2 shown]
	s_wait_loadcnt 0x0
	v_add_nc_u64_e32 v[112:113], v[112:113], v[32:33]
	v_add_nc_u64_e32 v[102:103], v[102:103], v[32:33]
	s_wait_xcnt 0x0
	s_and_not1_b32 exec_lo, exec_lo, s24
	s_cbranch_execz .LBB6_20610
.LBB6_16763:                            ;   Parent Loop BB6_16686 Depth=1
                                        ; =>  This Inner Loop Header: Depth=2
	s_cmp_lt_i32 s25, 0x80
	s_cbranch_scc1 .LBB6_16767
; %bb.16764:                            ;   in Loop: Header=BB6_16763 Depth=2
	s_cmp_eq_u32 s26, 0x80
	s_mov_b32 s10, -1
	s_cbranch_scc0 .LBB6_16766
; %bb.16765:                            ;   in Loop: Header=BB6_16763 Depth=2
	s_mov_b32 s10, 0
.LBB6_16766:                            ;   in Loop: Header=BB6_16763 Depth=2
	s_brev_b32 s27, 1
	s_branch .LBB6_16769
.LBB6_16767:                            ;   in Loop: Header=BB6_16763 Depth=2
	s_mov_b32 s10, 0
	s_brev_b32 s27, 1
	s_cbranch_execz .LBB6_16769
; %bb.16768:                            ;   in Loop: Header=BB6_16763 Depth=2
	s_cmp_lg_u32 s26, 0
	s_mov_b32 s27, 0
	s_cselect_b32 s10, -1, 0
.LBB6_16769:                            ;   in Loop: Header=BB6_16763 Depth=2
	s_delay_alu instid0(SALU_CYCLE_1)
	s_and_not1_b32 vcc_lo, exec_lo, s10
	s_cbranch_vccnz .LBB6_16771
; %bb.16770:                            ;   in Loop: Header=BB6_16763 Depth=2
	s_mov_b32 s27, s23
.LBB6_16771:                            ;   in Loop: Header=BB6_16763 Depth=2
	scratch_load_b64 v[0:1], off, s33 offset:424 ; 8-byte Folded Reload
	s_wait_loadcnt 0x0
	v_add_nc_u64_e32 v[14:15], v[0:1], v[112:113]
	global_load_b128 v[10:13], v[14:15], off th:TH_LOAD_NT
	s_wait_loadcnt 0x0
	v_and_b32_e32 v0, 0xff, v10
	s_delay_alu instid0(VALU_DEP_1)
	v_cmp_ne_u16_e32 vcc_lo, 0, v0
	v_mov_b32_e32 v0, 0
	s_wait_xcnt 0x0
	s_and_saveexec_b32 s10, vcc_lo
	s_cbranch_execz .LBB6_16781
; %bb.16772:                            ;   in Loop: Header=BB6_16763 Depth=2
	v_bfe_i32 v2, v10, 0, 8
	v_bfrev_b32_e32 v0, 1
	s_mov_b32 s28, exec_lo
	s_delay_alu instid0(VALU_DEP_2)
	v_cmpx_ne_u16_e32 0xff80, v2
	s_cbranch_execz .LBB6_16780
; %bb.16773:                            ;   in Loop: Header=BB6_16763 Depth=2
	v_and_b32_e32 v0, 0x7c, v10
	v_and_b32_e32 v1, 3, v10
	s_delay_alu instid0(VALU_DEP_2) | instskip(SKIP_1) | instid1(SALU_CYCLE_1)
	v_cmp_ne_u32_e32 vcc_lo, 0x7c, v0
                                        ; implicit-def: $vgpr0
	s_and_saveexec_b32 s29, vcc_lo
	s_xor_b32 s29, exec_lo, s29
	s_cbranch_execz .LBB6_16777
; %bb.16774:                            ;   in Loop: Header=BB6_16763 Depth=2
	v_bfe_u32 v0, v10, 2, 5
	s_mov_b32 s40, exec_lo
	s_delay_alu instid0(VALU_DEP_1)
	v_cmpx_eq_u32_e32 0, v0
; %bb.16775:                            ;   in Loop: Header=BB6_16763 Depth=2
	v_clz_i32_u32_e32 v0, v1
	s_delay_alu instid0(VALU_DEP_1) | instskip(NEXT) | instid1(VALU_DEP_1)
	v_min_u32_e32 v0, 32, v0
	v_subrev_nc_u32_e32 v1, 29, v0
	s_delay_alu instid0(VALU_DEP_1) | instskip(NEXT) | instid1(VALU_DEP_1)
	v_lshlrev_b64_e32 v[2:3], v1, v[10:11]
	v_dual_sub_nc_u32 v0, 30, v0 :: v_dual_bitop2_b32 v1, 3, v2 bitop3:0x40
; %bb.16776:                            ;   in Loop: Header=BB6_16763 Depth=2
	s_or_b32 exec_lo, exec_lo, s40
	v_lshlrev_b32_e32 v2, 24, v10
	s_delay_alu instid0(VALU_DEP_1) | instskip(NEXT) | instid1(VALU_DEP_1)
	v_and_b32_e32 v2, 0x80000000, v2
	v_lshl_add_u32 v0, v0, 23, v2
                                        ; implicit-def: $vgpr2
	s_delay_alu instid0(VALU_DEP_1) | instskip(NEXT) | instid1(VALU_DEP_1)
	v_lshl_or_b32 v0, v1, 21, v0
                                        ; implicit-def: $vgpr1
	v_add_nc_u32_e32 v0, 0x38000000, v0
.LBB6_16777:                            ;   in Loop: Header=BB6_16763 Depth=2
	s_and_not1_saveexec_b32 s29, s29
; %bb.16778:                            ;   in Loop: Header=BB6_16763 Depth=2
	v_cmp_lt_i16_e32 vcc_lo, -1, v2
	v_cndmask_b32_e32 v0, 0xff800000, v29, vcc_lo
	v_cmp_eq_u32_e32 vcc_lo, 0, v1
	s_delay_alu instid0(VALU_DEP_2)
	v_cndmask_b32_e32 v0, 0x7f800001, v0, vcc_lo
; %bb.16779:                            ;   in Loop: Header=BB6_16763 Depth=2
	s_or_b32 exec_lo, exec_lo, s29
.LBB6_16780:                            ;   in Loop: Header=BB6_16763 Depth=2
	s_delay_alu instid0(SALU_CYCLE_1)
	s_or_b32 exec_lo, exec_lo, s28
.LBB6_16781:                            ;   in Loop: Header=BB6_16763 Depth=2
	s_delay_alu instid0(SALU_CYCLE_1) | instskip(NEXT) | instid1(VALU_DEP_1)
	s_or_b32 exec_lo, exec_lo, s10
	v_dual_mul_f32 v0, s27, v0 :: v_dual_mov_b32 v3, v55
	s_delay_alu instid0(VALU_DEP_1) | instskip(SKIP_2) | instid1(VALU_DEP_3)
	v_and_b32_e32 v2, 0x7f800000, v0
	v_and_b32_e32 v54, 0x7fffff, v0
	v_lshrrev_b32_e32 v1, 24, v0
	v_cmp_ne_u64_e32 vcc_lo, 0x7f800000, v[2:3]
                                        ; implicit-def: $vgpr2
                                        ; kill: killed $vgpr2
	s_and_saveexec_b32 s10, vcc_lo
	s_delay_alu instid0(SALU_CYCLE_1)
	s_xor_b32 s28, exec_lo, s10
	s_cbranch_execz .LBB6_16795
; %bb.16782:                            ;   in Loop: Header=BB6_16763 Depth=2
	v_and_b32_e32 v2, 0x7fffffff, v0
	v_mov_b32_e32 v3, v55
	v_and_b32_e32 v5, 0x80, v1
                                        ; implicit-def: $vgpr1
                                        ; kill: killed $vgpr1
	s_mov_b32 s10, exec_lo
	s_delay_alu instid0(VALU_DEP_2)
	v_cmpx_gt_u64_e32 0x47600001, v[2:3]
	s_xor_b32 s29, exec_lo, s10
	s_cbranch_execz .LBB6_16792
; %bb.16783:                            ;   in Loop: Header=BB6_16763 Depth=2
	v_mov_b32_e32 v1, 0
	s_mov_b32 s40, exec_lo
	scratch_store_b32 off, v1, s33 offset:228 ; 4-byte Folded Spill
	s_wait_xcnt 0x0
	v_cmpx_ne_u32_e32 0, v0
	s_cbranch_execz .LBB6_16791
; %bb.16784:                            ;   in Loop: Header=BB6_16763 Depth=2
	v_bfe_u32 v6, v0, 23, 8
	v_or_b32_e32 v2, 0x800000, v54
	s_mov_b32 s41, exec_lo
	s_delay_alu instid0(VALU_DEP_2) | instskip(SKIP_1) | instid1(VALU_DEP_2)
	v_dual_mov_b32 v3, v55 :: v_dual_sub_nc_u32 v0, 0x71, v6
	v_cmp_gt_u32_e32 vcc_lo, 0x72, v6
	v_cndmask_b32_e32 v0, 0, v0, vcc_lo
	v_cmp_eq_u32_e32 vcc_lo, 0, v6
	s_delay_alu instid0(VALU_DEP_2) | instskip(NEXT) | instid1(VALU_DEP_1)
	v_cndmask_b32_e64 v7, v0, 0x70, vcc_lo
	v_dual_cndmask_b32 v2, v2, v54, vcc_lo :: v_dual_add_nc_u32 v0, 21, v7
	v_add_nc_u32_e32 v8, 20, v7
	s_delay_alu instid0(VALU_DEP_2) | instskip(NEXT) | instid1(VALU_DEP_2)
	v_lshlrev_b64_e64 v[0:1], v0, -1
	v_lshlrev_b64_e64 v[8:9], v8, 1
	s_delay_alu instid0(VALU_DEP_2) | instskip(NEXT) | instid1(VALU_DEP_3)
	v_bfi_b32 v17, v1, 0, 0
	v_bfi_b32 v16, v0, 0, v2
	v_lshrrev_b64 v[0:1], v7, v[2:3]
	s_delay_alu instid0(VALU_DEP_1) | instskip(NEXT) | instid1(VALU_DEP_3)
	v_mov_b64_e32 v[2:3], v[0:1]
	v_cmpx_eq_u64_e64 v[16:17], v[8:9]
; %bb.16785:                            ;   in Loop: Header=BB6_16763 Depth=2
	v_bfe_u32 v2, v0, 21, 1
	v_mov_b32_e32 v3, v55
	s_delay_alu instid0(VALU_DEP_1) | instskip(NEXT) | instid1(VALU_DEP_1)
	v_add_nc_u64_e32 v[2:3], v[0:1], v[2:3]
	v_add_nc_u64_e32 v[2:3], -1, v[2:3]
; %bb.16786:                            ;   in Loop: Header=BB6_16763 Depth=2
	s_or_b32 exec_lo, exec_lo, s41
	v_add_nc_u32_e32 v1, 0xffffff81, v6
	v_lshrrev_b32_e32 v3, 23, v0
	s_mov_b32 s10, exec_lo
	s_delay_alu instid0(VALU_DEP_2) | instskip(NEXT) | instid1(VALU_DEP_1)
	v_cndmask_b32_e64 v1, v1, 0xffffff82, vcc_lo
	v_add3_u32 v3, v7, v1, v3
	v_and_b32_e32 v1, 0x1fffff, v2
                                        ; implicit-def: $vgpr2
	s_delay_alu instid0(VALU_DEP_1) | instskip(NEXT) | instid1(VALU_DEP_1)
	v_dual_add_nc_u32 v6, 14, v3 :: v_dual_add_nc_u32 v54, v1, v0
                                        ; implicit-def: $vgpr0_vgpr1
	v_cmpx_ne_u32_e32 0, v6
	s_xor_b32 s10, exec_lo, s10
; %bb.16787:                            ;   in Loop: Header=BB6_16763 Depth=2
	s_delay_alu instid0(VALU_DEP_2) | instskip(SKIP_1) | instid1(VALU_DEP_1)
	v_cmp_lt_u64_e32 vcc_lo, 0xffffff, v[54:55]
	v_add_nc_u32_e32 v0, 15, v3
	v_cndmask_b32_e32 v2, v6, v0, vcc_lo
	v_cndmask_b32_e64 v0, 0, 1, vcc_lo
	s_delay_alu instid0(VALU_DEP_1)
	v_lshrrev_b64 v[0:1], v0, v[54:55]
; %bb.16788:                            ;   in Loop: Header=BB6_16763 Depth=2
	s_and_not1_saveexec_b32 s10, s10
; %bb.16789:                            ;   in Loop: Header=BB6_16763 Depth=2
	v_mov_b64_e32 v[0:1], v[54:55]
	v_bfe_u32 v2, v54, 23, 1
; %bb.16790:                            ;   in Loop: Header=BB6_16763 Depth=2
	s_or_b32 exec_lo, exec_lo, s10
	s_delay_alu instid0(VALU_DEP_2) | instskip(NEXT) | instid1(VALU_DEP_2)
	v_lshrrev_b64 v[0:1], 21, v[0:1]
	v_cmp_gt_i32_e32 vcc_lo, 32, v2
	v_min_i32_e32 v3, 31, v2
	v_cmp_eq_u32_e64 s10, 0, v2
	s_delay_alu instid0(VALU_DEP_2) | instskip(SKIP_1) | instid1(VALU_DEP_2)
	v_dual_cndmask_b32 v1, 0, v1, vcc_lo :: v_dual_lshlrev_b32 v3, 2, v3
	v_cndmask_b32_e32 v0, 3, v0, vcc_lo
	v_and_b32_e32 v3, 0xfc, v3
	s_delay_alu instid0(VALU_DEP_2) | instskip(NEXT) | instid1(VALU_DEP_2)
	v_cmp_eq_u64_e32 vcc_lo, 0, v[0:1]
	v_and_or_b32 v0, v0, 3, v3
	s_and_b32 s10, s10, vcc_lo
	s_delay_alu instid0(VALU_DEP_1) | instid1(SALU_CYCLE_1)
	v_cndmask_b32_e64 v0, v0, 0, s10
	s_delay_alu instid0(VALU_DEP_1)
	v_or_b32_e32 v0, v0, v5
	scratch_store_b32 off, v0, s33 offset:228 ; 4-byte Folded Spill
.LBB6_16791:                            ;   in Loop: Header=BB6_16763 Depth=2
	s_wait_xcnt 0x0
	s_or_b32 exec_lo, exec_lo, s40
                                        ; implicit-def: $vgpr5
.LBB6_16792:                            ;   in Loop: Header=BB6_16763 Depth=2
	s_and_not1_saveexec_b32 s10, s29
	s_cbranch_execz .LBB6_16794
; %bb.16793:                            ;   in Loop: Header=BB6_16763 Depth=2
	v_or_b32_e32 v0, 0x7b, v5
	scratch_store_b32 off, v0, s33 offset:228 ; 4-byte Folded Spill
.LBB6_16794:                            ;   in Loop: Header=BB6_16763 Depth=2
	s_wait_xcnt 0x0
	s_or_b32 exec_lo, exec_lo, s10
                                        ; implicit-def: $vgpr0
                                        ; implicit-def: $vgpr1
.LBB6_16795:                            ;   in Loop: Header=BB6_16763 Depth=2
	s_and_not1_saveexec_b32 s10, s28
	s_cbranch_execz .LBB6_16801
; %bb.16796:                            ;   in Loop: Header=BB6_16763 Depth=2
	s_mov_b32 s28, exec_lo
                                        ; implicit-def: $vgpr2
                                        ; kill: killed $vgpr2
	v_cmpx_ne_u64_e32 0, v[54:55]
	s_xor_b32 s28, exec_lo, s28
	s_cbranch_execz .LBB6_16798
; %bb.16797:                            ;   in Loop: Header=BB6_16763 Depth=2
	v_or_b32_e32 v0, 0x7f, v1
	scratch_store_b32 off, v0, s33 offset:228 ; 4-byte Folded Spill
                                        ; implicit-def: $vgpr0
.LBB6_16798:                            ;   in Loop: Header=BB6_16763 Depth=2
	s_wait_xcnt 0x0
	s_and_not1_saveexec_b32 s28, s28
	s_cbranch_execz .LBB6_16800
; %bb.16799:                            ;   in Loop: Header=BB6_16763 Depth=2
	v_cmp_lt_i32_e32 vcc_lo, -1, v0
	v_cndmask_b32_e32 v0, 0xfc, v30, vcc_lo
	scratch_store_b32 off, v0, s33 offset:228 ; 4-byte Folded Spill
.LBB6_16800:                            ;   in Loop: Header=BB6_16763 Depth=2
	s_wait_xcnt 0x0
	s_or_b32 exec_lo, exec_lo, s28
.LBB6_16801:                            ;   in Loop: Header=BB6_16763 Depth=2
	s_delay_alu instid0(SALU_CYCLE_1) | instskip(SKIP_3) | instid1(VALU_DEP_2)
	s_or_b32 exec_lo, exec_lo, s10
	v_lshrrev_b16 v0, 8, v10
	v_mov_b32_e32 v2, 0
	s_mov_b32 s10, exec_lo
	v_cmpx_ne_u16_e32 0, v0
	s_cbranch_execz .LBB6_16811
; %bb.16802:                            ;   in Loop: Header=BB6_16763 Depth=2
	v_bfrev_b32_e32 v2, 1
	s_mov_b32 s28, exec_lo
	v_cmpx_ne_u16_e32 0x80, v0
	s_cbranch_execz .LBB6_16810
; %bb.16803:                            ;   in Loop: Header=BB6_16763 Depth=2
	v_and_b32_e32 v3, 0xffff, v0
	s_delay_alu instid0(VALU_DEP_1) | instskip(SKIP_1) | instid1(VALU_DEP_2)
	v_and_b32_e32 v2, 0x7c, v3
	v_and_b32_e32 v1, 3, v3
	v_cmp_ne_u32_e32 vcc_lo, 0x7c, v2
                                        ; implicit-def: $vgpr2
	s_and_saveexec_b32 s29, vcc_lo
	s_delay_alu instid0(SALU_CYCLE_1)
	s_xor_b32 s29, exec_lo, s29
	s_cbranch_execz .LBB6_16807
; %bb.16804:                            ;   in Loop: Header=BB6_16763 Depth=2
	v_bfe_u32 v2, v3, 2, 5
	s_mov_b32 s40, exec_lo
	s_delay_alu instid0(VALU_DEP_1)
	v_cmpx_eq_u32_e32 0, v2
	s_cbranch_execz .LBB6_16806
; %bb.16805:                            ;   in Loop: Header=BB6_16763 Depth=2
	v_clz_i32_u32_e32 v1, v1
	s_delay_alu instid0(VALU_DEP_1) | instskip(SKIP_1) | instid1(VALU_DEP_2)
	v_min_u32_e32 v2, 32, v1
	v_mov_b32_e32 v1, v55
	v_subrev_nc_u32_e32 v3, 29, v2
	v_sub_nc_u32_e32 v2, 30, v2
	s_delay_alu instid0(VALU_DEP_2) | instskip(NEXT) | instid1(VALU_DEP_1)
	v_lshlrev_b64_e32 v[0:1], v3, v[0:1]
	v_and_b32_e32 v1, 3, v0
.LBB6_16806:                            ;   in Loop: Header=BB6_16763 Depth=2
	s_or_b32 exec_lo, exec_lo, s40
	v_lshlrev_b32_e32 v0, 16, v10
	s_delay_alu instid0(VALU_DEP_1) | instskip(NEXT) | instid1(VALU_DEP_1)
	v_and_b32_e32 v0, 0x80000000, v0
	v_lshl_add_u32 v0, v2, 23, v0
	s_delay_alu instid0(VALU_DEP_1) | instskip(NEXT) | instid1(VALU_DEP_1)
	v_lshl_or_b32 v0, v1, 21, v0
                                        ; implicit-def: $vgpr1
	v_add_nc_u32_e32 v2, 0x38000000, v0
.LBB6_16807:                            ;   in Loop: Header=BB6_16763 Depth=2
	s_and_not1_saveexec_b32 s29, s29
; %bb.16808:                            ;   in Loop: Header=BB6_16763 Depth=2
	v_cmp_lt_i16_e32 vcc_lo, -1, v10
	v_cndmask_b32_e32 v0, 0xff800000, v29, vcc_lo
	v_cmp_eq_u32_e32 vcc_lo, 0, v1
	s_delay_alu instid0(VALU_DEP_2)
	v_cndmask_b32_e32 v2, 0x7f800001, v0, vcc_lo
; %bb.16809:                            ;   in Loop: Header=BB6_16763 Depth=2
	s_or_b32 exec_lo, exec_lo, s29
.LBB6_16810:                            ;   in Loop: Header=BB6_16763 Depth=2
	s_delay_alu instid0(SALU_CYCLE_1)
	s_or_b32 exec_lo, exec_lo, s28
.LBB6_16811:                            ;   in Loop: Header=BB6_16763 Depth=2
	s_delay_alu instid0(SALU_CYCLE_1) | instskip(NEXT) | instid1(VALU_DEP_1)
	s_or_b32 exec_lo, exec_lo, s10
	v_dual_mul_f32 v0, s27, v2 :: v_dual_mov_b32 v3, v55
	s_delay_alu instid0(VALU_DEP_1) | instskip(SKIP_2) | instid1(VALU_DEP_3)
	v_and_b32_e32 v2, 0x7f800000, v0
	v_and_b32_e32 v54, 0x7fffff, v0
	v_lshrrev_b32_e32 v1, 24, v0
	v_cmp_ne_u64_e32 vcc_lo, 0x7f800000, v[2:3]
                                        ; implicit-def: $vgpr2
                                        ; kill: killed $vgpr2
	s_and_saveexec_b32 s10, vcc_lo
	s_delay_alu instid0(SALU_CYCLE_1)
	s_xor_b32 s28, exec_lo, s10
	s_cbranch_execz .LBB6_16825
; %bb.16812:                            ;   in Loop: Header=BB6_16763 Depth=2
	v_and_b32_e32 v2, 0x7fffffff, v0
	v_mov_b32_e32 v3, v55
	v_and_b32_e32 v5, 0x80, v1
                                        ; implicit-def: $vgpr1
                                        ; kill: killed $vgpr1
	s_mov_b32 s10, exec_lo
	s_delay_alu instid0(VALU_DEP_2)
	v_cmpx_gt_u64_e32 0x47600001, v[2:3]
	s_xor_b32 s29, exec_lo, s10
	s_cbranch_execz .LBB6_16822
; %bb.16813:                            ;   in Loop: Header=BB6_16763 Depth=2
	v_mov_b32_e32 v1, 0
	s_mov_b32 s40, exec_lo
	scratch_store_b32 off, v1, s33 offset:236 ; 4-byte Folded Spill
	s_wait_xcnt 0x0
	v_cmpx_ne_u32_e32 0, v0
	s_cbranch_execz .LBB6_16821
; %bb.16814:                            ;   in Loop: Header=BB6_16763 Depth=2
	v_bfe_u32 v6, v0, 23, 8
	v_or_b32_e32 v2, 0x800000, v54
	s_mov_b32 s41, exec_lo
	s_delay_alu instid0(VALU_DEP_2) | instskip(SKIP_1) | instid1(VALU_DEP_2)
	v_dual_mov_b32 v3, v55 :: v_dual_sub_nc_u32 v0, 0x71, v6
	v_cmp_gt_u32_e32 vcc_lo, 0x72, v6
	v_cndmask_b32_e32 v0, 0, v0, vcc_lo
	v_cmp_eq_u32_e32 vcc_lo, 0, v6
	s_delay_alu instid0(VALU_DEP_2) | instskip(NEXT) | instid1(VALU_DEP_1)
	v_cndmask_b32_e64 v7, v0, 0x70, vcc_lo
	v_dual_cndmask_b32 v2, v2, v54, vcc_lo :: v_dual_add_nc_u32 v0, 21, v7
	v_add_nc_u32_e32 v8, 20, v7
	s_delay_alu instid0(VALU_DEP_2) | instskip(NEXT) | instid1(VALU_DEP_2)
	v_lshlrev_b64_e64 v[0:1], v0, -1
	v_lshlrev_b64_e64 v[8:9], v8, 1
	s_delay_alu instid0(VALU_DEP_2) | instskip(NEXT) | instid1(VALU_DEP_3)
	v_bfi_b32 v17, v1, 0, 0
	v_bfi_b32 v16, v0, 0, v2
	v_lshrrev_b64 v[0:1], v7, v[2:3]
	s_delay_alu instid0(VALU_DEP_1) | instskip(NEXT) | instid1(VALU_DEP_3)
	v_mov_b64_e32 v[2:3], v[0:1]
	v_cmpx_eq_u64_e64 v[16:17], v[8:9]
; %bb.16815:                            ;   in Loop: Header=BB6_16763 Depth=2
	v_bfe_u32 v2, v0, 21, 1
	v_mov_b32_e32 v3, v55
	s_delay_alu instid0(VALU_DEP_1) | instskip(NEXT) | instid1(VALU_DEP_1)
	v_add_nc_u64_e32 v[2:3], v[0:1], v[2:3]
	v_add_nc_u64_e32 v[2:3], -1, v[2:3]
; %bb.16816:                            ;   in Loop: Header=BB6_16763 Depth=2
	s_or_b32 exec_lo, exec_lo, s41
	v_add_nc_u32_e32 v1, 0xffffff81, v6
	v_lshrrev_b32_e32 v3, 23, v0
	s_mov_b32 s10, exec_lo
	s_delay_alu instid0(VALU_DEP_2) | instskip(NEXT) | instid1(VALU_DEP_1)
	v_cndmask_b32_e64 v1, v1, 0xffffff82, vcc_lo
	v_add3_u32 v3, v7, v1, v3
	v_and_b32_e32 v1, 0x1fffff, v2
                                        ; implicit-def: $vgpr2
	s_delay_alu instid0(VALU_DEP_1) | instskip(NEXT) | instid1(VALU_DEP_1)
	v_dual_add_nc_u32 v6, 14, v3 :: v_dual_add_nc_u32 v54, v1, v0
                                        ; implicit-def: $vgpr0_vgpr1
	v_cmpx_ne_u32_e32 0, v6
	s_xor_b32 s10, exec_lo, s10
; %bb.16817:                            ;   in Loop: Header=BB6_16763 Depth=2
	s_delay_alu instid0(VALU_DEP_2) | instskip(SKIP_1) | instid1(VALU_DEP_1)
	v_cmp_lt_u64_e32 vcc_lo, 0xffffff, v[54:55]
	v_add_nc_u32_e32 v0, 15, v3
	v_cndmask_b32_e32 v2, v6, v0, vcc_lo
	v_cndmask_b32_e64 v0, 0, 1, vcc_lo
	s_delay_alu instid0(VALU_DEP_1)
	v_lshrrev_b64 v[0:1], v0, v[54:55]
; %bb.16818:                            ;   in Loop: Header=BB6_16763 Depth=2
	s_and_not1_saveexec_b32 s10, s10
; %bb.16819:                            ;   in Loop: Header=BB6_16763 Depth=2
	v_mov_b64_e32 v[0:1], v[54:55]
	v_bfe_u32 v2, v54, 23, 1
; %bb.16820:                            ;   in Loop: Header=BB6_16763 Depth=2
	s_or_b32 exec_lo, exec_lo, s10
	s_delay_alu instid0(VALU_DEP_2) | instskip(NEXT) | instid1(VALU_DEP_2)
	v_lshrrev_b64 v[0:1], 21, v[0:1]
	v_cmp_gt_i32_e32 vcc_lo, 32, v2
	v_min_i32_e32 v3, 31, v2
	v_cmp_eq_u32_e64 s10, 0, v2
	s_delay_alu instid0(VALU_DEP_2) | instskip(SKIP_1) | instid1(VALU_DEP_2)
	v_dual_cndmask_b32 v1, 0, v1, vcc_lo :: v_dual_lshlrev_b32 v3, 2, v3
	v_cndmask_b32_e32 v0, 3, v0, vcc_lo
	v_and_b32_e32 v3, 0xfc, v3
	s_delay_alu instid0(VALU_DEP_2) | instskip(NEXT) | instid1(VALU_DEP_2)
	v_cmp_eq_u64_e32 vcc_lo, 0, v[0:1]
	v_and_or_b32 v0, v0, 3, v3
	s_and_b32 s10, s10, vcc_lo
	s_delay_alu instid0(VALU_DEP_1) | instid1(SALU_CYCLE_1)
	v_cndmask_b32_e64 v0, v0, 0, s10
	s_delay_alu instid0(VALU_DEP_1)
	v_or_b32_e32 v0, v0, v5
	scratch_store_b32 off, v0, s33 offset:236 ; 4-byte Folded Spill
.LBB6_16821:                            ;   in Loop: Header=BB6_16763 Depth=2
	s_wait_xcnt 0x0
	s_or_b32 exec_lo, exec_lo, s40
                                        ; implicit-def: $vgpr5
.LBB6_16822:                            ;   in Loop: Header=BB6_16763 Depth=2
	s_and_not1_saveexec_b32 s10, s29
	s_cbranch_execz .LBB6_16824
; %bb.16823:                            ;   in Loop: Header=BB6_16763 Depth=2
	v_or_b32_e32 v0, 0x7b, v5
	scratch_store_b32 off, v0, s33 offset:236 ; 4-byte Folded Spill
.LBB6_16824:                            ;   in Loop: Header=BB6_16763 Depth=2
	s_wait_xcnt 0x0
	s_or_b32 exec_lo, exec_lo, s10
                                        ; implicit-def: $vgpr0
                                        ; implicit-def: $vgpr1
.LBB6_16825:                            ;   in Loop: Header=BB6_16763 Depth=2
	s_and_not1_saveexec_b32 s10, s28
	s_cbranch_execz .LBB6_16831
; %bb.16826:                            ;   in Loop: Header=BB6_16763 Depth=2
	s_mov_b32 s28, exec_lo
                                        ; implicit-def: $vgpr2
                                        ; kill: killed $vgpr2
	v_cmpx_ne_u64_e32 0, v[54:55]
	s_xor_b32 s28, exec_lo, s28
	s_cbranch_execz .LBB6_16828
; %bb.16827:                            ;   in Loop: Header=BB6_16763 Depth=2
	v_or_b32_e32 v0, 0x7f, v1
	scratch_store_b32 off, v0, s33 offset:236 ; 4-byte Folded Spill
                                        ; implicit-def: $vgpr0
.LBB6_16828:                            ;   in Loop: Header=BB6_16763 Depth=2
	s_wait_xcnt 0x0
	s_and_not1_saveexec_b32 s28, s28
	s_cbranch_execz .LBB6_16830
; %bb.16829:                            ;   in Loop: Header=BB6_16763 Depth=2
	v_cmp_lt_i32_e32 vcc_lo, -1, v0
	v_cndmask_b32_e32 v0, 0xfc, v30, vcc_lo
	scratch_store_b32 off, v0, s33 offset:236 ; 4-byte Folded Spill
.LBB6_16830:                            ;   in Loop: Header=BB6_16763 Depth=2
	s_wait_xcnt 0x0
	s_or_b32 exec_lo, exec_lo, s28
.LBB6_16831:                            ;   in Loop: Header=BB6_16763 Depth=2
	s_delay_alu instid0(SALU_CYCLE_1) | instskip(SKIP_2) | instid1(VALU_DEP_1)
	s_or_b32 exec_lo, exec_lo, s10
	v_dual_mov_b32 v1, 0 :: v_dual_lshrrev_b32 v0, 16, v10
	s_mov_b32 s10, exec_lo
	v_and_b32_e32 v2, 0xff, v0
	s_delay_alu instid0(VALU_DEP_1)
	v_cmpx_ne_u16_e32 0, v2
	s_cbranch_execz .LBB6_16841
; %bb.16832:                            ;   in Loop: Header=BB6_16763 Depth=2
	v_bfrev_b32_e32 v1, 1
	s_mov_b32 s28, exec_lo
	v_cmpx_ne_u16_e32 0x80, v2
	s_cbranch_execz .LBB6_16840
; %bb.16833:                            ;   in Loop: Header=BB6_16763 Depth=2
	v_and_b32_e32 v1, 0x7c0000, v10
	v_bfe_u32 v2, v10, 16, 2
	s_delay_alu instid0(VALU_DEP_2) | instskip(SKIP_1) | instid1(SALU_CYCLE_1)
	v_cmp_ne_u32_e32 vcc_lo, 0x7c0000, v1
                                        ; implicit-def: $vgpr1
	s_and_saveexec_b32 s29, vcc_lo
	s_xor_b32 s29, exec_lo, s29
	s_cbranch_execz .LBB6_16837
; %bb.16834:                            ;   in Loop: Header=BB6_16763 Depth=2
	v_bfe_u32 v1, v10, 18, 5
	s_mov_b32 s40, exec_lo
	s_delay_alu instid0(VALU_DEP_1)
	v_cmpx_eq_u32_e32 0, v1
; %bb.16835:                            ;   in Loop: Header=BB6_16763 Depth=2
	v_clz_i32_u32_e32 v1, v2
	s_delay_alu instid0(VALU_DEP_1) | instskip(NEXT) | instid1(VALU_DEP_1)
	v_min_u32_e32 v1, 32, v1
	v_subrev_nc_u32_e32 v2, 29, v1
	s_delay_alu instid0(VALU_DEP_1) | instskip(NEXT) | instid1(VALU_DEP_1)
	v_lshlrev_b64_e32 v[2:3], v2, v[0:1]
	v_dual_sub_nc_u32 v1, 30, v1 :: v_dual_bitop2_b32 v2, 3, v2 bitop3:0x40
; %bb.16836:                            ;   in Loop: Header=BB6_16763 Depth=2
	s_or_b32 exec_lo, exec_lo, s40
	v_lshlrev_b32_e32 v0, 24, v0
	s_delay_alu instid0(VALU_DEP_1) | instskip(NEXT) | instid1(VALU_DEP_1)
	v_and_b32_e32 v0, 0x80000000, v0
	v_lshl_add_u32 v0, v1, 23, v0
	s_delay_alu instid0(VALU_DEP_1) | instskip(NEXT) | instid1(VALU_DEP_1)
	v_lshl_or_b32 v0, v2, 21, v0
                                        ; implicit-def: $vgpr2
	v_add_nc_u32_e32 v1, 0x38000000, v0
                                        ; implicit-def: $vgpr0
.LBB6_16837:                            ;   in Loop: Header=BB6_16763 Depth=2
	s_and_not1_saveexec_b32 s29, s29
; %bb.16838:                            ;   in Loop: Header=BB6_16763 Depth=2
	v_bfe_i32 v0, v0, 0, 8
	s_delay_alu instid0(VALU_DEP_1) | instskip(SKIP_2) | instid1(VALU_DEP_2)
	v_cmp_lt_i16_e32 vcc_lo, -1, v0
	v_cndmask_b32_e32 v0, 0xff800000, v29, vcc_lo
	v_cmp_eq_u32_e32 vcc_lo, 0, v2
	v_cndmask_b32_e32 v1, 0x7f800001, v0, vcc_lo
; %bb.16839:                            ;   in Loop: Header=BB6_16763 Depth=2
	s_or_b32 exec_lo, exec_lo, s29
.LBB6_16840:                            ;   in Loop: Header=BB6_16763 Depth=2
	s_delay_alu instid0(SALU_CYCLE_1)
	s_or_b32 exec_lo, exec_lo, s28
.LBB6_16841:                            ;   in Loop: Header=BB6_16763 Depth=2
	s_delay_alu instid0(SALU_CYCLE_1) | instskip(NEXT) | instid1(VALU_DEP_1)
	s_or_b32 exec_lo, exec_lo, s10
	v_dual_mul_f32 v0, s27, v1 :: v_dual_mov_b32 v3, v55
	s_delay_alu instid0(VALU_DEP_1) | instskip(SKIP_2) | instid1(VALU_DEP_3)
	v_and_b32_e32 v2, 0x7f800000, v0
	v_and_b32_e32 v54, 0x7fffff, v0
	v_lshrrev_b32_e32 v1, 24, v0
	v_cmp_ne_u64_e32 vcc_lo, 0x7f800000, v[2:3]
                                        ; implicit-def: $vgpr2
                                        ; kill: killed $vgpr2
	s_and_saveexec_b32 s10, vcc_lo
	s_delay_alu instid0(SALU_CYCLE_1)
	s_xor_b32 s28, exec_lo, s10
	s_cbranch_execz .LBB6_16855
; %bb.16842:                            ;   in Loop: Header=BB6_16763 Depth=2
	v_and_b32_e32 v2, 0x7fffffff, v0
	v_mov_b32_e32 v3, v55
	v_and_b32_e32 v5, 0x80, v1
                                        ; implicit-def: $vgpr1
                                        ; kill: killed $vgpr1
	s_mov_b32 s10, exec_lo
	s_delay_alu instid0(VALU_DEP_2)
	v_cmpx_gt_u64_e32 0x47600001, v[2:3]
	s_xor_b32 s29, exec_lo, s10
	s_cbranch_execz .LBB6_16852
; %bb.16843:                            ;   in Loop: Header=BB6_16763 Depth=2
	v_mov_b32_e32 v1, 0
	s_mov_b32 s40, exec_lo
	scratch_store_b32 off, v1, s33 offset:244 ; 4-byte Folded Spill
	s_wait_xcnt 0x0
	v_cmpx_ne_u32_e32 0, v0
	s_cbranch_execz .LBB6_16851
; %bb.16844:                            ;   in Loop: Header=BB6_16763 Depth=2
	v_bfe_u32 v6, v0, 23, 8
	v_or_b32_e32 v2, 0x800000, v54
	s_mov_b32 s41, exec_lo
	s_delay_alu instid0(VALU_DEP_2) | instskip(SKIP_1) | instid1(VALU_DEP_2)
	v_dual_mov_b32 v3, v55 :: v_dual_sub_nc_u32 v0, 0x71, v6
	v_cmp_gt_u32_e32 vcc_lo, 0x72, v6
	v_cndmask_b32_e32 v0, 0, v0, vcc_lo
	v_cmp_eq_u32_e32 vcc_lo, 0, v6
	s_delay_alu instid0(VALU_DEP_2) | instskip(NEXT) | instid1(VALU_DEP_1)
	v_cndmask_b32_e64 v7, v0, 0x70, vcc_lo
	v_dual_cndmask_b32 v2, v2, v54, vcc_lo :: v_dual_add_nc_u32 v0, 21, v7
	v_add_nc_u32_e32 v8, 20, v7
	s_delay_alu instid0(VALU_DEP_2) | instskip(NEXT) | instid1(VALU_DEP_2)
	v_lshlrev_b64_e64 v[0:1], v0, -1
	v_lshlrev_b64_e64 v[8:9], v8, 1
	s_delay_alu instid0(VALU_DEP_2) | instskip(NEXT) | instid1(VALU_DEP_3)
	v_bfi_b32 v17, v1, 0, 0
	v_bfi_b32 v16, v0, 0, v2
	v_lshrrev_b64 v[0:1], v7, v[2:3]
	s_delay_alu instid0(VALU_DEP_1) | instskip(NEXT) | instid1(VALU_DEP_3)
	v_mov_b64_e32 v[2:3], v[0:1]
	v_cmpx_eq_u64_e64 v[16:17], v[8:9]
; %bb.16845:                            ;   in Loop: Header=BB6_16763 Depth=2
	v_bfe_u32 v2, v0, 21, 1
	v_mov_b32_e32 v3, v55
	s_delay_alu instid0(VALU_DEP_1) | instskip(NEXT) | instid1(VALU_DEP_1)
	v_add_nc_u64_e32 v[2:3], v[0:1], v[2:3]
	v_add_nc_u64_e32 v[2:3], -1, v[2:3]
; %bb.16846:                            ;   in Loop: Header=BB6_16763 Depth=2
	s_or_b32 exec_lo, exec_lo, s41
	v_add_nc_u32_e32 v1, 0xffffff81, v6
	v_lshrrev_b32_e32 v3, 23, v0
	s_mov_b32 s10, exec_lo
	s_delay_alu instid0(VALU_DEP_2) | instskip(NEXT) | instid1(VALU_DEP_1)
	v_cndmask_b32_e64 v1, v1, 0xffffff82, vcc_lo
	v_add3_u32 v3, v7, v1, v3
	v_and_b32_e32 v1, 0x1fffff, v2
                                        ; implicit-def: $vgpr2
	s_delay_alu instid0(VALU_DEP_1) | instskip(NEXT) | instid1(VALU_DEP_1)
	v_dual_add_nc_u32 v6, 14, v3 :: v_dual_add_nc_u32 v54, v1, v0
                                        ; implicit-def: $vgpr0_vgpr1
	v_cmpx_ne_u32_e32 0, v6
	s_xor_b32 s10, exec_lo, s10
; %bb.16847:                            ;   in Loop: Header=BB6_16763 Depth=2
	s_delay_alu instid0(VALU_DEP_2) | instskip(SKIP_1) | instid1(VALU_DEP_1)
	v_cmp_lt_u64_e32 vcc_lo, 0xffffff, v[54:55]
	v_add_nc_u32_e32 v0, 15, v3
	v_cndmask_b32_e32 v2, v6, v0, vcc_lo
	v_cndmask_b32_e64 v0, 0, 1, vcc_lo
	s_delay_alu instid0(VALU_DEP_1)
	v_lshrrev_b64 v[0:1], v0, v[54:55]
; %bb.16848:                            ;   in Loop: Header=BB6_16763 Depth=2
	s_and_not1_saveexec_b32 s10, s10
; %bb.16849:                            ;   in Loop: Header=BB6_16763 Depth=2
	v_mov_b64_e32 v[0:1], v[54:55]
	v_bfe_u32 v2, v54, 23, 1
; %bb.16850:                            ;   in Loop: Header=BB6_16763 Depth=2
	s_or_b32 exec_lo, exec_lo, s10
	s_delay_alu instid0(VALU_DEP_2) | instskip(NEXT) | instid1(VALU_DEP_2)
	v_lshrrev_b64 v[0:1], 21, v[0:1]
	v_cmp_gt_i32_e32 vcc_lo, 32, v2
	v_min_i32_e32 v3, 31, v2
	v_cmp_eq_u32_e64 s10, 0, v2
	s_delay_alu instid0(VALU_DEP_2) | instskip(SKIP_1) | instid1(VALU_DEP_2)
	v_dual_cndmask_b32 v1, 0, v1, vcc_lo :: v_dual_lshlrev_b32 v3, 2, v3
	v_cndmask_b32_e32 v0, 3, v0, vcc_lo
	v_and_b32_e32 v3, 0xfc, v3
	s_delay_alu instid0(VALU_DEP_2) | instskip(NEXT) | instid1(VALU_DEP_2)
	v_cmp_eq_u64_e32 vcc_lo, 0, v[0:1]
	v_and_or_b32 v0, v0, 3, v3
	s_and_b32 s10, s10, vcc_lo
	s_delay_alu instid0(VALU_DEP_1) | instid1(SALU_CYCLE_1)
	v_cndmask_b32_e64 v0, v0, 0, s10
	s_delay_alu instid0(VALU_DEP_1)
	v_or_b32_e32 v0, v0, v5
	scratch_store_b32 off, v0, s33 offset:244 ; 4-byte Folded Spill
.LBB6_16851:                            ;   in Loop: Header=BB6_16763 Depth=2
	s_wait_xcnt 0x0
	s_or_b32 exec_lo, exec_lo, s40
                                        ; implicit-def: $vgpr5
.LBB6_16852:                            ;   in Loop: Header=BB6_16763 Depth=2
	s_and_not1_saveexec_b32 s10, s29
	s_cbranch_execz .LBB6_16854
; %bb.16853:                            ;   in Loop: Header=BB6_16763 Depth=2
	v_or_b32_e32 v0, 0x7b, v5
	scratch_store_b32 off, v0, s33 offset:244 ; 4-byte Folded Spill
.LBB6_16854:                            ;   in Loop: Header=BB6_16763 Depth=2
	s_wait_xcnt 0x0
	s_or_b32 exec_lo, exec_lo, s10
                                        ; implicit-def: $vgpr0
                                        ; implicit-def: $vgpr1
.LBB6_16855:                            ;   in Loop: Header=BB6_16763 Depth=2
	s_and_not1_saveexec_b32 s10, s28
	s_cbranch_execz .LBB6_16861
; %bb.16856:                            ;   in Loop: Header=BB6_16763 Depth=2
	s_mov_b32 s28, exec_lo
                                        ; implicit-def: $vgpr2
                                        ; kill: killed $vgpr2
	v_cmpx_ne_u64_e32 0, v[54:55]
	s_xor_b32 s28, exec_lo, s28
	s_cbranch_execz .LBB6_16858
; %bb.16857:                            ;   in Loop: Header=BB6_16763 Depth=2
	v_or_b32_e32 v0, 0x7f, v1
	scratch_store_b32 off, v0, s33 offset:244 ; 4-byte Folded Spill
                                        ; implicit-def: $vgpr0
.LBB6_16858:                            ;   in Loop: Header=BB6_16763 Depth=2
	s_wait_xcnt 0x0
	s_and_not1_saveexec_b32 s28, s28
	s_cbranch_execz .LBB6_16860
; %bb.16859:                            ;   in Loop: Header=BB6_16763 Depth=2
	v_cmp_lt_i32_e32 vcc_lo, -1, v0
	v_cndmask_b32_e32 v0, 0xfc, v30, vcc_lo
	scratch_store_b32 off, v0, s33 offset:244 ; 4-byte Folded Spill
.LBB6_16860:                            ;   in Loop: Header=BB6_16763 Depth=2
	s_wait_xcnt 0x0
	s_or_b32 exec_lo, exec_lo, s28
.LBB6_16861:                            ;   in Loop: Header=BB6_16763 Depth=2
	s_delay_alu instid0(SALU_CYCLE_1)
	s_or_b32 exec_lo, exec_lo, s10
	v_mov_b32_e32 v1, 0
	s_mov_b32 s10, exec_lo
	v_cmpx_lt_u32_e32 0xffffff, v10
	s_cbranch_execz .LBB6_16871
; %bb.16862:                            ;   in Loop: Header=BB6_16763 Depth=2
	v_lshrrev_b32_e32 v0, 24, v10
	v_bfrev_b32_e32 v1, 1
	s_mov_b32 s28, exec_lo
	s_delay_alu instid0(VALU_DEP_2)
	v_cmpx_ne_u32_e32 0x80, v0
	s_cbranch_execz .LBB6_16870
; %bb.16863:                            ;   in Loop: Header=BB6_16763 Depth=2
	v_and_b32_e32 v1, 0x7c000000, v10
	v_bfe_u32 v2, v10, 24, 2
	s_delay_alu instid0(VALU_DEP_2) | instskip(SKIP_1) | instid1(SALU_CYCLE_1)
	v_cmp_ne_u32_e32 vcc_lo, 0x7c000000, v1
                                        ; implicit-def: $vgpr1
	s_and_saveexec_b32 s29, vcc_lo
	s_xor_b32 s29, exec_lo, s29
	s_cbranch_execz .LBB6_16867
; %bb.16864:                            ;   in Loop: Header=BB6_16763 Depth=2
	v_bfe_u32 v1, v10, 26, 5
	s_mov_b32 s40, exec_lo
	s_delay_alu instid0(VALU_DEP_1)
	v_cmpx_eq_u32_e32 0, v1
; %bb.16865:                            ;   in Loop: Header=BB6_16763 Depth=2
	v_clz_i32_u32_e32 v1, v2
	s_delay_alu instid0(VALU_DEP_1) | instskip(NEXT) | instid1(VALU_DEP_1)
	v_min_u32_e32 v2, 32, v1
	v_subrev_nc_u32_e32 v1, 29, v2
	s_delay_alu instid0(VALU_DEP_1) | instskip(NEXT) | instid1(VALU_DEP_1)
	v_lshlrev_b64_e32 v[0:1], v1, v[0:1]
	v_dual_sub_nc_u32 v1, 30, v2 :: v_dual_bitop2_b32 v2, 3, v0 bitop3:0x40
; %bb.16866:                            ;   in Loop: Header=BB6_16763 Depth=2
	s_or_b32 exec_lo, exec_lo, s40
	v_and_b32_e32 v0, 0x80000000, v10
	s_delay_alu instid0(VALU_DEP_1) | instskip(NEXT) | instid1(VALU_DEP_1)
	v_lshl_add_u32 v0, v1, 23, v0
	v_lshl_or_b32 v0, v2, 21, v0
                                        ; implicit-def: $vgpr2
	s_delay_alu instid0(VALU_DEP_1)
	v_add_nc_u32_e32 v1, 0x38000000, v0
.LBB6_16867:                            ;   in Loop: Header=BB6_16763 Depth=2
	s_and_not1_saveexec_b32 s29, s29
; %bb.16868:                            ;   in Loop: Header=BB6_16763 Depth=2
	v_cmp_lt_i32_e32 vcc_lo, -1, v10
	v_cndmask_b32_e32 v0, 0xff800000, v29, vcc_lo
	v_cmp_eq_u32_e32 vcc_lo, 0, v2
	s_delay_alu instid0(VALU_DEP_2)
	v_cndmask_b32_e32 v1, 0x7f800001, v0, vcc_lo
; %bb.16869:                            ;   in Loop: Header=BB6_16763 Depth=2
	s_or_b32 exec_lo, exec_lo, s29
.LBB6_16870:                            ;   in Loop: Header=BB6_16763 Depth=2
	s_delay_alu instid0(SALU_CYCLE_1)
	s_or_b32 exec_lo, exec_lo, s28
.LBB6_16871:                            ;   in Loop: Header=BB6_16763 Depth=2
	s_delay_alu instid0(SALU_CYCLE_1) | instskip(NEXT) | instid1(VALU_DEP_1)
	s_or_b32 exec_lo, exec_lo, s10
	v_dual_mul_f32 v0, s27, v1 :: v_dual_mov_b32 v3, v55
	s_delay_alu instid0(VALU_DEP_1) | instskip(SKIP_2) | instid1(VALU_DEP_3)
	v_and_b32_e32 v2, 0x7f800000, v0
	v_and_b32_e32 v54, 0x7fffff, v0
	v_lshrrev_b32_e32 v1, 24, v0
	v_cmp_ne_u64_e32 vcc_lo, 0x7f800000, v[2:3]
                                        ; implicit-def: $vgpr2
                                        ; kill: killed $vgpr2
	s_and_saveexec_b32 s10, vcc_lo
	s_delay_alu instid0(SALU_CYCLE_1)
	s_xor_b32 s28, exec_lo, s10
	s_cbranch_execz .LBB6_16885
; %bb.16872:                            ;   in Loop: Header=BB6_16763 Depth=2
	v_and_b32_e32 v2, 0x7fffffff, v0
	v_mov_b32_e32 v3, v55
	v_and_b32_e32 v5, 0x80, v1
                                        ; implicit-def: $vgpr1
                                        ; kill: killed $vgpr1
	s_mov_b32 s10, exec_lo
	s_delay_alu instid0(VALU_DEP_2)
	v_cmpx_gt_u64_e32 0x47600001, v[2:3]
	s_xor_b32 s29, exec_lo, s10
	s_cbranch_execz .LBB6_16882
; %bb.16873:                            ;   in Loop: Header=BB6_16763 Depth=2
	v_mov_b32_e32 v1, 0
	s_mov_b32 s40, exec_lo
	scratch_store_b32 off, v1, s33 offset:252 ; 4-byte Folded Spill
	s_wait_xcnt 0x0
	v_cmpx_ne_u32_e32 0, v0
	s_cbranch_execz .LBB6_16881
; %bb.16874:                            ;   in Loop: Header=BB6_16763 Depth=2
	v_bfe_u32 v6, v0, 23, 8
	v_or_b32_e32 v2, 0x800000, v54
	s_mov_b32 s41, exec_lo
	s_delay_alu instid0(VALU_DEP_2) | instskip(SKIP_1) | instid1(VALU_DEP_2)
	v_dual_mov_b32 v3, v55 :: v_dual_sub_nc_u32 v0, 0x71, v6
	v_cmp_gt_u32_e32 vcc_lo, 0x72, v6
	v_cndmask_b32_e32 v0, 0, v0, vcc_lo
	v_cmp_eq_u32_e32 vcc_lo, 0, v6
	s_delay_alu instid0(VALU_DEP_2) | instskip(NEXT) | instid1(VALU_DEP_1)
	v_cndmask_b32_e64 v7, v0, 0x70, vcc_lo
	v_dual_cndmask_b32 v2, v2, v54, vcc_lo :: v_dual_add_nc_u32 v0, 21, v7
	v_add_nc_u32_e32 v8, 20, v7
	s_delay_alu instid0(VALU_DEP_2) | instskip(NEXT) | instid1(VALU_DEP_2)
	v_lshlrev_b64_e64 v[0:1], v0, -1
	v_lshlrev_b64_e64 v[8:9], v8, 1
	s_delay_alu instid0(VALU_DEP_2) | instskip(NEXT) | instid1(VALU_DEP_3)
	v_bfi_b32 v17, v1, 0, 0
	v_bfi_b32 v16, v0, 0, v2
	v_lshrrev_b64 v[0:1], v7, v[2:3]
	s_delay_alu instid0(VALU_DEP_1) | instskip(NEXT) | instid1(VALU_DEP_3)
	v_mov_b64_e32 v[2:3], v[0:1]
	v_cmpx_eq_u64_e64 v[16:17], v[8:9]
; %bb.16875:                            ;   in Loop: Header=BB6_16763 Depth=2
	v_bfe_u32 v2, v0, 21, 1
	v_mov_b32_e32 v3, v55
	s_delay_alu instid0(VALU_DEP_1) | instskip(NEXT) | instid1(VALU_DEP_1)
	v_add_nc_u64_e32 v[2:3], v[0:1], v[2:3]
	v_add_nc_u64_e32 v[2:3], -1, v[2:3]
; %bb.16876:                            ;   in Loop: Header=BB6_16763 Depth=2
	s_or_b32 exec_lo, exec_lo, s41
	v_add_nc_u32_e32 v1, 0xffffff81, v6
	v_lshrrev_b32_e32 v3, 23, v0
	s_mov_b32 s10, exec_lo
	s_delay_alu instid0(VALU_DEP_2) | instskip(NEXT) | instid1(VALU_DEP_1)
	v_cndmask_b32_e64 v1, v1, 0xffffff82, vcc_lo
	v_add3_u32 v3, v7, v1, v3
	v_and_b32_e32 v1, 0x1fffff, v2
                                        ; implicit-def: $vgpr2
	s_delay_alu instid0(VALU_DEP_1) | instskip(NEXT) | instid1(VALU_DEP_1)
	v_dual_add_nc_u32 v6, 14, v3 :: v_dual_add_nc_u32 v54, v1, v0
                                        ; implicit-def: $vgpr0_vgpr1
	v_cmpx_ne_u32_e32 0, v6
	s_xor_b32 s10, exec_lo, s10
; %bb.16877:                            ;   in Loop: Header=BB6_16763 Depth=2
	s_delay_alu instid0(VALU_DEP_2) | instskip(SKIP_1) | instid1(VALU_DEP_1)
	v_cmp_lt_u64_e32 vcc_lo, 0xffffff, v[54:55]
	v_add_nc_u32_e32 v0, 15, v3
	v_cndmask_b32_e32 v2, v6, v0, vcc_lo
	v_cndmask_b32_e64 v0, 0, 1, vcc_lo
	s_delay_alu instid0(VALU_DEP_1)
	v_lshrrev_b64 v[0:1], v0, v[54:55]
; %bb.16878:                            ;   in Loop: Header=BB6_16763 Depth=2
	s_and_not1_saveexec_b32 s10, s10
; %bb.16879:                            ;   in Loop: Header=BB6_16763 Depth=2
	v_mov_b64_e32 v[0:1], v[54:55]
	v_bfe_u32 v2, v54, 23, 1
; %bb.16880:                            ;   in Loop: Header=BB6_16763 Depth=2
	s_or_b32 exec_lo, exec_lo, s10
	s_delay_alu instid0(VALU_DEP_2) | instskip(NEXT) | instid1(VALU_DEP_2)
	v_lshrrev_b64 v[0:1], 21, v[0:1]
	v_cmp_gt_i32_e32 vcc_lo, 32, v2
	v_min_i32_e32 v3, 31, v2
	v_cmp_eq_u32_e64 s10, 0, v2
	s_delay_alu instid0(VALU_DEP_2) | instskip(SKIP_1) | instid1(VALU_DEP_2)
	v_dual_cndmask_b32 v1, 0, v1, vcc_lo :: v_dual_lshlrev_b32 v3, 2, v3
	v_cndmask_b32_e32 v0, 3, v0, vcc_lo
	v_and_b32_e32 v3, 0xfc, v3
	s_delay_alu instid0(VALU_DEP_2) | instskip(NEXT) | instid1(VALU_DEP_2)
	v_cmp_eq_u64_e32 vcc_lo, 0, v[0:1]
	v_and_or_b32 v0, v0, 3, v3
	s_and_b32 s10, s10, vcc_lo
	s_delay_alu instid0(VALU_DEP_1) | instid1(SALU_CYCLE_1)
	v_cndmask_b32_e64 v0, v0, 0, s10
	s_delay_alu instid0(VALU_DEP_1)
	v_or_b32_e32 v0, v0, v5
	scratch_store_b32 off, v0, s33 offset:252 ; 4-byte Folded Spill
.LBB6_16881:                            ;   in Loop: Header=BB6_16763 Depth=2
	s_wait_xcnt 0x0
	s_or_b32 exec_lo, exec_lo, s40
                                        ; implicit-def: $vgpr5
.LBB6_16882:                            ;   in Loop: Header=BB6_16763 Depth=2
	s_and_not1_saveexec_b32 s10, s29
	s_cbranch_execz .LBB6_16884
; %bb.16883:                            ;   in Loop: Header=BB6_16763 Depth=2
	v_or_b32_e32 v0, 0x7b, v5
	scratch_store_b32 off, v0, s33 offset:252 ; 4-byte Folded Spill
.LBB6_16884:                            ;   in Loop: Header=BB6_16763 Depth=2
	s_wait_xcnt 0x0
	s_or_b32 exec_lo, exec_lo, s10
                                        ; implicit-def: $vgpr0
                                        ; implicit-def: $vgpr1
.LBB6_16885:                            ;   in Loop: Header=BB6_16763 Depth=2
	s_and_not1_saveexec_b32 s10, s28
	s_cbranch_execz .LBB6_16891
; %bb.16886:                            ;   in Loop: Header=BB6_16763 Depth=2
	s_mov_b32 s28, exec_lo
                                        ; implicit-def: $vgpr2
                                        ; kill: killed $vgpr2
	v_cmpx_ne_u64_e32 0, v[54:55]
	s_xor_b32 s28, exec_lo, s28
	s_cbranch_execz .LBB6_16888
; %bb.16887:                            ;   in Loop: Header=BB6_16763 Depth=2
	v_or_b32_e32 v0, 0x7f, v1
	scratch_store_b32 off, v0, s33 offset:252 ; 4-byte Folded Spill
                                        ; implicit-def: $vgpr0
.LBB6_16888:                            ;   in Loop: Header=BB6_16763 Depth=2
	s_wait_xcnt 0x0
	s_and_not1_saveexec_b32 s28, s28
	s_cbranch_execz .LBB6_16890
; %bb.16889:                            ;   in Loop: Header=BB6_16763 Depth=2
	v_cmp_lt_i32_e32 vcc_lo, -1, v0
	v_cndmask_b32_e32 v0, 0xfc, v30, vcc_lo
	scratch_store_b32 off, v0, s33 offset:252 ; 4-byte Folded Spill
.LBB6_16890:                            ;   in Loop: Header=BB6_16763 Depth=2
	s_wait_xcnt 0x0
	s_or_b32 exec_lo, exec_lo, s28
.LBB6_16891:                            ;   in Loop: Header=BB6_16763 Depth=2
	s_delay_alu instid0(SALU_CYCLE_1) | instskip(SKIP_3) | instid1(VALU_DEP_2)
	s_or_b32 exec_lo, exec_lo, s10
	v_and_b32_e32 v1, 0xff, v11
	v_dual_mov_b32 v54, v11 :: v_dual_mov_b32 v0, 0
	s_mov_b32 s10, exec_lo
	v_cmpx_ne_u16_e32 0, v1
	s_cbranch_execz .LBB6_16901
; %bb.16892:                            ;   in Loop: Header=BB6_16763 Depth=2
	v_bfrev_b32_e32 v0, 1
	s_mov_b32 s28, exec_lo
	v_cmpx_ne_u16_e32 0x80, v1
	s_cbranch_execz .LBB6_16900
; %bb.16893:                            ;   in Loop: Header=BB6_16763 Depth=2
	v_and_b32_e32 v0, 0x7c, v11
	v_and_b32_e32 v1, 3, v11
	s_delay_alu instid0(VALU_DEP_2) | instskip(SKIP_1) | instid1(SALU_CYCLE_1)
	v_cmp_ne_u32_e32 vcc_lo, 0x7c, v0
                                        ; implicit-def: $vgpr0
	s_and_saveexec_b32 s29, vcc_lo
	s_xor_b32 s29, exec_lo, s29
	s_cbranch_execz .LBB6_16897
; %bb.16894:                            ;   in Loop: Header=BB6_16763 Depth=2
	v_bfe_u32 v0, v11, 2, 5
	s_mov_b32 s40, exec_lo
	s_delay_alu instid0(VALU_DEP_1)
	v_cmpx_eq_u32_e32 0, v0
; %bb.16895:                            ;   in Loop: Header=BB6_16763 Depth=2
	v_clz_i32_u32_e32 v0, v1
	s_delay_alu instid0(VALU_DEP_1) | instskip(NEXT) | instid1(VALU_DEP_1)
	v_min_u32_e32 v0, 32, v0
	v_subrev_nc_u32_e32 v1, 29, v0
	s_delay_alu instid0(VALU_DEP_1) | instskip(NEXT) | instid1(VALU_DEP_1)
	v_lshlrev_b64_e32 v[2:3], v1, v[54:55]
	v_dual_sub_nc_u32 v0, 30, v0 :: v_dual_bitop2_b32 v1, 3, v2 bitop3:0x40
; %bb.16896:                            ;   in Loop: Header=BB6_16763 Depth=2
	s_or_b32 exec_lo, exec_lo, s40
	v_lshlrev_b32_e32 v2, 24, v11
	s_delay_alu instid0(VALU_DEP_1) | instskip(NEXT) | instid1(VALU_DEP_1)
	v_and_b32_e32 v2, 0x80000000, v2
	v_lshl_add_u32 v0, v0, 23, v2
	s_delay_alu instid0(VALU_DEP_1) | instskip(NEXT) | instid1(VALU_DEP_1)
	v_lshl_or_b32 v0, v1, 21, v0
                                        ; implicit-def: $vgpr1
	v_add_nc_u32_e32 v0, 0x38000000, v0
.LBB6_16897:                            ;   in Loop: Header=BB6_16763 Depth=2
	s_and_not1_saveexec_b32 s29, s29
; %bb.16898:                            ;   in Loop: Header=BB6_16763 Depth=2
	v_bfe_i32 v0, v11, 0, 8
	s_delay_alu instid0(VALU_DEP_1) | instskip(SKIP_2) | instid1(VALU_DEP_2)
	v_cmp_lt_i16_e32 vcc_lo, -1, v0
	v_cndmask_b32_e32 v0, 0xff800000, v29, vcc_lo
	v_cmp_eq_u32_e32 vcc_lo, 0, v1
	v_cndmask_b32_e32 v0, 0x7f800001, v0, vcc_lo
; %bb.16899:                            ;   in Loop: Header=BB6_16763 Depth=2
	s_or_b32 exec_lo, exec_lo, s29
.LBB6_16900:                            ;   in Loop: Header=BB6_16763 Depth=2
	s_delay_alu instid0(SALU_CYCLE_1)
	s_or_b32 exec_lo, exec_lo, s28
.LBB6_16901:                            ;   in Loop: Header=BB6_16763 Depth=2
	s_delay_alu instid0(SALU_CYCLE_1) | instskip(NEXT) | instid1(VALU_DEP_1)
	s_or_b32 exec_lo, exec_lo, s10
	v_dual_mul_f32 v2, s27, v0 :: v_dual_mov_b32 v7, v55
	v_mov_b32_e32 v1, v55
                                        ; implicit-def: $vgpr5
                                        ; kill: killed $vgpr5
	s_mov_b32 s10, exec_lo
	s_delay_alu instid0(VALU_DEP_2) | instskip(SKIP_2) | instid1(VALU_DEP_3)
	v_and_b32_e32 v6, 0x7f800000, v2
	v_and_b32_e32 v0, 0x7fffff, v2
	v_lshrrev_b32_e32 v3, 24, v2
	v_cmpx_ne_u64_e32 0x7f800000, v[6:7]
	s_xor_b32 s28, exec_lo, s10
	s_cbranch_execz .LBB6_16915
; %bb.16902:                            ;   in Loop: Header=BB6_16763 Depth=2
	v_and_b32_e32 v6, 0x7fffffff, v2
	v_mov_b32_e32 v7, v55
	v_and_b32_e32 v5, 0x80, v3
                                        ; implicit-def: $vgpr3
                                        ; kill: killed $vgpr3
	s_mov_b32 s10, exec_lo
	s_delay_alu instid0(VALU_DEP_2)
	v_cmpx_gt_u64_e32 0x47600001, v[6:7]
	s_xor_b32 s29, exec_lo, s10
	s_cbranch_execz .LBB6_16912
; %bb.16903:                            ;   in Loop: Header=BB6_16763 Depth=2
	v_mov_b32_e32 v3, 0
	s_mov_b32 s40, exec_lo
	scratch_store_b32 off, v3, s33 offset:260 ; 4-byte Folded Spill
	s_wait_xcnt 0x0
	v_cmpx_ne_u32_e32 0, v2
	s_cbranch_execz .LBB6_16911
; %bb.16904:                            ;   in Loop: Header=BB6_16763 Depth=2
	v_bfe_u32 v6, v2, 23, 8
	v_or_b32_e32 v8, 0x800000, v0
	s_delay_alu instid0(VALU_DEP_2) | instskip(SKIP_1) | instid1(VALU_DEP_2)
	v_sub_nc_u32_e32 v2, 0x71, v6
	v_cmp_gt_u32_e32 vcc_lo, 0x72, v6
	v_cndmask_b32_e32 v2, 0, v2, vcc_lo
	v_cmp_eq_u32_e32 vcc_lo, 0, v6
	s_delay_alu instid0(VALU_DEP_2) | instskip(NEXT) | instid1(VALU_DEP_1)
	v_cndmask_b32_e64 v7, v2, 0x70, vcc_lo
	v_dual_cndmask_b32 v0, v8, v0, vcc_lo :: v_dual_add_nc_u32 v2, 21, v7
	v_add_nc_u32_e32 v9, 20, v7
	s_delay_alu instid0(VALU_DEP_2) | instskip(NEXT) | instid1(VALU_DEP_2)
	v_lshlrev_b64_e64 v[2:3], v2, -1
	v_lshlrev_b64_e64 v[8:9], v9, 1
	s_delay_alu instid0(VALU_DEP_2) | instskip(SKIP_1) | instid1(VALU_DEP_4)
	v_bfi_b32 v2, v2, 0, v0
	v_lshrrev_b64 v[0:1], v7, v[0:1]
	v_bfi_b32 v3, v3, 0, 0
	s_delay_alu instid0(VALU_DEP_1) | instskip(NEXT) | instid1(VALU_DEP_3)
	v_cmp_eq_u64_e64 s10, v[2:3], v[8:9]
	v_mov_b64_e32 v[2:3], v[0:1]
	s_and_saveexec_b32 s41, s10
; %bb.16905:                            ;   in Loop: Header=BB6_16763 Depth=2
	v_bfe_u32 v2, v0, 21, 1
	v_mov_b32_e32 v3, v55
	s_delay_alu instid0(VALU_DEP_1) | instskip(NEXT) | instid1(VALU_DEP_1)
	v_add_nc_u64_e32 v[2:3], v[0:1], v[2:3]
	v_add_nc_u64_e32 v[2:3], -1, v[2:3]
; %bb.16906:                            ;   in Loop: Header=BB6_16763 Depth=2
	s_or_b32 exec_lo, exec_lo, s41
	v_add_nc_u32_e32 v1, 0xffffff81, v6
	v_lshrrev_b32_e32 v3, 23, v0
	s_mov_b32 s10, exec_lo
	s_delay_alu instid0(VALU_DEP_2) | instskip(NEXT) | instid1(VALU_DEP_1)
	v_cndmask_b32_e64 v1, v1, 0xffffff82, vcc_lo
	v_add3_u32 v3, v7, v1, v3
	v_and_b32_e32 v1, 0x1fffff, v2
                                        ; implicit-def: $vgpr2
	s_delay_alu instid0(VALU_DEP_1) | instskip(SKIP_1) | instid1(VALU_DEP_2)
	v_dual_add_nc_u32 v6, 14, v3 :: v_dual_add_nc_u32 v0, v1, v0
	v_mov_b32_e32 v1, v55
	v_cmpx_ne_u32_e32 0, v6
	s_xor_b32 s10, exec_lo, s10
; %bb.16907:                            ;   in Loop: Header=BB6_16763 Depth=2
	s_delay_alu instid0(VALU_DEP_2) | instskip(SKIP_2) | instid1(VALU_DEP_2)
	v_cmp_lt_u64_e32 vcc_lo, 0xffffff, v[0:1]
	v_add_nc_u32_e32 v2, 15, v3
	v_cndmask_b32_e64 v3, 0, 1, vcc_lo
	v_cndmask_b32_e32 v2, v6, v2, vcc_lo
	s_delay_alu instid0(VALU_DEP_2)
	v_lshrrev_b64 v[0:1], v3, v[0:1]
; %bb.16908:                            ;   in Loop: Header=BB6_16763 Depth=2
	s_and_not1_saveexec_b32 s10, s10
; %bb.16909:                            ;   in Loop: Header=BB6_16763 Depth=2
	s_delay_alu instid0(VALU_DEP_1)
	v_bfe_u32 v2, v0, 23, 1
; %bb.16910:                            ;   in Loop: Header=BB6_16763 Depth=2
	s_or_b32 exec_lo, exec_lo, s10
	s_delay_alu instid0(VALU_DEP_2) | instskip(NEXT) | instid1(VALU_DEP_2)
	v_lshrrev_b64 v[0:1], 21, v[0:1]
	v_cmp_gt_i32_e32 vcc_lo, 32, v2
	v_min_i32_e32 v3, 31, v2
	v_cmp_eq_u32_e64 s10, 0, v2
	s_delay_alu instid0(VALU_DEP_2) | instskip(SKIP_1) | instid1(VALU_DEP_2)
	v_dual_cndmask_b32 v1, 0, v1, vcc_lo :: v_dual_lshlrev_b32 v3, 2, v3
	v_cndmask_b32_e32 v0, 3, v0, vcc_lo
	v_and_b32_e32 v3, 0xfc, v3
	s_delay_alu instid0(VALU_DEP_2) | instskip(NEXT) | instid1(VALU_DEP_2)
	v_cmp_eq_u64_e32 vcc_lo, 0, v[0:1]
	v_and_or_b32 v0, v0, 3, v3
	s_and_b32 s10, s10, vcc_lo
	s_delay_alu instid0(VALU_DEP_1) | instid1(SALU_CYCLE_1)
	v_cndmask_b32_e64 v0, v0, 0, s10
	s_delay_alu instid0(VALU_DEP_1)
	v_or_b32_e32 v0, v0, v5
	scratch_store_b32 off, v0, s33 offset:260 ; 4-byte Folded Spill
.LBB6_16911:                            ;   in Loop: Header=BB6_16763 Depth=2
	s_wait_xcnt 0x0
	s_or_b32 exec_lo, exec_lo, s40
                                        ; implicit-def: $vgpr5
.LBB6_16912:                            ;   in Loop: Header=BB6_16763 Depth=2
	s_and_not1_saveexec_b32 s10, s29
	s_cbranch_execz .LBB6_16914
; %bb.16913:                            ;   in Loop: Header=BB6_16763 Depth=2
	v_or_b32_e32 v0, 0x7b, v5
	scratch_store_b32 off, v0, s33 offset:260 ; 4-byte Folded Spill
.LBB6_16914:                            ;   in Loop: Header=BB6_16763 Depth=2
	s_wait_xcnt 0x0
	s_or_b32 exec_lo, exec_lo, s10
                                        ; implicit-def: $vgpr2
                                        ; implicit-def: $vgpr0_vgpr1
                                        ; implicit-def: $vgpr3
.LBB6_16915:                            ;   in Loop: Header=BB6_16763 Depth=2
	s_and_not1_saveexec_b32 s10, s28
	s_cbranch_execz .LBB6_16921
; %bb.16916:                            ;   in Loop: Header=BB6_16763 Depth=2
	v_cmp_ne_u64_e32 vcc_lo, 0, v[0:1]
                                        ; implicit-def: $vgpr0
                                        ; kill: killed $vgpr0
	s_and_saveexec_b32 s28, vcc_lo
	s_delay_alu instid0(SALU_CYCLE_1)
	s_xor_b32 s28, exec_lo, s28
	s_cbranch_execz .LBB6_16918
; %bb.16917:                            ;   in Loop: Header=BB6_16763 Depth=2
	v_or_b32_e32 v0, 0x7f, v3
                                        ; implicit-def: $vgpr2
	scratch_store_b32 off, v0, s33 offset:260 ; 4-byte Folded Spill
.LBB6_16918:                            ;   in Loop: Header=BB6_16763 Depth=2
	s_wait_xcnt 0x0
	s_and_not1_saveexec_b32 s28, s28
	s_cbranch_execz .LBB6_16920
; %bb.16919:                            ;   in Loop: Header=BB6_16763 Depth=2
	v_cmp_lt_i32_e32 vcc_lo, -1, v2
	v_cndmask_b32_e32 v0, 0xfc, v30, vcc_lo
	scratch_store_b32 off, v0, s33 offset:260 ; 4-byte Folded Spill
.LBB6_16920:                            ;   in Loop: Header=BB6_16763 Depth=2
	s_wait_xcnt 0x0
	s_or_b32 exec_lo, exec_lo, s28
.LBB6_16921:                            ;   in Loop: Header=BB6_16763 Depth=2
	s_delay_alu instid0(SALU_CYCLE_1) | instskip(SKIP_3) | instid1(VALU_DEP_2)
	s_or_b32 exec_lo, exec_lo, s10
	v_lshrrev_b16 v0, 8, v54
	v_mov_b32_e32 v2, 0
	s_mov_b32 s10, exec_lo
	v_cmpx_ne_u16_e32 0, v0
	s_cbranch_execz .LBB6_16931
; %bb.16922:                            ;   in Loop: Header=BB6_16763 Depth=2
	v_bfrev_b32_e32 v2, 1
	s_mov_b32 s28, exec_lo
	v_cmpx_ne_u16_e32 0x80, v0
	s_cbranch_execz .LBB6_16930
; %bb.16923:                            ;   in Loop: Header=BB6_16763 Depth=2
	v_and_b32_e32 v3, 0xffff, v0
	s_delay_alu instid0(VALU_DEP_1) | instskip(SKIP_1) | instid1(VALU_DEP_2)
	v_and_b32_e32 v2, 0x7c, v3
	v_and_b32_e32 v1, 3, v3
	v_cmp_ne_u32_e32 vcc_lo, 0x7c, v2
                                        ; implicit-def: $vgpr2
	s_and_saveexec_b32 s29, vcc_lo
	s_delay_alu instid0(SALU_CYCLE_1)
	s_xor_b32 s29, exec_lo, s29
	s_cbranch_execz .LBB6_16927
; %bb.16924:                            ;   in Loop: Header=BB6_16763 Depth=2
	v_bfe_u32 v2, v3, 2, 5
	s_mov_b32 s40, exec_lo
	s_delay_alu instid0(VALU_DEP_1)
	v_cmpx_eq_u32_e32 0, v2
	s_cbranch_execz .LBB6_16926
; %bb.16925:                            ;   in Loop: Header=BB6_16763 Depth=2
	v_clz_i32_u32_e32 v1, v1
	s_delay_alu instid0(VALU_DEP_1) | instskip(SKIP_1) | instid1(VALU_DEP_2)
	v_min_u32_e32 v2, 32, v1
	v_mov_b32_e32 v1, v55
	v_subrev_nc_u32_e32 v3, 29, v2
	v_sub_nc_u32_e32 v2, 30, v2
	s_delay_alu instid0(VALU_DEP_2) | instskip(NEXT) | instid1(VALU_DEP_1)
	v_lshlrev_b64_e32 v[0:1], v3, v[0:1]
	v_and_b32_e32 v1, 3, v0
.LBB6_16926:                            ;   in Loop: Header=BB6_16763 Depth=2
	s_or_b32 exec_lo, exec_lo, s40
	v_lshlrev_b32_e32 v0, 16, v54
	s_delay_alu instid0(VALU_DEP_1) | instskip(NEXT) | instid1(VALU_DEP_1)
	v_and_b32_e32 v0, 0x80000000, v0
	v_lshl_add_u32 v0, v2, 23, v0
	s_delay_alu instid0(VALU_DEP_1) | instskip(NEXT) | instid1(VALU_DEP_1)
	v_lshl_or_b32 v0, v1, 21, v0
                                        ; implicit-def: $vgpr1
	v_add_nc_u32_e32 v2, 0x38000000, v0
.LBB6_16927:                            ;   in Loop: Header=BB6_16763 Depth=2
	s_and_not1_saveexec_b32 s29, s29
; %bb.16928:                            ;   in Loop: Header=BB6_16763 Depth=2
	v_cmp_lt_i16_e32 vcc_lo, -1, v54
	v_cndmask_b32_e32 v0, 0xff800000, v29, vcc_lo
	v_cmp_eq_u32_e32 vcc_lo, 0, v1
	s_delay_alu instid0(VALU_DEP_2)
	v_cndmask_b32_e32 v2, 0x7f800001, v0, vcc_lo
; %bb.16929:                            ;   in Loop: Header=BB6_16763 Depth=2
	s_or_b32 exec_lo, exec_lo, s29
.LBB6_16930:                            ;   in Loop: Header=BB6_16763 Depth=2
	s_delay_alu instid0(SALU_CYCLE_1)
	s_or_b32 exec_lo, exec_lo, s28
.LBB6_16931:                            ;   in Loop: Header=BB6_16763 Depth=2
	s_delay_alu instid0(SALU_CYCLE_1) | instskip(NEXT) | instid1(VALU_DEP_1)
	s_or_b32 exec_lo, exec_lo, s10
	v_dual_mul_f32 v0, s27, v2 :: v_dual_mov_b32 v3, v55
	s_delay_alu instid0(VALU_DEP_1) | instskip(SKIP_2) | instid1(VALU_DEP_3)
	v_and_b32_e32 v2, 0x7f800000, v0
	v_and_b32_e32 v54, 0x7fffff, v0
	v_lshrrev_b32_e32 v1, 24, v0
	v_cmp_ne_u64_e32 vcc_lo, 0x7f800000, v[2:3]
                                        ; implicit-def: $vgpr2
                                        ; kill: killed $vgpr2
	s_and_saveexec_b32 s10, vcc_lo
	s_delay_alu instid0(SALU_CYCLE_1)
	s_xor_b32 s28, exec_lo, s10
	s_cbranch_execz .LBB6_16945
; %bb.16932:                            ;   in Loop: Header=BB6_16763 Depth=2
	v_and_b32_e32 v2, 0x7fffffff, v0
	v_mov_b32_e32 v3, v55
	v_and_b32_e32 v5, 0x80, v1
                                        ; implicit-def: $vgpr1
                                        ; kill: killed $vgpr1
	s_mov_b32 s10, exec_lo
	s_delay_alu instid0(VALU_DEP_2)
	v_cmpx_gt_u64_e32 0x47600001, v[2:3]
	s_xor_b32 s29, exec_lo, s10
	s_cbranch_execz .LBB6_16942
; %bb.16933:                            ;   in Loop: Header=BB6_16763 Depth=2
	v_mov_b32_e32 v1, 0
	s_mov_b32 s40, exec_lo
	scratch_store_b32 off, v1, s33 offset:268 ; 4-byte Folded Spill
	s_wait_xcnt 0x0
	v_cmpx_ne_u32_e32 0, v0
	s_cbranch_execz .LBB6_16941
; %bb.16934:                            ;   in Loop: Header=BB6_16763 Depth=2
	v_bfe_u32 v6, v0, 23, 8
	v_or_b32_e32 v2, 0x800000, v54
	s_mov_b32 s41, exec_lo
	s_delay_alu instid0(VALU_DEP_2) | instskip(SKIP_1) | instid1(VALU_DEP_2)
	v_dual_mov_b32 v3, v55 :: v_dual_sub_nc_u32 v0, 0x71, v6
	v_cmp_gt_u32_e32 vcc_lo, 0x72, v6
	v_cndmask_b32_e32 v0, 0, v0, vcc_lo
	v_cmp_eq_u32_e32 vcc_lo, 0, v6
	s_delay_alu instid0(VALU_DEP_2) | instskip(NEXT) | instid1(VALU_DEP_1)
	v_cndmask_b32_e64 v7, v0, 0x70, vcc_lo
	v_dual_cndmask_b32 v2, v2, v54, vcc_lo :: v_dual_add_nc_u32 v0, 21, v7
	v_add_nc_u32_e32 v8, 20, v7
	s_delay_alu instid0(VALU_DEP_2) | instskip(NEXT) | instid1(VALU_DEP_2)
	v_lshlrev_b64_e64 v[0:1], v0, -1
	v_lshlrev_b64_e64 v[8:9], v8, 1
	s_delay_alu instid0(VALU_DEP_2) | instskip(NEXT) | instid1(VALU_DEP_3)
	v_bfi_b32 v17, v1, 0, 0
	v_bfi_b32 v16, v0, 0, v2
	v_lshrrev_b64 v[0:1], v7, v[2:3]
	s_delay_alu instid0(VALU_DEP_1) | instskip(NEXT) | instid1(VALU_DEP_3)
	v_mov_b64_e32 v[2:3], v[0:1]
	v_cmpx_eq_u64_e64 v[16:17], v[8:9]
; %bb.16935:                            ;   in Loop: Header=BB6_16763 Depth=2
	v_bfe_u32 v2, v0, 21, 1
	v_mov_b32_e32 v3, v55
	s_delay_alu instid0(VALU_DEP_1) | instskip(NEXT) | instid1(VALU_DEP_1)
	v_add_nc_u64_e32 v[2:3], v[0:1], v[2:3]
	v_add_nc_u64_e32 v[2:3], -1, v[2:3]
; %bb.16936:                            ;   in Loop: Header=BB6_16763 Depth=2
	s_or_b32 exec_lo, exec_lo, s41
	v_add_nc_u32_e32 v1, 0xffffff81, v6
	v_lshrrev_b32_e32 v3, 23, v0
	s_mov_b32 s10, exec_lo
	s_delay_alu instid0(VALU_DEP_2) | instskip(NEXT) | instid1(VALU_DEP_1)
	v_cndmask_b32_e64 v1, v1, 0xffffff82, vcc_lo
	v_add3_u32 v3, v7, v1, v3
	v_and_b32_e32 v1, 0x1fffff, v2
                                        ; implicit-def: $vgpr2
	s_delay_alu instid0(VALU_DEP_1) | instskip(NEXT) | instid1(VALU_DEP_1)
	v_dual_add_nc_u32 v6, 14, v3 :: v_dual_add_nc_u32 v54, v1, v0
                                        ; implicit-def: $vgpr0_vgpr1
	v_cmpx_ne_u32_e32 0, v6
	s_xor_b32 s10, exec_lo, s10
; %bb.16937:                            ;   in Loop: Header=BB6_16763 Depth=2
	s_delay_alu instid0(VALU_DEP_2) | instskip(SKIP_1) | instid1(VALU_DEP_1)
	v_cmp_lt_u64_e32 vcc_lo, 0xffffff, v[54:55]
	v_add_nc_u32_e32 v0, 15, v3
	v_cndmask_b32_e32 v2, v6, v0, vcc_lo
	v_cndmask_b32_e64 v0, 0, 1, vcc_lo
	s_delay_alu instid0(VALU_DEP_1)
	v_lshrrev_b64 v[0:1], v0, v[54:55]
; %bb.16938:                            ;   in Loop: Header=BB6_16763 Depth=2
	s_and_not1_saveexec_b32 s10, s10
; %bb.16939:                            ;   in Loop: Header=BB6_16763 Depth=2
	v_mov_b64_e32 v[0:1], v[54:55]
	v_bfe_u32 v2, v54, 23, 1
; %bb.16940:                            ;   in Loop: Header=BB6_16763 Depth=2
	s_or_b32 exec_lo, exec_lo, s10
	s_delay_alu instid0(VALU_DEP_2) | instskip(NEXT) | instid1(VALU_DEP_2)
	v_lshrrev_b64 v[0:1], 21, v[0:1]
	v_cmp_gt_i32_e32 vcc_lo, 32, v2
	v_min_i32_e32 v3, 31, v2
	v_cmp_eq_u32_e64 s10, 0, v2
	s_delay_alu instid0(VALU_DEP_2) | instskip(SKIP_1) | instid1(VALU_DEP_2)
	v_dual_cndmask_b32 v1, 0, v1, vcc_lo :: v_dual_lshlrev_b32 v3, 2, v3
	v_cndmask_b32_e32 v0, 3, v0, vcc_lo
	v_and_b32_e32 v3, 0xfc, v3
	s_delay_alu instid0(VALU_DEP_2) | instskip(NEXT) | instid1(VALU_DEP_2)
	v_cmp_eq_u64_e32 vcc_lo, 0, v[0:1]
	v_and_or_b32 v0, v0, 3, v3
	s_and_b32 s10, s10, vcc_lo
	s_delay_alu instid0(VALU_DEP_1) | instid1(SALU_CYCLE_1)
	v_cndmask_b32_e64 v0, v0, 0, s10
	s_delay_alu instid0(VALU_DEP_1)
	v_or_b32_e32 v0, v0, v5
	scratch_store_b32 off, v0, s33 offset:268 ; 4-byte Folded Spill
.LBB6_16941:                            ;   in Loop: Header=BB6_16763 Depth=2
	s_wait_xcnt 0x0
	s_or_b32 exec_lo, exec_lo, s40
                                        ; implicit-def: $vgpr5
.LBB6_16942:                            ;   in Loop: Header=BB6_16763 Depth=2
	s_and_not1_saveexec_b32 s10, s29
	s_cbranch_execz .LBB6_16944
; %bb.16943:                            ;   in Loop: Header=BB6_16763 Depth=2
	v_or_b32_e32 v0, 0x7b, v5
	scratch_store_b32 off, v0, s33 offset:268 ; 4-byte Folded Spill
.LBB6_16944:                            ;   in Loop: Header=BB6_16763 Depth=2
	s_wait_xcnt 0x0
	s_or_b32 exec_lo, exec_lo, s10
                                        ; implicit-def: $vgpr0
                                        ; implicit-def: $vgpr1
.LBB6_16945:                            ;   in Loop: Header=BB6_16763 Depth=2
	s_and_not1_saveexec_b32 s10, s28
	s_cbranch_execz .LBB6_16951
; %bb.16946:                            ;   in Loop: Header=BB6_16763 Depth=2
	s_mov_b32 s28, exec_lo
                                        ; implicit-def: $vgpr2
                                        ; kill: killed $vgpr2
	v_cmpx_ne_u64_e32 0, v[54:55]
	s_xor_b32 s28, exec_lo, s28
	s_cbranch_execz .LBB6_16948
; %bb.16947:                            ;   in Loop: Header=BB6_16763 Depth=2
	v_or_b32_e32 v0, 0x7f, v1
	scratch_store_b32 off, v0, s33 offset:268 ; 4-byte Folded Spill
                                        ; implicit-def: $vgpr0
.LBB6_16948:                            ;   in Loop: Header=BB6_16763 Depth=2
	s_wait_xcnt 0x0
	s_and_not1_saveexec_b32 s28, s28
	s_cbranch_execz .LBB6_16950
; %bb.16949:                            ;   in Loop: Header=BB6_16763 Depth=2
	v_cmp_lt_i32_e32 vcc_lo, -1, v0
	v_cndmask_b32_e32 v0, 0xfc, v30, vcc_lo
	scratch_store_b32 off, v0, s33 offset:268 ; 4-byte Folded Spill
.LBB6_16950:                            ;   in Loop: Header=BB6_16763 Depth=2
	s_wait_xcnt 0x0
	s_or_b32 exec_lo, exec_lo, s28
.LBB6_16951:                            ;   in Loop: Header=BB6_16763 Depth=2
	s_delay_alu instid0(SALU_CYCLE_1) | instskip(SKIP_2) | instid1(VALU_DEP_1)
	s_or_b32 exec_lo, exec_lo, s10
	v_dual_mov_b32 v1, 0 :: v_dual_lshrrev_b32 v0, 16, v11
	s_mov_b32 s10, exec_lo
	v_and_b32_e32 v2, 0xff, v0
	s_delay_alu instid0(VALU_DEP_1)
	v_cmpx_ne_u16_e32 0, v2
	s_cbranch_execz .LBB6_16961
; %bb.16952:                            ;   in Loop: Header=BB6_16763 Depth=2
	v_bfrev_b32_e32 v1, 1
	s_mov_b32 s28, exec_lo
	v_cmpx_ne_u16_e32 0x80, v2
	s_cbranch_execz .LBB6_16960
; %bb.16953:                            ;   in Loop: Header=BB6_16763 Depth=2
	v_and_b32_e32 v1, 0x7c0000, v11
	v_bfe_u32 v2, v11, 16, 2
	s_delay_alu instid0(VALU_DEP_2) | instskip(SKIP_1) | instid1(SALU_CYCLE_1)
	v_cmp_ne_u32_e32 vcc_lo, 0x7c0000, v1
                                        ; implicit-def: $vgpr1
	s_and_saveexec_b32 s29, vcc_lo
	s_xor_b32 s29, exec_lo, s29
	s_cbranch_execz .LBB6_16957
; %bb.16954:                            ;   in Loop: Header=BB6_16763 Depth=2
	v_bfe_u32 v1, v11, 18, 5
	s_mov_b32 s40, exec_lo
	s_delay_alu instid0(VALU_DEP_1)
	v_cmpx_eq_u32_e32 0, v1
; %bb.16955:                            ;   in Loop: Header=BB6_16763 Depth=2
	v_clz_i32_u32_e32 v1, v2
	s_delay_alu instid0(VALU_DEP_1) | instskip(NEXT) | instid1(VALU_DEP_1)
	v_min_u32_e32 v1, 32, v1
	v_subrev_nc_u32_e32 v2, 29, v1
	s_delay_alu instid0(VALU_DEP_1) | instskip(NEXT) | instid1(VALU_DEP_1)
	v_lshlrev_b64_e32 v[2:3], v2, v[0:1]
	v_dual_sub_nc_u32 v1, 30, v1 :: v_dual_bitop2_b32 v2, 3, v2 bitop3:0x40
; %bb.16956:                            ;   in Loop: Header=BB6_16763 Depth=2
	s_or_b32 exec_lo, exec_lo, s40
	v_lshlrev_b32_e32 v0, 24, v0
	s_delay_alu instid0(VALU_DEP_1) | instskip(NEXT) | instid1(VALU_DEP_1)
	v_and_b32_e32 v0, 0x80000000, v0
	v_lshl_add_u32 v0, v1, 23, v0
	s_delay_alu instid0(VALU_DEP_1) | instskip(NEXT) | instid1(VALU_DEP_1)
	v_lshl_or_b32 v0, v2, 21, v0
                                        ; implicit-def: $vgpr2
	v_add_nc_u32_e32 v1, 0x38000000, v0
                                        ; implicit-def: $vgpr0
.LBB6_16957:                            ;   in Loop: Header=BB6_16763 Depth=2
	s_and_not1_saveexec_b32 s29, s29
; %bb.16958:                            ;   in Loop: Header=BB6_16763 Depth=2
	v_bfe_i32 v0, v0, 0, 8
	s_delay_alu instid0(VALU_DEP_1) | instskip(SKIP_2) | instid1(VALU_DEP_2)
	v_cmp_lt_i16_e32 vcc_lo, -1, v0
	v_cndmask_b32_e32 v0, 0xff800000, v29, vcc_lo
	v_cmp_eq_u32_e32 vcc_lo, 0, v2
	v_cndmask_b32_e32 v1, 0x7f800001, v0, vcc_lo
; %bb.16959:                            ;   in Loop: Header=BB6_16763 Depth=2
	s_or_b32 exec_lo, exec_lo, s29
.LBB6_16960:                            ;   in Loop: Header=BB6_16763 Depth=2
	s_delay_alu instid0(SALU_CYCLE_1)
	s_or_b32 exec_lo, exec_lo, s28
.LBB6_16961:                            ;   in Loop: Header=BB6_16763 Depth=2
	s_delay_alu instid0(SALU_CYCLE_1) | instskip(NEXT) | instid1(VALU_DEP_1)
	s_or_b32 exec_lo, exec_lo, s10
	v_dual_mul_f32 v0, s27, v1 :: v_dual_mov_b32 v3, v55
	s_delay_alu instid0(VALU_DEP_1) | instskip(SKIP_2) | instid1(VALU_DEP_3)
	v_and_b32_e32 v2, 0x7f800000, v0
	v_and_b32_e32 v54, 0x7fffff, v0
	v_lshrrev_b32_e32 v1, 24, v0
	v_cmp_ne_u64_e32 vcc_lo, 0x7f800000, v[2:3]
                                        ; implicit-def: $vgpr2
                                        ; kill: killed $vgpr2
	s_and_saveexec_b32 s10, vcc_lo
	s_delay_alu instid0(SALU_CYCLE_1)
	s_xor_b32 s28, exec_lo, s10
	s_cbranch_execz .LBB6_16975
; %bb.16962:                            ;   in Loop: Header=BB6_16763 Depth=2
	v_and_b32_e32 v2, 0x7fffffff, v0
	v_mov_b32_e32 v3, v55
	v_and_b32_e32 v5, 0x80, v1
                                        ; implicit-def: $vgpr1
                                        ; kill: killed $vgpr1
	s_mov_b32 s10, exec_lo
	s_delay_alu instid0(VALU_DEP_2)
	v_cmpx_gt_u64_e32 0x47600001, v[2:3]
	s_xor_b32 s29, exec_lo, s10
	s_cbranch_execz .LBB6_16972
; %bb.16963:                            ;   in Loop: Header=BB6_16763 Depth=2
	v_mov_b32_e32 v1, 0
	s_mov_b32 s40, exec_lo
	scratch_store_b32 off, v1, s33 offset:276 ; 4-byte Folded Spill
	s_wait_xcnt 0x0
	v_cmpx_ne_u32_e32 0, v0
	s_cbranch_execz .LBB6_16971
; %bb.16964:                            ;   in Loop: Header=BB6_16763 Depth=2
	v_bfe_u32 v6, v0, 23, 8
	v_or_b32_e32 v2, 0x800000, v54
	s_mov_b32 s41, exec_lo
	s_delay_alu instid0(VALU_DEP_2) | instskip(SKIP_1) | instid1(VALU_DEP_2)
	v_dual_mov_b32 v3, v55 :: v_dual_sub_nc_u32 v0, 0x71, v6
	v_cmp_gt_u32_e32 vcc_lo, 0x72, v6
	v_cndmask_b32_e32 v0, 0, v0, vcc_lo
	v_cmp_eq_u32_e32 vcc_lo, 0, v6
	s_delay_alu instid0(VALU_DEP_2) | instskip(NEXT) | instid1(VALU_DEP_1)
	v_cndmask_b32_e64 v7, v0, 0x70, vcc_lo
	v_dual_cndmask_b32 v2, v2, v54, vcc_lo :: v_dual_add_nc_u32 v0, 21, v7
	v_add_nc_u32_e32 v8, 20, v7
	s_delay_alu instid0(VALU_DEP_2) | instskip(NEXT) | instid1(VALU_DEP_2)
	v_lshlrev_b64_e64 v[0:1], v0, -1
	v_lshlrev_b64_e64 v[8:9], v8, 1
	s_delay_alu instid0(VALU_DEP_2) | instskip(NEXT) | instid1(VALU_DEP_3)
	v_bfi_b32 v17, v1, 0, 0
	v_bfi_b32 v16, v0, 0, v2
	v_lshrrev_b64 v[0:1], v7, v[2:3]
	s_delay_alu instid0(VALU_DEP_1) | instskip(NEXT) | instid1(VALU_DEP_3)
	v_mov_b64_e32 v[2:3], v[0:1]
	v_cmpx_eq_u64_e64 v[16:17], v[8:9]
; %bb.16965:                            ;   in Loop: Header=BB6_16763 Depth=2
	v_bfe_u32 v2, v0, 21, 1
	v_mov_b32_e32 v3, v55
	s_delay_alu instid0(VALU_DEP_1) | instskip(NEXT) | instid1(VALU_DEP_1)
	v_add_nc_u64_e32 v[2:3], v[0:1], v[2:3]
	v_add_nc_u64_e32 v[2:3], -1, v[2:3]
; %bb.16966:                            ;   in Loop: Header=BB6_16763 Depth=2
	s_or_b32 exec_lo, exec_lo, s41
	v_add_nc_u32_e32 v1, 0xffffff81, v6
	v_lshrrev_b32_e32 v3, 23, v0
	s_mov_b32 s10, exec_lo
	s_delay_alu instid0(VALU_DEP_2) | instskip(NEXT) | instid1(VALU_DEP_1)
	v_cndmask_b32_e64 v1, v1, 0xffffff82, vcc_lo
	v_add3_u32 v3, v7, v1, v3
	v_and_b32_e32 v1, 0x1fffff, v2
                                        ; implicit-def: $vgpr2
	s_delay_alu instid0(VALU_DEP_1) | instskip(NEXT) | instid1(VALU_DEP_1)
	v_dual_add_nc_u32 v6, 14, v3 :: v_dual_add_nc_u32 v54, v1, v0
                                        ; implicit-def: $vgpr0_vgpr1
	v_cmpx_ne_u32_e32 0, v6
	s_xor_b32 s10, exec_lo, s10
; %bb.16967:                            ;   in Loop: Header=BB6_16763 Depth=2
	s_delay_alu instid0(VALU_DEP_2) | instskip(SKIP_1) | instid1(VALU_DEP_1)
	v_cmp_lt_u64_e32 vcc_lo, 0xffffff, v[54:55]
	v_add_nc_u32_e32 v0, 15, v3
	v_cndmask_b32_e32 v2, v6, v0, vcc_lo
	v_cndmask_b32_e64 v0, 0, 1, vcc_lo
	s_delay_alu instid0(VALU_DEP_1)
	v_lshrrev_b64 v[0:1], v0, v[54:55]
; %bb.16968:                            ;   in Loop: Header=BB6_16763 Depth=2
	s_and_not1_saveexec_b32 s10, s10
; %bb.16969:                            ;   in Loop: Header=BB6_16763 Depth=2
	v_mov_b64_e32 v[0:1], v[54:55]
	v_bfe_u32 v2, v54, 23, 1
; %bb.16970:                            ;   in Loop: Header=BB6_16763 Depth=2
	s_or_b32 exec_lo, exec_lo, s10
	s_delay_alu instid0(VALU_DEP_2) | instskip(NEXT) | instid1(VALU_DEP_2)
	v_lshrrev_b64 v[0:1], 21, v[0:1]
	v_cmp_gt_i32_e32 vcc_lo, 32, v2
	v_min_i32_e32 v3, 31, v2
	v_cmp_eq_u32_e64 s10, 0, v2
	s_delay_alu instid0(VALU_DEP_2) | instskip(SKIP_1) | instid1(VALU_DEP_2)
	v_dual_cndmask_b32 v1, 0, v1, vcc_lo :: v_dual_lshlrev_b32 v3, 2, v3
	v_cndmask_b32_e32 v0, 3, v0, vcc_lo
	v_and_b32_e32 v3, 0xfc, v3
	s_delay_alu instid0(VALU_DEP_2) | instskip(NEXT) | instid1(VALU_DEP_2)
	v_cmp_eq_u64_e32 vcc_lo, 0, v[0:1]
	v_and_or_b32 v0, v0, 3, v3
	s_and_b32 s10, s10, vcc_lo
	s_delay_alu instid0(VALU_DEP_1) | instid1(SALU_CYCLE_1)
	v_cndmask_b32_e64 v0, v0, 0, s10
	s_delay_alu instid0(VALU_DEP_1)
	v_or_b32_e32 v0, v0, v5
	scratch_store_b32 off, v0, s33 offset:276 ; 4-byte Folded Spill
.LBB6_16971:                            ;   in Loop: Header=BB6_16763 Depth=2
	s_wait_xcnt 0x0
	s_or_b32 exec_lo, exec_lo, s40
                                        ; implicit-def: $vgpr5
.LBB6_16972:                            ;   in Loop: Header=BB6_16763 Depth=2
	s_and_not1_saveexec_b32 s10, s29
	s_cbranch_execz .LBB6_16974
; %bb.16973:                            ;   in Loop: Header=BB6_16763 Depth=2
	v_or_b32_e32 v0, 0x7b, v5
	scratch_store_b32 off, v0, s33 offset:276 ; 4-byte Folded Spill
.LBB6_16974:                            ;   in Loop: Header=BB6_16763 Depth=2
	s_wait_xcnt 0x0
	s_or_b32 exec_lo, exec_lo, s10
                                        ; implicit-def: $vgpr0
                                        ; implicit-def: $vgpr1
.LBB6_16975:                            ;   in Loop: Header=BB6_16763 Depth=2
	s_and_not1_saveexec_b32 s10, s28
	s_cbranch_execz .LBB6_16981
; %bb.16976:                            ;   in Loop: Header=BB6_16763 Depth=2
	s_mov_b32 s28, exec_lo
                                        ; implicit-def: $vgpr2
                                        ; kill: killed $vgpr2
	v_cmpx_ne_u64_e32 0, v[54:55]
	s_xor_b32 s28, exec_lo, s28
	s_cbranch_execz .LBB6_16978
; %bb.16977:                            ;   in Loop: Header=BB6_16763 Depth=2
	v_or_b32_e32 v0, 0x7f, v1
	scratch_store_b32 off, v0, s33 offset:276 ; 4-byte Folded Spill
                                        ; implicit-def: $vgpr0
.LBB6_16978:                            ;   in Loop: Header=BB6_16763 Depth=2
	s_wait_xcnt 0x0
	s_and_not1_saveexec_b32 s28, s28
	s_cbranch_execz .LBB6_16980
; %bb.16979:                            ;   in Loop: Header=BB6_16763 Depth=2
	v_cmp_lt_i32_e32 vcc_lo, -1, v0
	v_cndmask_b32_e32 v0, 0xfc, v30, vcc_lo
	scratch_store_b32 off, v0, s33 offset:276 ; 4-byte Folded Spill
.LBB6_16980:                            ;   in Loop: Header=BB6_16763 Depth=2
	s_wait_xcnt 0x0
	s_or_b32 exec_lo, exec_lo, s28
.LBB6_16981:                            ;   in Loop: Header=BB6_16763 Depth=2
	s_delay_alu instid0(SALU_CYCLE_1)
	s_or_b32 exec_lo, exec_lo, s10
	v_mov_b32_e32 v1, 0
	s_mov_b32 s10, exec_lo
	v_cmpx_lt_u64_e64 s[12:13], v[10:11]
	s_cbranch_execz .LBB6_16991
; %bb.16982:                            ;   in Loop: Header=BB6_16763 Depth=2
	v_lshrrev_b32_e32 v0, 24, v11
	v_bfrev_b32_e32 v1, 1
	s_mov_b32 s28, exec_lo
	s_delay_alu instid0(VALU_DEP_2)
	v_cmpx_ne_u32_e32 0x80, v0
	s_cbranch_execz .LBB6_16990
; %bb.16983:                            ;   in Loop: Header=BB6_16763 Depth=2
	v_and_b32_e32 v1, 0x7c000000, v11
	v_bfe_u32 v2, v11, 24, 2
	s_delay_alu instid0(VALU_DEP_2) | instskip(SKIP_1) | instid1(SALU_CYCLE_1)
	v_cmp_ne_u32_e32 vcc_lo, 0x7c000000, v1
                                        ; implicit-def: $vgpr1
	s_and_saveexec_b32 s29, vcc_lo
	s_xor_b32 s29, exec_lo, s29
	s_cbranch_execz .LBB6_16987
; %bb.16984:                            ;   in Loop: Header=BB6_16763 Depth=2
	v_bfe_u32 v1, v11, 26, 5
	s_mov_b32 s40, exec_lo
	s_delay_alu instid0(VALU_DEP_1)
	v_cmpx_eq_u32_e32 0, v1
; %bb.16985:                            ;   in Loop: Header=BB6_16763 Depth=2
	v_clz_i32_u32_e32 v1, v2
	s_delay_alu instid0(VALU_DEP_1) | instskip(NEXT) | instid1(VALU_DEP_1)
	v_min_u32_e32 v2, 32, v1
	v_subrev_nc_u32_e32 v1, 29, v2
	s_delay_alu instid0(VALU_DEP_1) | instskip(NEXT) | instid1(VALU_DEP_1)
	v_lshlrev_b64_e32 v[0:1], v1, v[0:1]
	v_dual_sub_nc_u32 v1, 30, v2 :: v_dual_bitop2_b32 v2, 3, v0 bitop3:0x40
; %bb.16986:                            ;   in Loop: Header=BB6_16763 Depth=2
	s_or_b32 exec_lo, exec_lo, s40
	v_and_b32_e32 v0, 0x80000000, v11
	s_delay_alu instid0(VALU_DEP_1) | instskip(NEXT) | instid1(VALU_DEP_1)
	v_lshl_add_u32 v0, v1, 23, v0
	v_lshl_or_b32 v0, v2, 21, v0
                                        ; implicit-def: $vgpr2
	s_delay_alu instid0(VALU_DEP_1)
	v_add_nc_u32_e32 v1, 0x38000000, v0
.LBB6_16987:                            ;   in Loop: Header=BB6_16763 Depth=2
	s_and_not1_saveexec_b32 s29, s29
; %bb.16988:                            ;   in Loop: Header=BB6_16763 Depth=2
	v_cmp_lt_i64_e32 vcc_lo, -1, v[10:11]
	v_cndmask_b32_e32 v0, 0xff800000, v29, vcc_lo
	v_cmp_eq_u32_e32 vcc_lo, 0, v2
	s_delay_alu instid0(VALU_DEP_2)
	v_cndmask_b32_e32 v1, 0x7f800001, v0, vcc_lo
; %bb.16989:                            ;   in Loop: Header=BB6_16763 Depth=2
	s_or_b32 exec_lo, exec_lo, s29
.LBB6_16990:                            ;   in Loop: Header=BB6_16763 Depth=2
	s_delay_alu instid0(SALU_CYCLE_1)
	s_or_b32 exec_lo, exec_lo, s28
.LBB6_16991:                            ;   in Loop: Header=BB6_16763 Depth=2
	s_delay_alu instid0(SALU_CYCLE_1) | instskip(NEXT) | instid1(VALU_DEP_1)
	s_or_b32 exec_lo, exec_lo, s10
	v_dual_mul_f32 v0, s27, v1 :: v_dual_mov_b32 v3, v55
	s_delay_alu instid0(VALU_DEP_1) | instskip(SKIP_2) | instid1(VALU_DEP_3)
	v_and_b32_e32 v2, 0x7f800000, v0
	v_and_b32_e32 v54, 0x7fffff, v0
	v_lshrrev_b32_e32 v1, 24, v0
	v_cmp_ne_u64_e32 vcc_lo, 0x7f800000, v[2:3]
                                        ; implicit-def: $vgpr2
                                        ; kill: killed $vgpr2
	s_and_saveexec_b32 s10, vcc_lo
	s_delay_alu instid0(SALU_CYCLE_1)
	s_xor_b32 s28, exec_lo, s10
	s_cbranch_execz .LBB6_17005
; %bb.16992:                            ;   in Loop: Header=BB6_16763 Depth=2
	v_and_b32_e32 v2, 0x7fffffff, v0
	v_mov_b32_e32 v3, v55
	v_and_b32_e32 v5, 0x80, v1
                                        ; implicit-def: $vgpr1
                                        ; kill: killed $vgpr1
	s_mov_b32 s10, exec_lo
	s_delay_alu instid0(VALU_DEP_2)
	v_cmpx_gt_u64_e32 0x47600001, v[2:3]
	s_xor_b32 s29, exec_lo, s10
	s_cbranch_execz .LBB6_17002
; %bb.16993:                            ;   in Loop: Header=BB6_16763 Depth=2
	v_mov_b32_e32 v1, 0
	s_mov_b32 s40, exec_lo
	scratch_store_b32 off, v1, s33 offset:284 ; 4-byte Folded Spill
	s_wait_xcnt 0x0
	v_cmpx_ne_u32_e32 0, v0
	s_cbranch_execz .LBB6_17001
; %bb.16994:                            ;   in Loop: Header=BB6_16763 Depth=2
	v_bfe_u32 v6, v0, 23, 8
	v_or_b32_e32 v2, 0x800000, v54
	s_mov_b32 s41, exec_lo
	s_delay_alu instid0(VALU_DEP_2) | instskip(SKIP_1) | instid1(VALU_DEP_2)
	v_dual_mov_b32 v3, v55 :: v_dual_sub_nc_u32 v0, 0x71, v6
	v_cmp_gt_u32_e32 vcc_lo, 0x72, v6
	v_cndmask_b32_e32 v0, 0, v0, vcc_lo
	v_cmp_eq_u32_e32 vcc_lo, 0, v6
	s_delay_alu instid0(VALU_DEP_2) | instskip(NEXT) | instid1(VALU_DEP_1)
	v_cndmask_b32_e64 v7, v0, 0x70, vcc_lo
	v_dual_cndmask_b32 v2, v2, v54, vcc_lo :: v_dual_add_nc_u32 v0, 21, v7
	v_add_nc_u32_e32 v8, 20, v7
	s_delay_alu instid0(VALU_DEP_2) | instskip(NEXT) | instid1(VALU_DEP_2)
	v_lshlrev_b64_e64 v[0:1], v0, -1
	v_lshlrev_b64_e64 v[8:9], v8, 1
	s_delay_alu instid0(VALU_DEP_2) | instskip(NEXT) | instid1(VALU_DEP_3)
	v_bfi_b32 v11, v1, 0, 0
	v_bfi_b32 v10, v0, 0, v2
	v_lshrrev_b64 v[0:1], v7, v[2:3]
	s_delay_alu instid0(VALU_DEP_1) | instskip(NEXT) | instid1(VALU_DEP_3)
	v_mov_b64_e32 v[2:3], v[0:1]
	v_cmpx_eq_u64_e64 v[10:11], v[8:9]
; %bb.16995:                            ;   in Loop: Header=BB6_16763 Depth=2
	v_bfe_u32 v2, v0, 21, 1
	v_mov_b32_e32 v3, v55
	s_delay_alu instid0(VALU_DEP_1) | instskip(NEXT) | instid1(VALU_DEP_1)
	v_add_nc_u64_e32 v[2:3], v[0:1], v[2:3]
	v_add_nc_u64_e32 v[2:3], -1, v[2:3]
; %bb.16996:                            ;   in Loop: Header=BB6_16763 Depth=2
	s_or_b32 exec_lo, exec_lo, s41
	v_add_nc_u32_e32 v1, 0xffffff81, v6
	v_lshrrev_b32_e32 v3, 23, v0
	s_mov_b32 s10, exec_lo
	s_delay_alu instid0(VALU_DEP_2) | instskip(NEXT) | instid1(VALU_DEP_1)
	v_cndmask_b32_e64 v1, v1, 0xffffff82, vcc_lo
	v_add3_u32 v3, v7, v1, v3
	v_and_b32_e32 v1, 0x1fffff, v2
                                        ; implicit-def: $vgpr2
	s_delay_alu instid0(VALU_DEP_1) | instskip(NEXT) | instid1(VALU_DEP_1)
	v_dual_add_nc_u32 v6, 14, v3 :: v_dual_add_nc_u32 v54, v1, v0
                                        ; implicit-def: $vgpr0_vgpr1
	v_cmpx_ne_u32_e32 0, v6
	s_xor_b32 s10, exec_lo, s10
; %bb.16997:                            ;   in Loop: Header=BB6_16763 Depth=2
	s_delay_alu instid0(VALU_DEP_2) | instskip(SKIP_1) | instid1(VALU_DEP_1)
	v_cmp_lt_u64_e32 vcc_lo, 0xffffff, v[54:55]
	v_add_nc_u32_e32 v0, 15, v3
	v_cndmask_b32_e32 v2, v6, v0, vcc_lo
	v_cndmask_b32_e64 v0, 0, 1, vcc_lo
	s_delay_alu instid0(VALU_DEP_1)
	v_lshrrev_b64 v[0:1], v0, v[54:55]
; %bb.16998:                            ;   in Loop: Header=BB6_16763 Depth=2
	s_and_not1_saveexec_b32 s10, s10
; %bb.16999:                            ;   in Loop: Header=BB6_16763 Depth=2
	v_mov_b64_e32 v[0:1], v[54:55]
	v_bfe_u32 v2, v54, 23, 1
; %bb.17000:                            ;   in Loop: Header=BB6_16763 Depth=2
	s_or_b32 exec_lo, exec_lo, s10
	s_delay_alu instid0(VALU_DEP_2) | instskip(NEXT) | instid1(VALU_DEP_2)
	v_lshrrev_b64 v[0:1], 21, v[0:1]
	v_cmp_gt_i32_e32 vcc_lo, 32, v2
	v_min_i32_e32 v3, 31, v2
	v_cmp_eq_u32_e64 s10, 0, v2
	s_delay_alu instid0(VALU_DEP_2) | instskip(SKIP_1) | instid1(VALU_DEP_2)
	v_dual_cndmask_b32 v1, 0, v1, vcc_lo :: v_dual_lshlrev_b32 v3, 2, v3
	v_cndmask_b32_e32 v0, 3, v0, vcc_lo
	v_and_b32_e32 v3, 0xfc, v3
	s_delay_alu instid0(VALU_DEP_2) | instskip(NEXT) | instid1(VALU_DEP_2)
	v_cmp_eq_u64_e32 vcc_lo, 0, v[0:1]
	v_and_or_b32 v0, v0, 3, v3
	s_and_b32 s10, s10, vcc_lo
	s_delay_alu instid0(VALU_DEP_1) | instid1(SALU_CYCLE_1)
	v_cndmask_b32_e64 v0, v0, 0, s10
	s_delay_alu instid0(VALU_DEP_1)
	v_or_b32_e32 v0, v0, v5
	scratch_store_b32 off, v0, s33 offset:284 ; 4-byte Folded Spill
.LBB6_17001:                            ;   in Loop: Header=BB6_16763 Depth=2
	s_wait_xcnt 0x0
	s_or_b32 exec_lo, exec_lo, s40
                                        ; implicit-def: $vgpr5
.LBB6_17002:                            ;   in Loop: Header=BB6_16763 Depth=2
	s_and_not1_saveexec_b32 s10, s29
	s_cbranch_execz .LBB6_17004
; %bb.17003:                            ;   in Loop: Header=BB6_16763 Depth=2
	v_or_b32_e32 v0, 0x7b, v5
	scratch_store_b32 off, v0, s33 offset:284 ; 4-byte Folded Spill
.LBB6_17004:                            ;   in Loop: Header=BB6_16763 Depth=2
	s_wait_xcnt 0x0
	s_or_b32 exec_lo, exec_lo, s10
                                        ; implicit-def: $vgpr0
                                        ; implicit-def: $vgpr1
.LBB6_17005:                            ;   in Loop: Header=BB6_16763 Depth=2
	s_and_not1_saveexec_b32 s10, s28
	s_cbranch_execz .LBB6_17011
; %bb.17006:                            ;   in Loop: Header=BB6_16763 Depth=2
	s_mov_b32 s28, exec_lo
                                        ; implicit-def: $vgpr2
                                        ; kill: killed $vgpr2
	v_cmpx_ne_u64_e32 0, v[54:55]
	s_xor_b32 s28, exec_lo, s28
	s_cbranch_execz .LBB6_17008
; %bb.17007:                            ;   in Loop: Header=BB6_16763 Depth=2
	v_or_b32_e32 v0, 0x7f, v1
	scratch_store_b32 off, v0, s33 offset:284 ; 4-byte Folded Spill
                                        ; implicit-def: $vgpr0
.LBB6_17008:                            ;   in Loop: Header=BB6_16763 Depth=2
	s_wait_xcnt 0x0
	s_and_not1_saveexec_b32 s28, s28
	s_cbranch_execz .LBB6_17010
; %bb.17009:                            ;   in Loop: Header=BB6_16763 Depth=2
	v_cmp_lt_i32_e32 vcc_lo, -1, v0
	v_cndmask_b32_e32 v0, 0xfc, v30, vcc_lo
	scratch_store_b32 off, v0, s33 offset:284 ; 4-byte Folded Spill
.LBB6_17010:                            ;   in Loop: Header=BB6_16763 Depth=2
	s_wait_xcnt 0x0
	s_or_b32 exec_lo, exec_lo, s28
.LBB6_17011:                            ;   in Loop: Header=BB6_16763 Depth=2
	s_delay_alu instid0(SALU_CYCLE_1) | instskip(SKIP_1) | instid1(VALU_DEP_1)
	s_or_b32 exec_lo, exec_lo, s10
	v_and_b32_e32 v0, 0xff, v12
	v_cmp_ne_u16_e32 vcc_lo, 0, v0
	v_mov_b32_e32 v0, 0
	s_and_saveexec_b32 s10, vcc_lo
	s_cbranch_execz .LBB6_17021
; %bb.17012:                            ;   in Loop: Header=BB6_16763 Depth=2
	v_bfe_i32 v2, v12, 0, 8
	v_bfrev_b32_e32 v0, 1
	s_mov_b32 s28, exec_lo
	s_delay_alu instid0(VALU_DEP_2)
	v_cmpx_ne_u16_e32 0xff80, v2
	s_cbranch_execz .LBB6_17020
; %bb.17013:                            ;   in Loop: Header=BB6_16763 Depth=2
	v_and_b32_e32 v0, 0x7c, v12
	v_and_b32_e32 v1, 3, v12
	s_delay_alu instid0(VALU_DEP_2) | instskip(SKIP_1) | instid1(SALU_CYCLE_1)
	v_cmp_ne_u32_e32 vcc_lo, 0x7c, v0
                                        ; implicit-def: $vgpr0
	s_and_saveexec_b32 s29, vcc_lo
	s_xor_b32 s29, exec_lo, s29
	s_cbranch_execz .LBB6_17017
; %bb.17014:                            ;   in Loop: Header=BB6_16763 Depth=2
	v_bfe_u32 v0, v12, 2, 5
	s_mov_b32 s40, exec_lo
	s_delay_alu instid0(VALU_DEP_1)
	v_cmpx_eq_u32_e32 0, v0
; %bb.17015:                            ;   in Loop: Header=BB6_16763 Depth=2
	v_clz_i32_u32_e32 v0, v1
	s_delay_alu instid0(VALU_DEP_1) | instskip(NEXT) | instid1(VALU_DEP_1)
	v_min_u32_e32 v0, 32, v0
	v_subrev_nc_u32_e32 v1, 29, v0
	s_delay_alu instid0(VALU_DEP_1) | instskip(NEXT) | instid1(VALU_DEP_1)
	v_lshlrev_b64_e32 v[2:3], v1, v[12:13]
	v_dual_sub_nc_u32 v0, 30, v0 :: v_dual_bitop2_b32 v1, 3, v2 bitop3:0x40
; %bb.17016:                            ;   in Loop: Header=BB6_16763 Depth=2
	s_or_b32 exec_lo, exec_lo, s40
	v_lshlrev_b32_e32 v2, 24, v12
	s_delay_alu instid0(VALU_DEP_1) | instskip(NEXT) | instid1(VALU_DEP_1)
	v_and_b32_e32 v2, 0x80000000, v2
	v_lshl_add_u32 v0, v0, 23, v2
                                        ; implicit-def: $vgpr2
	s_delay_alu instid0(VALU_DEP_1) | instskip(NEXT) | instid1(VALU_DEP_1)
	v_lshl_or_b32 v0, v1, 21, v0
                                        ; implicit-def: $vgpr1
	v_add_nc_u32_e32 v0, 0x38000000, v0
.LBB6_17017:                            ;   in Loop: Header=BB6_16763 Depth=2
	s_and_not1_saveexec_b32 s29, s29
; %bb.17018:                            ;   in Loop: Header=BB6_16763 Depth=2
	v_cmp_lt_i16_e32 vcc_lo, -1, v2
	v_cndmask_b32_e32 v0, 0xff800000, v29, vcc_lo
	v_cmp_eq_u32_e32 vcc_lo, 0, v1
	s_delay_alu instid0(VALU_DEP_2)
	v_cndmask_b32_e32 v0, 0x7f800001, v0, vcc_lo
; %bb.17019:                            ;   in Loop: Header=BB6_16763 Depth=2
	s_or_b32 exec_lo, exec_lo, s29
.LBB6_17020:                            ;   in Loop: Header=BB6_16763 Depth=2
	s_delay_alu instid0(SALU_CYCLE_1)
	s_or_b32 exec_lo, exec_lo, s28
.LBB6_17021:                            ;   in Loop: Header=BB6_16763 Depth=2
	s_delay_alu instid0(SALU_CYCLE_1) | instskip(NEXT) | instid1(VALU_DEP_1)
	s_or_b32 exec_lo, exec_lo, s10
	v_dual_mul_f32 v0, s27, v0 :: v_dual_mov_b32 v3, v55
	s_delay_alu instid0(VALU_DEP_1) | instskip(SKIP_2) | instid1(VALU_DEP_3)
	v_and_b32_e32 v2, 0x7f800000, v0
	v_and_b32_e32 v54, 0x7fffff, v0
	v_lshrrev_b32_e32 v1, 24, v0
	v_cmp_ne_u64_e32 vcc_lo, 0x7f800000, v[2:3]
                                        ; implicit-def: $vgpr2
                                        ; kill: killed $vgpr2
	s_and_saveexec_b32 s10, vcc_lo
	s_delay_alu instid0(SALU_CYCLE_1)
	s_xor_b32 s28, exec_lo, s10
	s_cbranch_execz .LBB6_17035
; %bb.17022:                            ;   in Loop: Header=BB6_16763 Depth=2
	v_and_b32_e32 v2, 0x7fffffff, v0
	v_mov_b32_e32 v3, v55
	v_and_b32_e32 v5, 0x80, v1
                                        ; implicit-def: $vgpr1
                                        ; kill: killed $vgpr1
	s_mov_b32 s10, exec_lo
	s_delay_alu instid0(VALU_DEP_2)
	v_cmpx_gt_u64_e32 0x47600001, v[2:3]
	s_xor_b32 s29, exec_lo, s10
	s_cbranch_execz .LBB6_17032
; %bb.17023:                            ;   in Loop: Header=BB6_16763 Depth=2
	v_mov_b32_e32 v1, 0
	s_mov_b32 s40, exec_lo
	scratch_store_b32 off, v1, s33 offset:292 ; 4-byte Folded Spill
	s_wait_xcnt 0x0
	v_cmpx_ne_u32_e32 0, v0
	s_cbranch_execz .LBB6_17031
; %bb.17024:                            ;   in Loop: Header=BB6_16763 Depth=2
	v_bfe_u32 v6, v0, 23, 8
	v_or_b32_e32 v2, 0x800000, v54
	s_mov_b32 s41, exec_lo
	s_delay_alu instid0(VALU_DEP_2) | instskip(SKIP_1) | instid1(VALU_DEP_2)
	v_dual_mov_b32 v3, v55 :: v_dual_sub_nc_u32 v0, 0x71, v6
	v_cmp_gt_u32_e32 vcc_lo, 0x72, v6
	v_cndmask_b32_e32 v0, 0, v0, vcc_lo
	v_cmp_eq_u32_e32 vcc_lo, 0, v6
	s_delay_alu instid0(VALU_DEP_2) | instskip(NEXT) | instid1(VALU_DEP_1)
	v_cndmask_b32_e64 v7, v0, 0x70, vcc_lo
	v_dual_cndmask_b32 v2, v2, v54, vcc_lo :: v_dual_add_nc_u32 v0, 21, v7
	v_add_nc_u32_e32 v8, 20, v7
	s_delay_alu instid0(VALU_DEP_2) | instskip(NEXT) | instid1(VALU_DEP_2)
	v_lshlrev_b64_e64 v[0:1], v0, -1
	v_lshlrev_b64_e64 v[8:9], v8, 1
	s_delay_alu instid0(VALU_DEP_2) | instskip(NEXT) | instid1(VALU_DEP_3)
	v_bfi_b32 v11, v1, 0, 0
	v_bfi_b32 v10, v0, 0, v2
	v_lshrrev_b64 v[0:1], v7, v[2:3]
	s_delay_alu instid0(VALU_DEP_1) | instskip(NEXT) | instid1(VALU_DEP_3)
	v_mov_b64_e32 v[2:3], v[0:1]
	v_cmpx_eq_u64_e64 v[10:11], v[8:9]
; %bb.17025:                            ;   in Loop: Header=BB6_16763 Depth=2
	v_bfe_u32 v2, v0, 21, 1
	v_mov_b32_e32 v3, v55
	s_delay_alu instid0(VALU_DEP_1) | instskip(NEXT) | instid1(VALU_DEP_1)
	v_add_nc_u64_e32 v[2:3], v[0:1], v[2:3]
	v_add_nc_u64_e32 v[2:3], -1, v[2:3]
; %bb.17026:                            ;   in Loop: Header=BB6_16763 Depth=2
	s_or_b32 exec_lo, exec_lo, s41
	v_add_nc_u32_e32 v1, 0xffffff81, v6
	v_lshrrev_b32_e32 v3, 23, v0
	s_mov_b32 s10, exec_lo
	s_delay_alu instid0(VALU_DEP_2) | instskip(NEXT) | instid1(VALU_DEP_1)
	v_cndmask_b32_e64 v1, v1, 0xffffff82, vcc_lo
	v_add3_u32 v3, v7, v1, v3
	v_and_b32_e32 v1, 0x1fffff, v2
                                        ; implicit-def: $vgpr2
	s_delay_alu instid0(VALU_DEP_1) | instskip(NEXT) | instid1(VALU_DEP_1)
	v_dual_add_nc_u32 v6, 14, v3 :: v_dual_add_nc_u32 v54, v1, v0
                                        ; implicit-def: $vgpr0_vgpr1
	v_cmpx_ne_u32_e32 0, v6
	s_xor_b32 s10, exec_lo, s10
; %bb.17027:                            ;   in Loop: Header=BB6_16763 Depth=2
	s_delay_alu instid0(VALU_DEP_2) | instskip(SKIP_1) | instid1(VALU_DEP_1)
	v_cmp_lt_u64_e32 vcc_lo, 0xffffff, v[54:55]
	v_add_nc_u32_e32 v0, 15, v3
	v_cndmask_b32_e32 v2, v6, v0, vcc_lo
	v_cndmask_b32_e64 v0, 0, 1, vcc_lo
	s_delay_alu instid0(VALU_DEP_1)
	v_lshrrev_b64 v[0:1], v0, v[54:55]
; %bb.17028:                            ;   in Loop: Header=BB6_16763 Depth=2
	s_and_not1_saveexec_b32 s10, s10
; %bb.17029:                            ;   in Loop: Header=BB6_16763 Depth=2
	v_mov_b64_e32 v[0:1], v[54:55]
	v_bfe_u32 v2, v54, 23, 1
; %bb.17030:                            ;   in Loop: Header=BB6_16763 Depth=2
	s_or_b32 exec_lo, exec_lo, s10
	s_delay_alu instid0(VALU_DEP_2) | instskip(NEXT) | instid1(VALU_DEP_2)
	v_lshrrev_b64 v[0:1], 21, v[0:1]
	v_cmp_gt_i32_e32 vcc_lo, 32, v2
	v_min_i32_e32 v3, 31, v2
	v_cmp_eq_u32_e64 s10, 0, v2
	s_delay_alu instid0(VALU_DEP_2) | instskip(SKIP_1) | instid1(VALU_DEP_2)
	v_dual_cndmask_b32 v1, 0, v1, vcc_lo :: v_dual_lshlrev_b32 v3, 2, v3
	v_cndmask_b32_e32 v0, 3, v0, vcc_lo
	v_and_b32_e32 v3, 0xfc, v3
	s_delay_alu instid0(VALU_DEP_2) | instskip(NEXT) | instid1(VALU_DEP_2)
	v_cmp_eq_u64_e32 vcc_lo, 0, v[0:1]
	v_and_or_b32 v0, v0, 3, v3
	s_and_b32 s10, s10, vcc_lo
	s_delay_alu instid0(VALU_DEP_1) | instid1(SALU_CYCLE_1)
	v_cndmask_b32_e64 v0, v0, 0, s10
	s_delay_alu instid0(VALU_DEP_1)
	v_or_b32_e32 v0, v0, v5
	scratch_store_b32 off, v0, s33 offset:292 ; 4-byte Folded Spill
.LBB6_17031:                            ;   in Loop: Header=BB6_16763 Depth=2
	s_wait_xcnt 0x0
	s_or_b32 exec_lo, exec_lo, s40
                                        ; implicit-def: $vgpr5
.LBB6_17032:                            ;   in Loop: Header=BB6_16763 Depth=2
	s_and_not1_saveexec_b32 s10, s29
	s_cbranch_execz .LBB6_17034
; %bb.17033:                            ;   in Loop: Header=BB6_16763 Depth=2
	v_or_b32_e32 v0, 0x7b, v5
	scratch_store_b32 off, v0, s33 offset:292 ; 4-byte Folded Spill
.LBB6_17034:                            ;   in Loop: Header=BB6_16763 Depth=2
	s_wait_xcnt 0x0
	s_or_b32 exec_lo, exec_lo, s10
                                        ; implicit-def: $vgpr0
                                        ; implicit-def: $vgpr1
.LBB6_17035:                            ;   in Loop: Header=BB6_16763 Depth=2
	s_and_not1_saveexec_b32 s10, s28
	s_cbranch_execz .LBB6_17041
; %bb.17036:                            ;   in Loop: Header=BB6_16763 Depth=2
	s_mov_b32 s28, exec_lo
                                        ; implicit-def: $vgpr2
                                        ; kill: killed $vgpr2
	v_cmpx_ne_u64_e32 0, v[54:55]
	s_xor_b32 s28, exec_lo, s28
	s_cbranch_execz .LBB6_17038
; %bb.17037:                            ;   in Loop: Header=BB6_16763 Depth=2
	v_or_b32_e32 v0, 0x7f, v1
	scratch_store_b32 off, v0, s33 offset:292 ; 4-byte Folded Spill
                                        ; implicit-def: $vgpr0
.LBB6_17038:                            ;   in Loop: Header=BB6_16763 Depth=2
	s_wait_xcnt 0x0
	s_and_not1_saveexec_b32 s28, s28
	s_cbranch_execz .LBB6_17040
; %bb.17039:                            ;   in Loop: Header=BB6_16763 Depth=2
	v_cmp_lt_i32_e32 vcc_lo, -1, v0
	v_cndmask_b32_e32 v0, 0xfc, v30, vcc_lo
	scratch_store_b32 off, v0, s33 offset:292 ; 4-byte Folded Spill
.LBB6_17040:                            ;   in Loop: Header=BB6_16763 Depth=2
	s_wait_xcnt 0x0
	s_or_b32 exec_lo, exec_lo, s28
.LBB6_17041:                            ;   in Loop: Header=BB6_16763 Depth=2
	s_delay_alu instid0(SALU_CYCLE_1) | instskip(SKIP_3) | instid1(VALU_DEP_2)
	s_or_b32 exec_lo, exec_lo, s10
	v_lshrrev_b16 v0, 8, v12
	v_mov_b32_e32 v2, 0
	s_mov_b32 s10, exec_lo
	v_cmpx_ne_u16_e32 0, v0
	s_cbranch_execz .LBB6_17051
; %bb.17042:                            ;   in Loop: Header=BB6_16763 Depth=2
	v_bfrev_b32_e32 v2, 1
	s_mov_b32 s28, exec_lo
	v_cmpx_ne_u16_e32 0x80, v0
	s_cbranch_execz .LBB6_17050
; %bb.17043:                            ;   in Loop: Header=BB6_16763 Depth=2
	v_and_b32_e32 v3, 0xffff, v0
	s_delay_alu instid0(VALU_DEP_1) | instskip(SKIP_1) | instid1(VALU_DEP_2)
	v_and_b32_e32 v2, 0x7c, v3
	v_and_b32_e32 v1, 3, v3
	v_cmp_ne_u32_e32 vcc_lo, 0x7c, v2
                                        ; implicit-def: $vgpr2
	s_and_saveexec_b32 s29, vcc_lo
	s_delay_alu instid0(SALU_CYCLE_1)
	s_xor_b32 s29, exec_lo, s29
	s_cbranch_execz .LBB6_17047
; %bb.17044:                            ;   in Loop: Header=BB6_16763 Depth=2
	v_bfe_u32 v2, v3, 2, 5
	s_mov_b32 s40, exec_lo
	s_delay_alu instid0(VALU_DEP_1)
	v_cmpx_eq_u32_e32 0, v2
	s_cbranch_execz .LBB6_17046
; %bb.17045:                            ;   in Loop: Header=BB6_16763 Depth=2
	v_clz_i32_u32_e32 v1, v1
	s_delay_alu instid0(VALU_DEP_1) | instskip(SKIP_1) | instid1(VALU_DEP_2)
	v_min_u32_e32 v2, 32, v1
	v_mov_b32_e32 v1, v55
	v_subrev_nc_u32_e32 v3, 29, v2
	v_sub_nc_u32_e32 v2, 30, v2
	s_delay_alu instid0(VALU_DEP_2) | instskip(NEXT) | instid1(VALU_DEP_1)
	v_lshlrev_b64_e32 v[0:1], v3, v[0:1]
	v_and_b32_e32 v1, 3, v0
.LBB6_17046:                            ;   in Loop: Header=BB6_16763 Depth=2
	s_or_b32 exec_lo, exec_lo, s40
	v_lshlrev_b32_e32 v0, 16, v12
	s_delay_alu instid0(VALU_DEP_1) | instskip(NEXT) | instid1(VALU_DEP_1)
	v_and_b32_e32 v0, 0x80000000, v0
	v_lshl_add_u32 v0, v2, 23, v0
	s_delay_alu instid0(VALU_DEP_1) | instskip(NEXT) | instid1(VALU_DEP_1)
	v_lshl_or_b32 v0, v1, 21, v0
                                        ; implicit-def: $vgpr1
	v_add_nc_u32_e32 v2, 0x38000000, v0
.LBB6_17047:                            ;   in Loop: Header=BB6_16763 Depth=2
	s_and_not1_saveexec_b32 s29, s29
; %bb.17048:                            ;   in Loop: Header=BB6_16763 Depth=2
	v_cmp_lt_i16_e32 vcc_lo, -1, v12
	v_cndmask_b32_e32 v0, 0xff800000, v29, vcc_lo
	v_cmp_eq_u32_e32 vcc_lo, 0, v1
	s_delay_alu instid0(VALU_DEP_2)
	v_cndmask_b32_e32 v2, 0x7f800001, v0, vcc_lo
; %bb.17049:                            ;   in Loop: Header=BB6_16763 Depth=2
	s_or_b32 exec_lo, exec_lo, s29
.LBB6_17050:                            ;   in Loop: Header=BB6_16763 Depth=2
	s_delay_alu instid0(SALU_CYCLE_1)
	s_or_b32 exec_lo, exec_lo, s28
.LBB6_17051:                            ;   in Loop: Header=BB6_16763 Depth=2
	s_delay_alu instid0(SALU_CYCLE_1) | instskip(NEXT) | instid1(VALU_DEP_1)
	s_or_b32 exec_lo, exec_lo, s10
	v_dual_mul_f32 v0, s27, v2 :: v_dual_mov_b32 v3, v55
	s_delay_alu instid0(VALU_DEP_1) | instskip(SKIP_2) | instid1(VALU_DEP_3)
	v_and_b32_e32 v2, 0x7f800000, v0
	v_and_b32_e32 v54, 0x7fffff, v0
	v_lshrrev_b32_e32 v1, 24, v0
	v_cmp_ne_u64_e32 vcc_lo, 0x7f800000, v[2:3]
                                        ; implicit-def: $vgpr2
                                        ; kill: killed $vgpr2
	s_and_saveexec_b32 s10, vcc_lo
	s_delay_alu instid0(SALU_CYCLE_1)
	s_xor_b32 s28, exec_lo, s10
	s_cbranch_execz .LBB6_17065
; %bb.17052:                            ;   in Loop: Header=BB6_16763 Depth=2
	v_and_b32_e32 v2, 0x7fffffff, v0
	v_mov_b32_e32 v3, v55
	v_and_b32_e32 v5, 0x80, v1
                                        ; implicit-def: $vgpr1
                                        ; kill: killed $vgpr1
	s_mov_b32 s10, exec_lo
	s_delay_alu instid0(VALU_DEP_2)
	v_cmpx_gt_u64_e32 0x47600001, v[2:3]
	s_xor_b32 s29, exec_lo, s10
	s_cbranch_execz .LBB6_17062
; %bb.17053:                            ;   in Loop: Header=BB6_16763 Depth=2
	v_mov_b32_e32 v1, 0
	s_mov_b32 s40, exec_lo
	scratch_store_b32 off, v1, s33 offset:300 ; 4-byte Folded Spill
	s_wait_xcnt 0x0
	v_cmpx_ne_u32_e32 0, v0
	s_cbranch_execz .LBB6_17061
; %bb.17054:                            ;   in Loop: Header=BB6_16763 Depth=2
	v_bfe_u32 v6, v0, 23, 8
	v_or_b32_e32 v2, 0x800000, v54
	s_mov_b32 s41, exec_lo
	s_delay_alu instid0(VALU_DEP_2) | instskip(SKIP_1) | instid1(VALU_DEP_2)
	v_dual_mov_b32 v3, v55 :: v_dual_sub_nc_u32 v0, 0x71, v6
	v_cmp_gt_u32_e32 vcc_lo, 0x72, v6
	v_cndmask_b32_e32 v0, 0, v0, vcc_lo
	v_cmp_eq_u32_e32 vcc_lo, 0, v6
	s_delay_alu instid0(VALU_DEP_2) | instskip(NEXT) | instid1(VALU_DEP_1)
	v_cndmask_b32_e64 v7, v0, 0x70, vcc_lo
	v_dual_cndmask_b32 v2, v2, v54, vcc_lo :: v_dual_add_nc_u32 v0, 21, v7
	v_add_nc_u32_e32 v8, 20, v7
	s_delay_alu instid0(VALU_DEP_2) | instskip(NEXT) | instid1(VALU_DEP_2)
	v_lshlrev_b64_e64 v[0:1], v0, -1
	v_lshlrev_b64_e64 v[8:9], v8, 1
	s_delay_alu instid0(VALU_DEP_2) | instskip(NEXT) | instid1(VALU_DEP_3)
	v_bfi_b32 v11, v1, 0, 0
	v_bfi_b32 v10, v0, 0, v2
	v_lshrrev_b64 v[0:1], v7, v[2:3]
	s_delay_alu instid0(VALU_DEP_1) | instskip(NEXT) | instid1(VALU_DEP_3)
	v_mov_b64_e32 v[2:3], v[0:1]
	v_cmpx_eq_u64_e64 v[10:11], v[8:9]
; %bb.17055:                            ;   in Loop: Header=BB6_16763 Depth=2
	v_bfe_u32 v2, v0, 21, 1
	v_mov_b32_e32 v3, v55
	s_delay_alu instid0(VALU_DEP_1) | instskip(NEXT) | instid1(VALU_DEP_1)
	v_add_nc_u64_e32 v[2:3], v[0:1], v[2:3]
	v_add_nc_u64_e32 v[2:3], -1, v[2:3]
; %bb.17056:                            ;   in Loop: Header=BB6_16763 Depth=2
	s_or_b32 exec_lo, exec_lo, s41
	v_add_nc_u32_e32 v1, 0xffffff81, v6
	v_lshrrev_b32_e32 v3, 23, v0
	s_mov_b32 s10, exec_lo
	s_delay_alu instid0(VALU_DEP_2) | instskip(NEXT) | instid1(VALU_DEP_1)
	v_cndmask_b32_e64 v1, v1, 0xffffff82, vcc_lo
	v_add3_u32 v3, v7, v1, v3
	v_and_b32_e32 v1, 0x1fffff, v2
                                        ; implicit-def: $vgpr2
	s_delay_alu instid0(VALU_DEP_1) | instskip(NEXT) | instid1(VALU_DEP_1)
	v_dual_add_nc_u32 v6, 14, v3 :: v_dual_add_nc_u32 v54, v1, v0
                                        ; implicit-def: $vgpr0_vgpr1
	v_cmpx_ne_u32_e32 0, v6
	s_xor_b32 s10, exec_lo, s10
; %bb.17057:                            ;   in Loop: Header=BB6_16763 Depth=2
	s_delay_alu instid0(VALU_DEP_2) | instskip(SKIP_1) | instid1(VALU_DEP_1)
	v_cmp_lt_u64_e32 vcc_lo, 0xffffff, v[54:55]
	v_add_nc_u32_e32 v0, 15, v3
	v_cndmask_b32_e32 v2, v6, v0, vcc_lo
	v_cndmask_b32_e64 v0, 0, 1, vcc_lo
	s_delay_alu instid0(VALU_DEP_1)
	v_lshrrev_b64 v[0:1], v0, v[54:55]
; %bb.17058:                            ;   in Loop: Header=BB6_16763 Depth=2
	s_and_not1_saveexec_b32 s10, s10
; %bb.17059:                            ;   in Loop: Header=BB6_16763 Depth=2
	v_mov_b64_e32 v[0:1], v[54:55]
	v_bfe_u32 v2, v54, 23, 1
; %bb.17060:                            ;   in Loop: Header=BB6_16763 Depth=2
	s_or_b32 exec_lo, exec_lo, s10
	s_delay_alu instid0(VALU_DEP_2) | instskip(NEXT) | instid1(VALU_DEP_2)
	v_lshrrev_b64 v[0:1], 21, v[0:1]
	v_cmp_gt_i32_e32 vcc_lo, 32, v2
	v_min_i32_e32 v3, 31, v2
	v_cmp_eq_u32_e64 s10, 0, v2
	s_delay_alu instid0(VALU_DEP_2) | instskip(SKIP_1) | instid1(VALU_DEP_2)
	v_dual_cndmask_b32 v1, 0, v1, vcc_lo :: v_dual_lshlrev_b32 v3, 2, v3
	v_cndmask_b32_e32 v0, 3, v0, vcc_lo
	v_and_b32_e32 v3, 0xfc, v3
	s_delay_alu instid0(VALU_DEP_2) | instskip(NEXT) | instid1(VALU_DEP_2)
	v_cmp_eq_u64_e32 vcc_lo, 0, v[0:1]
	v_and_or_b32 v0, v0, 3, v3
	s_and_b32 s10, s10, vcc_lo
	s_delay_alu instid0(VALU_DEP_1) | instid1(SALU_CYCLE_1)
	v_cndmask_b32_e64 v0, v0, 0, s10
	s_delay_alu instid0(VALU_DEP_1)
	v_or_b32_e32 v0, v0, v5
	scratch_store_b32 off, v0, s33 offset:300 ; 4-byte Folded Spill
.LBB6_17061:                            ;   in Loop: Header=BB6_16763 Depth=2
	s_wait_xcnt 0x0
	s_or_b32 exec_lo, exec_lo, s40
                                        ; implicit-def: $vgpr5
.LBB6_17062:                            ;   in Loop: Header=BB6_16763 Depth=2
	s_and_not1_saveexec_b32 s10, s29
	s_cbranch_execz .LBB6_17064
; %bb.17063:                            ;   in Loop: Header=BB6_16763 Depth=2
	v_or_b32_e32 v0, 0x7b, v5
	scratch_store_b32 off, v0, s33 offset:300 ; 4-byte Folded Spill
.LBB6_17064:                            ;   in Loop: Header=BB6_16763 Depth=2
	s_wait_xcnt 0x0
	s_or_b32 exec_lo, exec_lo, s10
                                        ; implicit-def: $vgpr0
                                        ; implicit-def: $vgpr1
.LBB6_17065:                            ;   in Loop: Header=BB6_16763 Depth=2
	s_and_not1_saveexec_b32 s10, s28
	s_cbranch_execz .LBB6_17071
; %bb.17066:                            ;   in Loop: Header=BB6_16763 Depth=2
	s_mov_b32 s28, exec_lo
                                        ; implicit-def: $vgpr2
                                        ; kill: killed $vgpr2
	v_cmpx_ne_u64_e32 0, v[54:55]
	s_xor_b32 s28, exec_lo, s28
	s_cbranch_execz .LBB6_17068
; %bb.17067:                            ;   in Loop: Header=BB6_16763 Depth=2
	v_or_b32_e32 v0, 0x7f, v1
	scratch_store_b32 off, v0, s33 offset:300 ; 4-byte Folded Spill
                                        ; implicit-def: $vgpr0
.LBB6_17068:                            ;   in Loop: Header=BB6_16763 Depth=2
	s_wait_xcnt 0x0
	s_and_not1_saveexec_b32 s28, s28
	s_cbranch_execz .LBB6_17070
; %bb.17069:                            ;   in Loop: Header=BB6_16763 Depth=2
	v_cmp_lt_i32_e32 vcc_lo, -1, v0
	v_cndmask_b32_e32 v0, 0xfc, v30, vcc_lo
	scratch_store_b32 off, v0, s33 offset:300 ; 4-byte Folded Spill
.LBB6_17070:                            ;   in Loop: Header=BB6_16763 Depth=2
	s_wait_xcnt 0x0
	s_or_b32 exec_lo, exec_lo, s28
.LBB6_17071:                            ;   in Loop: Header=BB6_16763 Depth=2
	s_delay_alu instid0(SALU_CYCLE_1) | instskip(SKIP_2) | instid1(VALU_DEP_1)
	s_or_b32 exec_lo, exec_lo, s10
	v_dual_mov_b32 v1, 0 :: v_dual_lshrrev_b32 v0, 16, v12
	s_mov_b32 s10, exec_lo
	v_and_b32_e32 v2, 0xff, v0
	s_delay_alu instid0(VALU_DEP_1)
	v_cmpx_ne_u16_e32 0, v2
	s_cbranch_execz .LBB6_17081
; %bb.17072:                            ;   in Loop: Header=BB6_16763 Depth=2
	v_bfrev_b32_e32 v1, 1
	s_mov_b32 s28, exec_lo
	v_cmpx_ne_u16_e32 0x80, v2
	s_cbranch_execz .LBB6_17080
; %bb.17073:                            ;   in Loop: Header=BB6_16763 Depth=2
	v_and_b32_e32 v1, 0x7c0000, v12
	v_bfe_u32 v2, v12, 16, 2
	s_delay_alu instid0(VALU_DEP_2) | instskip(SKIP_1) | instid1(SALU_CYCLE_1)
	v_cmp_ne_u32_e32 vcc_lo, 0x7c0000, v1
                                        ; implicit-def: $vgpr1
	s_and_saveexec_b32 s29, vcc_lo
	s_xor_b32 s29, exec_lo, s29
	s_cbranch_execz .LBB6_17077
; %bb.17074:                            ;   in Loop: Header=BB6_16763 Depth=2
	v_bfe_u32 v1, v12, 18, 5
	s_mov_b32 s40, exec_lo
	s_delay_alu instid0(VALU_DEP_1)
	v_cmpx_eq_u32_e32 0, v1
; %bb.17075:                            ;   in Loop: Header=BB6_16763 Depth=2
	v_clz_i32_u32_e32 v1, v2
	s_delay_alu instid0(VALU_DEP_1) | instskip(NEXT) | instid1(VALU_DEP_1)
	v_min_u32_e32 v1, 32, v1
	v_subrev_nc_u32_e32 v2, 29, v1
	s_delay_alu instid0(VALU_DEP_1) | instskip(NEXT) | instid1(VALU_DEP_1)
	v_lshlrev_b64_e32 v[2:3], v2, v[0:1]
	v_dual_sub_nc_u32 v1, 30, v1 :: v_dual_bitop2_b32 v2, 3, v2 bitop3:0x40
; %bb.17076:                            ;   in Loop: Header=BB6_16763 Depth=2
	s_or_b32 exec_lo, exec_lo, s40
	v_lshlrev_b32_e32 v0, 24, v0
	s_delay_alu instid0(VALU_DEP_1) | instskip(NEXT) | instid1(VALU_DEP_1)
	v_and_b32_e32 v0, 0x80000000, v0
	v_lshl_add_u32 v0, v1, 23, v0
	s_delay_alu instid0(VALU_DEP_1) | instskip(NEXT) | instid1(VALU_DEP_1)
	v_lshl_or_b32 v0, v2, 21, v0
                                        ; implicit-def: $vgpr2
	v_add_nc_u32_e32 v1, 0x38000000, v0
                                        ; implicit-def: $vgpr0
.LBB6_17077:                            ;   in Loop: Header=BB6_16763 Depth=2
	s_and_not1_saveexec_b32 s29, s29
; %bb.17078:                            ;   in Loop: Header=BB6_16763 Depth=2
	v_bfe_i32 v0, v0, 0, 8
	s_delay_alu instid0(VALU_DEP_1) | instskip(SKIP_2) | instid1(VALU_DEP_2)
	v_cmp_lt_i16_e32 vcc_lo, -1, v0
	v_cndmask_b32_e32 v0, 0xff800000, v29, vcc_lo
	v_cmp_eq_u32_e32 vcc_lo, 0, v2
	v_cndmask_b32_e32 v1, 0x7f800001, v0, vcc_lo
; %bb.17079:                            ;   in Loop: Header=BB6_16763 Depth=2
	s_or_b32 exec_lo, exec_lo, s29
.LBB6_17080:                            ;   in Loop: Header=BB6_16763 Depth=2
	s_delay_alu instid0(SALU_CYCLE_1)
	s_or_b32 exec_lo, exec_lo, s28
.LBB6_17081:                            ;   in Loop: Header=BB6_16763 Depth=2
	s_delay_alu instid0(SALU_CYCLE_1) | instskip(NEXT) | instid1(VALU_DEP_1)
	s_or_b32 exec_lo, exec_lo, s10
	v_dual_mul_f32 v0, s27, v1 :: v_dual_mov_b32 v3, v55
	s_delay_alu instid0(VALU_DEP_1) | instskip(SKIP_2) | instid1(VALU_DEP_3)
	v_and_b32_e32 v2, 0x7f800000, v0
	v_and_b32_e32 v54, 0x7fffff, v0
	v_lshrrev_b32_e32 v1, 24, v0
	v_cmp_ne_u64_e32 vcc_lo, 0x7f800000, v[2:3]
                                        ; implicit-def: $vgpr2
                                        ; kill: killed $vgpr2
	s_and_saveexec_b32 s10, vcc_lo
	s_delay_alu instid0(SALU_CYCLE_1)
	s_xor_b32 s28, exec_lo, s10
	s_cbranch_execz .LBB6_17095
; %bb.17082:                            ;   in Loop: Header=BB6_16763 Depth=2
	v_and_b32_e32 v2, 0x7fffffff, v0
	v_mov_b32_e32 v3, v55
	v_and_b32_e32 v5, 0x80, v1
                                        ; implicit-def: $vgpr1
                                        ; kill: killed $vgpr1
	s_mov_b32 s10, exec_lo
	s_delay_alu instid0(VALU_DEP_2)
	v_cmpx_gt_u64_e32 0x47600001, v[2:3]
	s_xor_b32 s29, exec_lo, s10
	s_cbranch_execz .LBB6_17092
; %bb.17083:                            ;   in Loop: Header=BB6_16763 Depth=2
	v_mov_b32_e32 v1, 0
	s_mov_b32 s40, exec_lo
	scratch_store_b32 off, v1, s33 offset:308 ; 4-byte Folded Spill
	s_wait_xcnt 0x0
	v_cmpx_ne_u32_e32 0, v0
	s_cbranch_execz .LBB6_17091
; %bb.17084:                            ;   in Loop: Header=BB6_16763 Depth=2
	v_bfe_u32 v6, v0, 23, 8
	v_or_b32_e32 v2, 0x800000, v54
	s_mov_b32 s41, exec_lo
	s_delay_alu instid0(VALU_DEP_2) | instskip(SKIP_1) | instid1(VALU_DEP_2)
	v_dual_mov_b32 v3, v55 :: v_dual_sub_nc_u32 v0, 0x71, v6
	v_cmp_gt_u32_e32 vcc_lo, 0x72, v6
	v_cndmask_b32_e32 v0, 0, v0, vcc_lo
	v_cmp_eq_u32_e32 vcc_lo, 0, v6
	s_delay_alu instid0(VALU_DEP_2) | instskip(NEXT) | instid1(VALU_DEP_1)
	v_cndmask_b32_e64 v7, v0, 0x70, vcc_lo
	v_dual_cndmask_b32 v2, v2, v54, vcc_lo :: v_dual_add_nc_u32 v0, 21, v7
	v_add_nc_u32_e32 v8, 20, v7
	s_delay_alu instid0(VALU_DEP_2) | instskip(NEXT) | instid1(VALU_DEP_2)
	v_lshlrev_b64_e64 v[0:1], v0, -1
	v_lshlrev_b64_e64 v[8:9], v8, 1
	s_delay_alu instid0(VALU_DEP_2) | instskip(NEXT) | instid1(VALU_DEP_3)
	v_bfi_b32 v11, v1, 0, 0
	v_bfi_b32 v10, v0, 0, v2
	v_lshrrev_b64 v[0:1], v7, v[2:3]
	s_delay_alu instid0(VALU_DEP_1) | instskip(NEXT) | instid1(VALU_DEP_3)
	v_mov_b64_e32 v[2:3], v[0:1]
	v_cmpx_eq_u64_e64 v[10:11], v[8:9]
; %bb.17085:                            ;   in Loop: Header=BB6_16763 Depth=2
	v_bfe_u32 v2, v0, 21, 1
	v_mov_b32_e32 v3, v55
	s_delay_alu instid0(VALU_DEP_1) | instskip(NEXT) | instid1(VALU_DEP_1)
	v_add_nc_u64_e32 v[2:3], v[0:1], v[2:3]
	v_add_nc_u64_e32 v[2:3], -1, v[2:3]
; %bb.17086:                            ;   in Loop: Header=BB6_16763 Depth=2
	s_or_b32 exec_lo, exec_lo, s41
	v_add_nc_u32_e32 v1, 0xffffff81, v6
	v_lshrrev_b32_e32 v3, 23, v0
	s_mov_b32 s10, exec_lo
	s_delay_alu instid0(VALU_DEP_2) | instskip(NEXT) | instid1(VALU_DEP_1)
	v_cndmask_b32_e64 v1, v1, 0xffffff82, vcc_lo
	v_add3_u32 v3, v7, v1, v3
	v_and_b32_e32 v1, 0x1fffff, v2
                                        ; implicit-def: $vgpr2
	s_delay_alu instid0(VALU_DEP_1) | instskip(NEXT) | instid1(VALU_DEP_1)
	v_dual_add_nc_u32 v6, 14, v3 :: v_dual_add_nc_u32 v54, v1, v0
                                        ; implicit-def: $vgpr0_vgpr1
	v_cmpx_ne_u32_e32 0, v6
	s_xor_b32 s10, exec_lo, s10
; %bb.17087:                            ;   in Loop: Header=BB6_16763 Depth=2
	s_delay_alu instid0(VALU_DEP_2) | instskip(SKIP_1) | instid1(VALU_DEP_1)
	v_cmp_lt_u64_e32 vcc_lo, 0xffffff, v[54:55]
	v_add_nc_u32_e32 v0, 15, v3
	v_cndmask_b32_e32 v2, v6, v0, vcc_lo
	v_cndmask_b32_e64 v0, 0, 1, vcc_lo
	s_delay_alu instid0(VALU_DEP_1)
	v_lshrrev_b64 v[0:1], v0, v[54:55]
; %bb.17088:                            ;   in Loop: Header=BB6_16763 Depth=2
	s_and_not1_saveexec_b32 s10, s10
; %bb.17089:                            ;   in Loop: Header=BB6_16763 Depth=2
	v_mov_b64_e32 v[0:1], v[54:55]
	v_bfe_u32 v2, v54, 23, 1
; %bb.17090:                            ;   in Loop: Header=BB6_16763 Depth=2
	s_or_b32 exec_lo, exec_lo, s10
	s_delay_alu instid0(VALU_DEP_2) | instskip(NEXT) | instid1(VALU_DEP_2)
	v_lshrrev_b64 v[0:1], 21, v[0:1]
	v_cmp_gt_i32_e32 vcc_lo, 32, v2
	v_min_i32_e32 v3, 31, v2
	v_cmp_eq_u32_e64 s10, 0, v2
	s_delay_alu instid0(VALU_DEP_2) | instskip(SKIP_1) | instid1(VALU_DEP_2)
	v_dual_cndmask_b32 v1, 0, v1, vcc_lo :: v_dual_lshlrev_b32 v3, 2, v3
	v_cndmask_b32_e32 v0, 3, v0, vcc_lo
	v_and_b32_e32 v3, 0xfc, v3
	s_delay_alu instid0(VALU_DEP_2) | instskip(NEXT) | instid1(VALU_DEP_2)
	v_cmp_eq_u64_e32 vcc_lo, 0, v[0:1]
	v_and_or_b32 v0, v0, 3, v3
	s_and_b32 s10, s10, vcc_lo
	s_delay_alu instid0(VALU_DEP_1) | instid1(SALU_CYCLE_1)
	v_cndmask_b32_e64 v0, v0, 0, s10
	s_delay_alu instid0(VALU_DEP_1)
	v_or_b32_e32 v0, v0, v5
	scratch_store_b32 off, v0, s33 offset:308 ; 4-byte Folded Spill
.LBB6_17091:                            ;   in Loop: Header=BB6_16763 Depth=2
	s_wait_xcnt 0x0
	s_or_b32 exec_lo, exec_lo, s40
                                        ; implicit-def: $vgpr5
.LBB6_17092:                            ;   in Loop: Header=BB6_16763 Depth=2
	s_and_not1_saveexec_b32 s10, s29
	s_cbranch_execz .LBB6_17094
; %bb.17093:                            ;   in Loop: Header=BB6_16763 Depth=2
	v_or_b32_e32 v0, 0x7b, v5
	scratch_store_b32 off, v0, s33 offset:308 ; 4-byte Folded Spill
.LBB6_17094:                            ;   in Loop: Header=BB6_16763 Depth=2
	s_wait_xcnt 0x0
	s_or_b32 exec_lo, exec_lo, s10
                                        ; implicit-def: $vgpr0
                                        ; implicit-def: $vgpr1
.LBB6_17095:                            ;   in Loop: Header=BB6_16763 Depth=2
	s_and_not1_saveexec_b32 s10, s28
	s_cbranch_execz .LBB6_17101
; %bb.17096:                            ;   in Loop: Header=BB6_16763 Depth=2
	s_mov_b32 s28, exec_lo
                                        ; implicit-def: $vgpr2
                                        ; kill: killed $vgpr2
	v_cmpx_ne_u64_e32 0, v[54:55]
	s_xor_b32 s28, exec_lo, s28
	s_cbranch_execz .LBB6_17098
; %bb.17097:                            ;   in Loop: Header=BB6_16763 Depth=2
	v_or_b32_e32 v0, 0x7f, v1
	scratch_store_b32 off, v0, s33 offset:308 ; 4-byte Folded Spill
                                        ; implicit-def: $vgpr0
.LBB6_17098:                            ;   in Loop: Header=BB6_16763 Depth=2
	s_wait_xcnt 0x0
	s_and_not1_saveexec_b32 s28, s28
	s_cbranch_execz .LBB6_17100
; %bb.17099:                            ;   in Loop: Header=BB6_16763 Depth=2
	v_cmp_lt_i32_e32 vcc_lo, -1, v0
	v_cndmask_b32_e32 v0, 0xfc, v30, vcc_lo
	scratch_store_b32 off, v0, s33 offset:308 ; 4-byte Folded Spill
.LBB6_17100:                            ;   in Loop: Header=BB6_16763 Depth=2
	s_wait_xcnt 0x0
	s_or_b32 exec_lo, exec_lo, s28
.LBB6_17101:                            ;   in Loop: Header=BB6_16763 Depth=2
	s_delay_alu instid0(SALU_CYCLE_1)
	s_or_b32 exec_lo, exec_lo, s10
	v_mov_b32_e32 v1, 0
	s_mov_b32 s10, exec_lo
	v_cmpx_lt_u32_e32 0xffffff, v12
	s_cbranch_execz .LBB6_17111
; %bb.17102:                            ;   in Loop: Header=BB6_16763 Depth=2
	v_lshrrev_b32_e32 v0, 24, v12
	v_bfrev_b32_e32 v1, 1
	s_mov_b32 s28, exec_lo
	s_delay_alu instid0(VALU_DEP_2)
	v_cmpx_ne_u32_e32 0x80, v0
	s_cbranch_execz .LBB6_17110
; %bb.17103:                            ;   in Loop: Header=BB6_16763 Depth=2
	v_and_b32_e32 v1, 0x7c000000, v12
	v_bfe_u32 v2, v12, 24, 2
	s_delay_alu instid0(VALU_DEP_2) | instskip(SKIP_1) | instid1(SALU_CYCLE_1)
	v_cmp_ne_u32_e32 vcc_lo, 0x7c000000, v1
                                        ; implicit-def: $vgpr1
	s_and_saveexec_b32 s29, vcc_lo
	s_xor_b32 s29, exec_lo, s29
	s_cbranch_execz .LBB6_17107
; %bb.17104:                            ;   in Loop: Header=BB6_16763 Depth=2
	v_bfe_u32 v1, v12, 26, 5
	s_mov_b32 s40, exec_lo
	s_delay_alu instid0(VALU_DEP_1)
	v_cmpx_eq_u32_e32 0, v1
; %bb.17105:                            ;   in Loop: Header=BB6_16763 Depth=2
	v_clz_i32_u32_e32 v1, v2
	s_delay_alu instid0(VALU_DEP_1) | instskip(NEXT) | instid1(VALU_DEP_1)
	v_min_u32_e32 v2, 32, v1
	v_subrev_nc_u32_e32 v1, 29, v2
	s_delay_alu instid0(VALU_DEP_1) | instskip(NEXT) | instid1(VALU_DEP_1)
	v_lshlrev_b64_e32 v[0:1], v1, v[0:1]
	v_dual_sub_nc_u32 v1, 30, v2 :: v_dual_bitop2_b32 v2, 3, v0 bitop3:0x40
; %bb.17106:                            ;   in Loop: Header=BB6_16763 Depth=2
	s_or_b32 exec_lo, exec_lo, s40
	v_and_b32_e32 v0, 0x80000000, v12
	s_delay_alu instid0(VALU_DEP_1) | instskip(NEXT) | instid1(VALU_DEP_1)
	v_lshl_add_u32 v0, v1, 23, v0
	v_lshl_or_b32 v0, v2, 21, v0
                                        ; implicit-def: $vgpr2
	s_delay_alu instid0(VALU_DEP_1)
	v_add_nc_u32_e32 v1, 0x38000000, v0
.LBB6_17107:                            ;   in Loop: Header=BB6_16763 Depth=2
	s_and_not1_saveexec_b32 s29, s29
; %bb.17108:                            ;   in Loop: Header=BB6_16763 Depth=2
	v_cmp_lt_i32_e32 vcc_lo, -1, v12
	v_cndmask_b32_e32 v0, 0xff800000, v29, vcc_lo
	v_cmp_eq_u32_e32 vcc_lo, 0, v2
	s_delay_alu instid0(VALU_DEP_2)
	v_cndmask_b32_e32 v1, 0x7f800001, v0, vcc_lo
; %bb.17109:                            ;   in Loop: Header=BB6_16763 Depth=2
	s_or_b32 exec_lo, exec_lo, s29
.LBB6_17110:                            ;   in Loop: Header=BB6_16763 Depth=2
	s_delay_alu instid0(SALU_CYCLE_1)
	s_or_b32 exec_lo, exec_lo, s28
.LBB6_17111:                            ;   in Loop: Header=BB6_16763 Depth=2
	s_delay_alu instid0(SALU_CYCLE_1) | instskip(NEXT) | instid1(VALU_DEP_1)
	s_or_b32 exec_lo, exec_lo, s10
	v_dual_mul_f32 v0, s27, v1 :: v_dual_mov_b32 v3, v55
	s_delay_alu instid0(VALU_DEP_1) | instskip(SKIP_2) | instid1(VALU_DEP_3)
	v_and_b32_e32 v2, 0x7f800000, v0
	v_and_b32_e32 v54, 0x7fffff, v0
	v_lshrrev_b32_e32 v1, 24, v0
	v_cmp_ne_u64_e32 vcc_lo, 0x7f800000, v[2:3]
                                        ; implicit-def: $vgpr2
                                        ; kill: killed $vgpr2
	s_and_saveexec_b32 s10, vcc_lo
	s_delay_alu instid0(SALU_CYCLE_1)
	s_xor_b32 s28, exec_lo, s10
	s_cbranch_execz .LBB6_17125
; %bb.17112:                            ;   in Loop: Header=BB6_16763 Depth=2
	v_and_b32_e32 v2, 0x7fffffff, v0
	v_mov_b32_e32 v3, v55
	v_and_b32_e32 v5, 0x80, v1
                                        ; implicit-def: $vgpr1
                                        ; kill: killed $vgpr1
	s_mov_b32 s10, exec_lo
	s_delay_alu instid0(VALU_DEP_2)
	v_cmpx_gt_u64_e32 0x47600001, v[2:3]
	s_xor_b32 s29, exec_lo, s10
	s_cbranch_execz .LBB6_17122
; %bb.17113:                            ;   in Loop: Header=BB6_16763 Depth=2
	v_mov_b32_e32 v1, 0
	s_mov_b32 s40, exec_lo
	scratch_store_b32 off, v1, s33 offset:316 ; 4-byte Folded Spill
	s_wait_xcnt 0x0
	v_cmpx_ne_u32_e32 0, v0
	s_cbranch_execz .LBB6_17121
; %bb.17114:                            ;   in Loop: Header=BB6_16763 Depth=2
	v_bfe_u32 v6, v0, 23, 8
	v_or_b32_e32 v2, 0x800000, v54
	s_mov_b32 s41, exec_lo
	s_delay_alu instid0(VALU_DEP_2) | instskip(SKIP_1) | instid1(VALU_DEP_2)
	v_dual_mov_b32 v3, v55 :: v_dual_sub_nc_u32 v0, 0x71, v6
	v_cmp_gt_u32_e32 vcc_lo, 0x72, v6
	v_cndmask_b32_e32 v0, 0, v0, vcc_lo
	v_cmp_eq_u32_e32 vcc_lo, 0, v6
	s_delay_alu instid0(VALU_DEP_2) | instskip(NEXT) | instid1(VALU_DEP_1)
	v_cndmask_b32_e64 v7, v0, 0x70, vcc_lo
	v_dual_cndmask_b32 v2, v2, v54, vcc_lo :: v_dual_add_nc_u32 v0, 21, v7
	v_add_nc_u32_e32 v8, 20, v7
	s_delay_alu instid0(VALU_DEP_2) | instskip(NEXT) | instid1(VALU_DEP_2)
	v_lshlrev_b64_e64 v[0:1], v0, -1
	v_lshlrev_b64_e64 v[8:9], v8, 1
	s_delay_alu instid0(VALU_DEP_2) | instskip(NEXT) | instid1(VALU_DEP_3)
	v_bfi_b32 v11, v1, 0, 0
	v_bfi_b32 v10, v0, 0, v2
	v_lshrrev_b64 v[0:1], v7, v[2:3]
	s_delay_alu instid0(VALU_DEP_1) | instskip(NEXT) | instid1(VALU_DEP_3)
	v_mov_b64_e32 v[2:3], v[0:1]
	v_cmpx_eq_u64_e64 v[10:11], v[8:9]
; %bb.17115:                            ;   in Loop: Header=BB6_16763 Depth=2
	v_bfe_u32 v2, v0, 21, 1
	v_mov_b32_e32 v3, v55
	s_delay_alu instid0(VALU_DEP_1) | instskip(NEXT) | instid1(VALU_DEP_1)
	v_add_nc_u64_e32 v[2:3], v[0:1], v[2:3]
	v_add_nc_u64_e32 v[2:3], -1, v[2:3]
; %bb.17116:                            ;   in Loop: Header=BB6_16763 Depth=2
	s_or_b32 exec_lo, exec_lo, s41
	v_add_nc_u32_e32 v1, 0xffffff81, v6
	v_lshrrev_b32_e32 v3, 23, v0
	s_mov_b32 s10, exec_lo
	s_delay_alu instid0(VALU_DEP_2) | instskip(NEXT) | instid1(VALU_DEP_1)
	v_cndmask_b32_e64 v1, v1, 0xffffff82, vcc_lo
	v_add3_u32 v3, v7, v1, v3
	v_and_b32_e32 v1, 0x1fffff, v2
                                        ; implicit-def: $vgpr2
	s_delay_alu instid0(VALU_DEP_1) | instskip(NEXT) | instid1(VALU_DEP_1)
	v_dual_add_nc_u32 v6, 14, v3 :: v_dual_add_nc_u32 v54, v1, v0
                                        ; implicit-def: $vgpr0_vgpr1
	v_cmpx_ne_u32_e32 0, v6
	s_xor_b32 s10, exec_lo, s10
; %bb.17117:                            ;   in Loop: Header=BB6_16763 Depth=2
	s_delay_alu instid0(VALU_DEP_2) | instskip(SKIP_1) | instid1(VALU_DEP_1)
	v_cmp_lt_u64_e32 vcc_lo, 0xffffff, v[54:55]
	v_add_nc_u32_e32 v0, 15, v3
	v_cndmask_b32_e32 v2, v6, v0, vcc_lo
	v_cndmask_b32_e64 v0, 0, 1, vcc_lo
	s_delay_alu instid0(VALU_DEP_1)
	v_lshrrev_b64 v[0:1], v0, v[54:55]
; %bb.17118:                            ;   in Loop: Header=BB6_16763 Depth=2
	s_and_not1_saveexec_b32 s10, s10
; %bb.17119:                            ;   in Loop: Header=BB6_16763 Depth=2
	v_mov_b64_e32 v[0:1], v[54:55]
	v_bfe_u32 v2, v54, 23, 1
; %bb.17120:                            ;   in Loop: Header=BB6_16763 Depth=2
	s_or_b32 exec_lo, exec_lo, s10
	s_delay_alu instid0(VALU_DEP_2) | instskip(NEXT) | instid1(VALU_DEP_2)
	v_lshrrev_b64 v[0:1], 21, v[0:1]
	v_cmp_gt_i32_e32 vcc_lo, 32, v2
	v_min_i32_e32 v3, 31, v2
	v_cmp_eq_u32_e64 s10, 0, v2
	s_delay_alu instid0(VALU_DEP_2) | instskip(SKIP_1) | instid1(VALU_DEP_2)
	v_dual_cndmask_b32 v1, 0, v1, vcc_lo :: v_dual_lshlrev_b32 v3, 2, v3
	v_cndmask_b32_e32 v0, 3, v0, vcc_lo
	v_and_b32_e32 v3, 0xfc, v3
	s_delay_alu instid0(VALU_DEP_2) | instskip(NEXT) | instid1(VALU_DEP_2)
	v_cmp_eq_u64_e32 vcc_lo, 0, v[0:1]
	v_and_or_b32 v0, v0, 3, v3
	s_and_b32 s10, s10, vcc_lo
	s_delay_alu instid0(VALU_DEP_1) | instid1(SALU_CYCLE_1)
	v_cndmask_b32_e64 v0, v0, 0, s10
	s_delay_alu instid0(VALU_DEP_1)
	v_or_b32_e32 v0, v0, v5
	scratch_store_b32 off, v0, s33 offset:316 ; 4-byte Folded Spill
.LBB6_17121:                            ;   in Loop: Header=BB6_16763 Depth=2
	s_wait_xcnt 0x0
	s_or_b32 exec_lo, exec_lo, s40
                                        ; implicit-def: $vgpr5
.LBB6_17122:                            ;   in Loop: Header=BB6_16763 Depth=2
	s_and_not1_saveexec_b32 s10, s29
	s_cbranch_execz .LBB6_17124
; %bb.17123:                            ;   in Loop: Header=BB6_16763 Depth=2
	v_or_b32_e32 v0, 0x7b, v5
	scratch_store_b32 off, v0, s33 offset:316 ; 4-byte Folded Spill
.LBB6_17124:                            ;   in Loop: Header=BB6_16763 Depth=2
	s_wait_xcnt 0x0
	s_or_b32 exec_lo, exec_lo, s10
                                        ; implicit-def: $vgpr0
                                        ; implicit-def: $vgpr1
.LBB6_17125:                            ;   in Loop: Header=BB6_16763 Depth=2
	s_and_not1_saveexec_b32 s10, s28
	s_cbranch_execz .LBB6_17131
; %bb.17126:                            ;   in Loop: Header=BB6_16763 Depth=2
	s_mov_b32 s28, exec_lo
                                        ; implicit-def: $vgpr2
                                        ; kill: killed $vgpr2
	v_cmpx_ne_u64_e32 0, v[54:55]
	s_xor_b32 s28, exec_lo, s28
	s_cbranch_execz .LBB6_17128
; %bb.17127:                            ;   in Loop: Header=BB6_16763 Depth=2
	v_or_b32_e32 v0, 0x7f, v1
	scratch_store_b32 off, v0, s33 offset:316 ; 4-byte Folded Spill
                                        ; implicit-def: $vgpr0
.LBB6_17128:                            ;   in Loop: Header=BB6_16763 Depth=2
	s_wait_xcnt 0x0
	s_and_not1_saveexec_b32 s28, s28
	s_cbranch_execz .LBB6_17130
; %bb.17129:                            ;   in Loop: Header=BB6_16763 Depth=2
	v_cmp_lt_i32_e32 vcc_lo, -1, v0
	v_cndmask_b32_e32 v0, 0xfc, v30, vcc_lo
	scratch_store_b32 off, v0, s33 offset:316 ; 4-byte Folded Spill
.LBB6_17130:                            ;   in Loop: Header=BB6_16763 Depth=2
	s_wait_xcnt 0x0
	s_or_b32 exec_lo, exec_lo, s28
.LBB6_17131:                            ;   in Loop: Header=BB6_16763 Depth=2
	s_delay_alu instid0(SALU_CYCLE_1) | instskip(SKIP_3) | instid1(VALU_DEP_2)
	s_or_b32 exec_lo, exec_lo, s10
	v_and_b32_e32 v1, 0xff, v13
	v_dual_mov_b32 v54, v13 :: v_dual_mov_b32 v0, 0
	s_mov_b32 s10, exec_lo
	v_cmpx_ne_u16_e32 0, v1
	s_cbranch_execz .LBB6_17141
; %bb.17132:                            ;   in Loop: Header=BB6_16763 Depth=2
	v_bfrev_b32_e32 v0, 1
	s_mov_b32 s28, exec_lo
	v_cmpx_ne_u16_e32 0x80, v1
	s_cbranch_execz .LBB6_17140
; %bb.17133:                            ;   in Loop: Header=BB6_16763 Depth=2
	v_and_b32_e32 v0, 0x7c, v13
	v_and_b32_e32 v1, 3, v13
	s_delay_alu instid0(VALU_DEP_2) | instskip(SKIP_1) | instid1(SALU_CYCLE_1)
	v_cmp_ne_u32_e32 vcc_lo, 0x7c, v0
                                        ; implicit-def: $vgpr0
	s_and_saveexec_b32 s29, vcc_lo
	s_xor_b32 s29, exec_lo, s29
	s_cbranch_execz .LBB6_17137
; %bb.17134:                            ;   in Loop: Header=BB6_16763 Depth=2
	v_bfe_u32 v0, v13, 2, 5
	s_mov_b32 s40, exec_lo
	s_delay_alu instid0(VALU_DEP_1)
	v_cmpx_eq_u32_e32 0, v0
; %bb.17135:                            ;   in Loop: Header=BB6_16763 Depth=2
	v_clz_i32_u32_e32 v0, v1
	s_delay_alu instid0(VALU_DEP_1) | instskip(NEXT) | instid1(VALU_DEP_1)
	v_min_u32_e32 v0, 32, v0
	v_subrev_nc_u32_e32 v1, 29, v0
	s_delay_alu instid0(VALU_DEP_1) | instskip(NEXT) | instid1(VALU_DEP_1)
	v_lshlrev_b64_e32 v[2:3], v1, v[54:55]
	v_dual_sub_nc_u32 v0, 30, v0 :: v_dual_bitop2_b32 v1, 3, v2 bitop3:0x40
; %bb.17136:                            ;   in Loop: Header=BB6_16763 Depth=2
	s_or_b32 exec_lo, exec_lo, s40
	v_lshlrev_b32_e32 v2, 24, v13
	s_delay_alu instid0(VALU_DEP_1) | instskip(NEXT) | instid1(VALU_DEP_1)
	v_and_b32_e32 v2, 0x80000000, v2
	v_lshl_add_u32 v0, v0, 23, v2
	s_delay_alu instid0(VALU_DEP_1) | instskip(NEXT) | instid1(VALU_DEP_1)
	v_lshl_or_b32 v0, v1, 21, v0
                                        ; implicit-def: $vgpr1
	v_add_nc_u32_e32 v0, 0x38000000, v0
.LBB6_17137:                            ;   in Loop: Header=BB6_16763 Depth=2
	s_and_not1_saveexec_b32 s29, s29
; %bb.17138:                            ;   in Loop: Header=BB6_16763 Depth=2
	v_bfe_i32 v0, v13, 0, 8
	s_delay_alu instid0(VALU_DEP_1) | instskip(SKIP_2) | instid1(VALU_DEP_2)
	v_cmp_lt_i16_e32 vcc_lo, -1, v0
	v_cndmask_b32_e32 v0, 0xff800000, v29, vcc_lo
	v_cmp_eq_u32_e32 vcc_lo, 0, v1
	v_cndmask_b32_e32 v0, 0x7f800001, v0, vcc_lo
; %bb.17139:                            ;   in Loop: Header=BB6_16763 Depth=2
	s_or_b32 exec_lo, exec_lo, s29
.LBB6_17140:                            ;   in Loop: Header=BB6_16763 Depth=2
	s_delay_alu instid0(SALU_CYCLE_1)
	s_or_b32 exec_lo, exec_lo, s28
.LBB6_17141:                            ;   in Loop: Header=BB6_16763 Depth=2
	s_delay_alu instid0(SALU_CYCLE_1) | instskip(NEXT) | instid1(VALU_DEP_1)
	s_or_b32 exec_lo, exec_lo, s10
	v_dual_mul_f32 v2, s27, v0 :: v_dual_mov_b32 v7, v55
	v_mov_b32_e32 v1, v55
                                        ; implicit-def: $vgpr5
                                        ; kill: killed $vgpr5
	s_mov_b32 s10, exec_lo
	s_delay_alu instid0(VALU_DEP_2) | instskip(SKIP_2) | instid1(VALU_DEP_3)
	v_and_b32_e32 v6, 0x7f800000, v2
	v_and_b32_e32 v0, 0x7fffff, v2
	v_lshrrev_b32_e32 v3, 24, v2
	v_cmpx_ne_u64_e32 0x7f800000, v[6:7]
	s_xor_b32 s28, exec_lo, s10
	s_cbranch_execz .LBB6_17155
; %bb.17142:                            ;   in Loop: Header=BB6_16763 Depth=2
	v_and_b32_e32 v6, 0x7fffffff, v2
	v_mov_b32_e32 v7, v55
	v_and_b32_e32 v5, 0x80, v3
                                        ; implicit-def: $vgpr3
                                        ; kill: killed $vgpr3
	s_mov_b32 s10, exec_lo
	s_delay_alu instid0(VALU_DEP_2)
	v_cmpx_gt_u64_e32 0x47600001, v[6:7]
	s_xor_b32 s29, exec_lo, s10
	s_cbranch_execz .LBB6_17152
; %bb.17143:                            ;   in Loop: Header=BB6_16763 Depth=2
	v_mov_b32_e32 v3, 0
	s_mov_b32 s40, exec_lo
	scratch_store_b32 off, v3, s33 offset:324 ; 4-byte Folded Spill
	s_wait_xcnt 0x0
	v_cmpx_ne_u32_e32 0, v2
	s_cbranch_execz .LBB6_17151
; %bb.17144:                            ;   in Loop: Header=BB6_16763 Depth=2
	v_bfe_u32 v6, v2, 23, 8
	v_or_b32_e32 v8, 0x800000, v0
	s_delay_alu instid0(VALU_DEP_2) | instskip(SKIP_1) | instid1(VALU_DEP_2)
	v_sub_nc_u32_e32 v2, 0x71, v6
	v_cmp_gt_u32_e32 vcc_lo, 0x72, v6
	v_cndmask_b32_e32 v2, 0, v2, vcc_lo
	v_cmp_eq_u32_e32 vcc_lo, 0, v6
	s_delay_alu instid0(VALU_DEP_2) | instskip(NEXT) | instid1(VALU_DEP_1)
	v_cndmask_b32_e64 v7, v2, 0x70, vcc_lo
	v_dual_cndmask_b32 v0, v8, v0, vcc_lo :: v_dual_add_nc_u32 v2, 21, v7
	v_add_nc_u32_e32 v9, 20, v7
	s_delay_alu instid0(VALU_DEP_2) | instskip(NEXT) | instid1(VALU_DEP_2)
	v_lshlrev_b64_e64 v[2:3], v2, -1
	v_lshlrev_b64_e64 v[8:9], v9, 1
	s_delay_alu instid0(VALU_DEP_2) | instskip(SKIP_1) | instid1(VALU_DEP_4)
	v_bfi_b32 v2, v2, 0, v0
	v_lshrrev_b64 v[0:1], v7, v[0:1]
	v_bfi_b32 v3, v3, 0, 0
	s_delay_alu instid0(VALU_DEP_1) | instskip(NEXT) | instid1(VALU_DEP_3)
	v_cmp_eq_u64_e64 s10, v[2:3], v[8:9]
	v_mov_b64_e32 v[2:3], v[0:1]
	s_and_saveexec_b32 s41, s10
; %bb.17145:                            ;   in Loop: Header=BB6_16763 Depth=2
	v_bfe_u32 v2, v0, 21, 1
	v_mov_b32_e32 v3, v55
	s_delay_alu instid0(VALU_DEP_1) | instskip(NEXT) | instid1(VALU_DEP_1)
	v_add_nc_u64_e32 v[2:3], v[0:1], v[2:3]
	v_add_nc_u64_e32 v[2:3], -1, v[2:3]
; %bb.17146:                            ;   in Loop: Header=BB6_16763 Depth=2
	s_or_b32 exec_lo, exec_lo, s41
	v_add_nc_u32_e32 v1, 0xffffff81, v6
	v_lshrrev_b32_e32 v3, 23, v0
	s_mov_b32 s10, exec_lo
	s_delay_alu instid0(VALU_DEP_2) | instskip(NEXT) | instid1(VALU_DEP_1)
	v_cndmask_b32_e64 v1, v1, 0xffffff82, vcc_lo
	v_add3_u32 v3, v7, v1, v3
	v_and_b32_e32 v1, 0x1fffff, v2
                                        ; implicit-def: $vgpr2
	s_delay_alu instid0(VALU_DEP_1) | instskip(SKIP_1) | instid1(VALU_DEP_2)
	v_dual_add_nc_u32 v6, 14, v3 :: v_dual_add_nc_u32 v0, v1, v0
	v_mov_b32_e32 v1, v55
	v_cmpx_ne_u32_e32 0, v6
	s_xor_b32 s10, exec_lo, s10
; %bb.17147:                            ;   in Loop: Header=BB6_16763 Depth=2
	s_delay_alu instid0(VALU_DEP_2) | instskip(SKIP_2) | instid1(VALU_DEP_2)
	v_cmp_lt_u64_e32 vcc_lo, 0xffffff, v[0:1]
	v_add_nc_u32_e32 v2, 15, v3
	v_cndmask_b32_e64 v3, 0, 1, vcc_lo
	v_cndmask_b32_e32 v2, v6, v2, vcc_lo
	s_delay_alu instid0(VALU_DEP_2)
	v_lshrrev_b64 v[0:1], v3, v[0:1]
; %bb.17148:                            ;   in Loop: Header=BB6_16763 Depth=2
	s_and_not1_saveexec_b32 s10, s10
; %bb.17149:                            ;   in Loop: Header=BB6_16763 Depth=2
	s_delay_alu instid0(VALU_DEP_1)
	v_bfe_u32 v2, v0, 23, 1
; %bb.17150:                            ;   in Loop: Header=BB6_16763 Depth=2
	s_or_b32 exec_lo, exec_lo, s10
	s_delay_alu instid0(VALU_DEP_2) | instskip(NEXT) | instid1(VALU_DEP_2)
	v_lshrrev_b64 v[0:1], 21, v[0:1]
	v_cmp_gt_i32_e32 vcc_lo, 32, v2
	v_min_i32_e32 v3, 31, v2
	v_cmp_eq_u32_e64 s10, 0, v2
	s_delay_alu instid0(VALU_DEP_2) | instskip(SKIP_1) | instid1(VALU_DEP_2)
	v_dual_cndmask_b32 v1, 0, v1, vcc_lo :: v_dual_lshlrev_b32 v3, 2, v3
	v_cndmask_b32_e32 v0, 3, v0, vcc_lo
	v_and_b32_e32 v3, 0xfc, v3
	s_delay_alu instid0(VALU_DEP_2) | instskip(NEXT) | instid1(VALU_DEP_2)
	v_cmp_eq_u64_e32 vcc_lo, 0, v[0:1]
	v_and_or_b32 v0, v0, 3, v3
	s_and_b32 s10, s10, vcc_lo
	s_delay_alu instid0(VALU_DEP_1) | instid1(SALU_CYCLE_1)
	v_cndmask_b32_e64 v0, v0, 0, s10
	s_delay_alu instid0(VALU_DEP_1)
	v_or_b32_e32 v0, v0, v5
	scratch_store_b32 off, v0, s33 offset:324 ; 4-byte Folded Spill
.LBB6_17151:                            ;   in Loop: Header=BB6_16763 Depth=2
	s_wait_xcnt 0x0
	s_or_b32 exec_lo, exec_lo, s40
                                        ; implicit-def: $vgpr5
.LBB6_17152:                            ;   in Loop: Header=BB6_16763 Depth=2
	s_and_not1_saveexec_b32 s10, s29
	s_cbranch_execz .LBB6_17154
; %bb.17153:                            ;   in Loop: Header=BB6_16763 Depth=2
	v_or_b32_e32 v0, 0x7b, v5
	scratch_store_b32 off, v0, s33 offset:324 ; 4-byte Folded Spill
.LBB6_17154:                            ;   in Loop: Header=BB6_16763 Depth=2
	s_wait_xcnt 0x0
	s_or_b32 exec_lo, exec_lo, s10
                                        ; implicit-def: $vgpr2
                                        ; implicit-def: $vgpr0_vgpr1
                                        ; implicit-def: $vgpr3
.LBB6_17155:                            ;   in Loop: Header=BB6_16763 Depth=2
	s_and_not1_saveexec_b32 s10, s28
	s_cbranch_execz .LBB6_17161
; %bb.17156:                            ;   in Loop: Header=BB6_16763 Depth=2
	v_cmp_ne_u64_e32 vcc_lo, 0, v[0:1]
                                        ; implicit-def: $vgpr0
                                        ; kill: killed $vgpr0
	s_and_saveexec_b32 s28, vcc_lo
	s_delay_alu instid0(SALU_CYCLE_1)
	s_xor_b32 s28, exec_lo, s28
	s_cbranch_execz .LBB6_17158
; %bb.17157:                            ;   in Loop: Header=BB6_16763 Depth=2
	v_or_b32_e32 v0, 0x7f, v3
                                        ; implicit-def: $vgpr2
	scratch_store_b32 off, v0, s33 offset:324 ; 4-byte Folded Spill
.LBB6_17158:                            ;   in Loop: Header=BB6_16763 Depth=2
	s_wait_xcnt 0x0
	s_and_not1_saveexec_b32 s28, s28
	s_cbranch_execz .LBB6_17160
; %bb.17159:                            ;   in Loop: Header=BB6_16763 Depth=2
	v_cmp_lt_i32_e32 vcc_lo, -1, v2
	v_cndmask_b32_e32 v0, 0xfc, v30, vcc_lo
	scratch_store_b32 off, v0, s33 offset:324 ; 4-byte Folded Spill
.LBB6_17160:                            ;   in Loop: Header=BB6_16763 Depth=2
	s_wait_xcnt 0x0
	s_or_b32 exec_lo, exec_lo, s28
.LBB6_17161:                            ;   in Loop: Header=BB6_16763 Depth=2
	s_delay_alu instid0(SALU_CYCLE_1) | instskip(SKIP_3) | instid1(VALU_DEP_2)
	s_or_b32 exec_lo, exec_lo, s10
	v_lshrrev_b16 v0, 8, v54
	v_mov_b32_e32 v2, 0
	s_mov_b32 s10, exec_lo
	v_cmpx_ne_u16_e32 0, v0
	s_cbranch_execz .LBB6_17171
; %bb.17162:                            ;   in Loop: Header=BB6_16763 Depth=2
	v_bfrev_b32_e32 v2, 1
	s_mov_b32 s28, exec_lo
	v_cmpx_ne_u16_e32 0x80, v0
	s_cbranch_execz .LBB6_17170
; %bb.17163:                            ;   in Loop: Header=BB6_16763 Depth=2
	v_and_b32_e32 v3, 0xffff, v0
	s_delay_alu instid0(VALU_DEP_1) | instskip(SKIP_1) | instid1(VALU_DEP_2)
	v_and_b32_e32 v2, 0x7c, v3
	v_and_b32_e32 v1, 3, v3
	v_cmp_ne_u32_e32 vcc_lo, 0x7c, v2
                                        ; implicit-def: $vgpr2
	s_and_saveexec_b32 s29, vcc_lo
	s_delay_alu instid0(SALU_CYCLE_1)
	s_xor_b32 s29, exec_lo, s29
	s_cbranch_execz .LBB6_17167
; %bb.17164:                            ;   in Loop: Header=BB6_16763 Depth=2
	v_bfe_u32 v2, v3, 2, 5
	s_mov_b32 s40, exec_lo
	s_delay_alu instid0(VALU_DEP_1)
	v_cmpx_eq_u32_e32 0, v2
	s_cbranch_execz .LBB6_17166
; %bb.17165:                            ;   in Loop: Header=BB6_16763 Depth=2
	v_clz_i32_u32_e32 v1, v1
	s_delay_alu instid0(VALU_DEP_1) | instskip(SKIP_1) | instid1(VALU_DEP_2)
	v_min_u32_e32 v2, 32, v1
	v_mov_b32_e32 v1, v55
	v_subrev_nc_u32_e32 v3, 29, v2
	v_sub_nc_u32_e32 v2, 30, v2
	s_delay_alu instid0(VALU_DEP_2) | instskip(NEXT) | instid1(VALU_DEP_1)
	v_lshlrev_b64_e32 v[0:1], v3, v[0:1]
	v_and_b32_e32 v1, 3, v0
.LBB6_17166:                            ;   in Loop: Header=BB6_16763 Depth=2
	s_or_b32 exec_lo, exec_lo, s40
	v_lshlrev_b32_e32 v0, 16, v54
	s_delay_alu instid0(VALU_DEP_1) | instskip(NEXT) | instid1(VALU_DEP_1)
	v_and_b32_e32 v0, 0x80000000, v0
	v_lshl_add_u32 v0, v2, 23, v0
	s_delay_alu instid0(VALU_DEP_1) | instskip(NEXT) | instid1(VALU_DEP_1)
	v_lshl_or_b32 v0, v1, 21, v0
                                        ; implicit-def: $vgpr1
	v_add_nc_u32_e32 v2, 0x38000000, v0
.LBB6_17167:                            ;   in Loop: Header=BB6_16763 Depth=2
	s_and_not1_saveexec_b32 s29, s29
; %bb.17168:                            ;   in Loop: Header=BB6_16763 Depth=2
	v_cmp_lt_i16_e32 vcc_lo, -1, v54
	v_cndmask_b32_e32 v0, 0xff800000, v29, vcc_lo
	v_cmp_eq_u32_e32 vcc_lo, 0, v1
	s_delay_alu instid0(VALU_DEP_2)
	v_cndmask_b32_e32 v2, 0x7f800001, v0, vcc_lo
; %bb.17169:                            ;   in Loop: Header=BB6_16763 Depth=2
	s_or_b32 exec_lo, exec_lo, s29
.LBB6_17170:                            ;   in Loop: Header=BB6_16763 Depth=2
	s_delay_alu instid0(SALU_CYCLE_1)
	s_or_b32 exec_lo, exec_lo, s28
.LBB6_17171:                            ;   in Loop: Header=BB6_16763 Depth=2
	s_delay_alu instid0(SALU_CYCLE_1) | instskip(NEXT) | instid1(VALU_DEP_1)
	s_or_b32 exec_lo, exec_lo, s10
	v_dual_mul_f32 v0, s27, v2 :: v_dual_mov_b32 v3, v55
	s_delay_alu instid0(VALU_DEP_1) | instskip(SKIP_2) | instid1(VALU_DEP_3)
	v_and_b32_e32 v2, 0x7f800000, v0
	v_and_b32_e32 v54, 0x7fffff, v0
	v_lshrrev_b32_e32 v1, 24, v0
	v_cmp_ne_u64_e32 vcc_lo, 0x7f800000, v[2:3]
                                        ; implicit-def: $vgpr2
                                        ; kill: killed $vgpr2
	s_and_saveexec_b32 s10, vcc_lo
	s_delay_alu instid0(SALU_CYCLE_1)
	s_xor_b32 s28, exec_lo, s10
	s_cbranch_execz .LBB6_17185
; %bb.17172:                            ;   in Loop: Header=BB6_16763 Depth=2
	v_and_b32_e32 v2, 0x7fffffff, v0
	v_mov_b32_e32 v3, v55
	v_and_b32_e32 v5, 0x80, v1
                                        ; implicit-def: $vgpr1
                                        ; kill: killed $vgpr1
	s_mov_b32 s10, exec_lo
	s_delay_alu instid0(VALU_DEP_2)
	v_cmpx_gt_u64_e32 0x47600001, v[2:3]
	s_xor_b32 s29, exec_lo, s10
	s_cbranch_execz .LBB6_17182
; %bb.17173:                            ;   in Loop: Header=BB6_16763 Depth=2
	v_mov_b32_e32 v1, 0
	s_mov_b32 s40, exec_lo
	scratch_store_b32 off, v1, s33 offset:332 ; 4-byte Folded Spill
	s_wait_xcnt 0x0
	v_cmpx_ne_u32_e32 0, v0
	s_cbranch_execz .LBB6_17181
; %bb.17174:                            ;   in Loop: Header=BB6_16763 Depth=2
	v_bfe_u32 v6, v0, 23, 8
	v_or_b32_e32 v2, 0x800000, v54
	s_mov_b32 s41, exec_lo
	s_delay_alu instid0(VALU_DEP_2) | instskip(SKIP_1) | instid1(VALU_DEP_2)
	v_dual_mov_b32 v3, v55 :: v_dual_sub_nc_u32 v0, 0x71, v6
	v_cmp_gt_u32_e32 vcc_lo, 0x72, v6
	v_cndmask_b32_e32 v0, 0, v0, vcc_lo
	v_cmp_eq_u32_e32 vcc_lo, 0, v6
	s_delay_alu instid0(VALU_DEP_2) | instskip(NEXT) | instid1(VALU_DEP_1)
	v_cndmask_b32_e64 v7, v0, 0x70, vcc_lo
	v_dual_cndmask_b32 v2, v2, v54, vcc_lo :: v_dual_add_nc_u32 v0, 21, v7
	v_add_nc_u32_e32 v8, 20, v7
	s_delay_alu instid0(VALU_DEP_2) | instskip(NEXT) | instid1(VALU_DEP_2)
	v_lshlrev_b64_e64 v[0:1], v0, -1
	v_lshlrev_b64_e64 v[8:9], v8, 1
	s_delay_alu instid0(VALU_DEP_2) | instskip(NEXT) | instid1(VALU_DEP_3)
	v_bfi_b32 v11, v1, 0, 0
	v_bfi_b32 v10, v0, 0, v2
	v_lshrrev_b64 v[0:1], v7, v[2:3]
	s_delay_alu instid0(VALU_DEP_1) | instskip(NEXT) | instid1(VALU_DEP_3)
	v_mov_b64_e32 v[2:3], v[0:1]
	v_cmpx_eq_u64_e64 v[10:11], v[8:9]
; %bb.17175:                            ;   in Loop: Header=BB6_16763 Depth=2
	v_bfe_u32 v2, v0, 21, 1
	v_mov_b32_e32 v3, v55
	s_delay_alu instid0(VALU_DEP_1) | instskip(NEXT) | instid1(VALU_DEP_1)
	v_add_nc_u64_e32 v[2:3], v[0:1], v[2:3]
	v_add_nc_u64_e32 v[2:3], -1, v[2:3]
; %bb.17176:                            ;   in Loop: Header=BB6_16763 Depth=2
	s_or_b32 exec_lo, exec_lo, s41
	v_add_nc_u32_e32 v1, 0xffffff81, v6
	v_lshrrev_b32_e32 v3, 23, v0
	s_mov_b32 s10, exec_lo
	s_delay_alu instid0(VALU_DEP_2) | instskip(NEXT) | instid1(VALU_DEP_1)
	v_cndmask_b32_e64 v1, v1, 0xffffff82, vcc_lo
	v_add3_u32 v3, v7, v1, v3
	v_and_b32_e32 v1, 0x1fffff, v2
                                        ; implicit-def: $vgpr2
	s_delay_alu instid0(VALU_DEP_1) | instskip(NEXT) | instid1(VALU_DEP_1)
	v_dual_add_nc_u32 v6, 14, v3 :: v_dual_add_nc_u32 v54, v1, v0
                                        ; implicit-def: $vgpr0_vgpr1
	v_cmpx_ne_u32_e32 0, v6
	s_xor_b32 s10, exec_lo, s10
; %bb.17177:                            ;   in Loop: Header=BB6_16763 Depth=2
	s_delay_alu instid0(VALU_DEP_2) | instskip(SKIP_1) | instid1(VALU_DEP_1)
	v_cmp_lt_u64_e32 vcc_lo, 0xffffff, v[54:55]
	v_add_nc_u32_e32 v0, 15, v3
	v_cndmask_b32_e32 v2, v6, v0, vcc_lo
	v_cndmask_b32_e64 v0, 0, 1, vcc_lo
	s_delay_alu instid0(VALU_DEP_1)
	v_lshrrev_b64 v[0:1], v0, v[54:55]
; %bb.17178:                            ;   in Loop: Header=BB6_16763 Depth=2
	s_and_not1_saveexec_b32 s10, s10
; %bb.17179:                            ;   in Loop: Header=BB6_16763 Depth=2
	v_mov_b64_e32 v[0:1], v[54:55]
	v_bfe_u32 v2, v54, 23, 1
; %bb.17180:                            ;   in Loop: Header=BB6_16763 Depth=2
	s_or_b32 exec_lo, exec_lo, s10
	s_delay_alu instid0(VALU_DEP_2) | instskip(NEXT) | instid1(VALU_DEP_2)
	v_lshrrev_b64 v[0:1], 21, v[0:1]
	v_cmp_gt_i32_e32 vcc_lo, 32, v2
	v_min_i32_e32 v3, 31, v2
	v_cmp_eq_u32_e64 s10, 0, v2
	s_delay_alu instid0(VALU_DEP_2) | instskip(SKIP_1) | instid1(VALU_DEP_2)
	v_dual_cndmask_b32 v1, 0, v1, vcc_lo :: v_dual_lshlrev_b32 v3, 2, v3
	v_cndmask_b32_e32 v0, 3, v0, vcc_lo
	v_and_b32_e32 v3, 0xfc, v3
	s_delay_alu instid0(VALU_DEP_2) | instskip(NEXT) | instid1(VALU_DEP_2)
	v_cmp_eq_u64_e32 vcc_lo, 0, v[0:1]
	v_and_or_b32 v0, v0, 3, v3
	s_and_b32 s10, s10, vcc_lo
	s_delay_alu instid0(VALU_DEP_1) | instid1(SALU_CYCLE_1)
	v_cndmask_b32_e64 v0, v0, 0, s10
	s_delay_alu instid0(VALU_DEP_1)
	v_or_b32_e32 v0, v0, v5
	scratch_store_b32 off, v0, s33 offset:332 ; 4-byte Folded Spill
.LBB6_17181:                            ;   in Loop: Header=BB6_16763 Depth=2
	s_wait_xcnt 0x0
	s_or_b32 exec_lo, exec_lo, s40
                                        ; implicit-def: $vgpr5
.LBB6_17182:                            ;   in Loop: Header=BB6_16763 Depth=2
	s_and_not1_saveexec_b32 s10, s29
	s_cbranch_execz .LBB6_17184
; %bb.17183:                            ;   in Loop: Header=BB6_16763 Depth=2
	v_or_b32_e32 v0, 0x7b, v5
	scratch_store_b32 off, v0, s33 offset:332 ; 4-byte Folded Spill
.LBB6_17184:                            ;   in Loop: Header=BB6_16763 Depth=2
	s_wait_xcnt 0x0
	s_or_b32 exec_lo, exec_lo, s10
                                        ; implicit-def: $vgpr0
                                        ; implicit-def: $vgpr1
.LBB6_17185:                            ;   in Loop: Header=BB6_16763 Depth=2
	s_and_not1_saveexec_b32 s10, s28
	s_cbranch_execz .LBB6_17191
; %bb.17186:                            ;   in Loop: Header=BB6_16763 Depth=2
	s_mov_b32 s28, exec_lo
                                        ; implicit-def: $vgpr2
                                        ; kill: killed $vgpr2
	v_cmpx_ne_u64_e32 0, v[54:55]
	s_xor_b32 s28, exec_lo, s28
	s_cbranch_execz .LBB6_17188
; %bb.17187:                            ;   in Loop: Header=BB6_16763 Depth=2
	v_or_b32_e32 v0, 0x7f, v1
	scratch_store_b32 off, v0, s33 offset:332 ; 4-byte Folded Spill
                                        ; implicit-def: $vgpr0
.LBB6_17188:                            ;   in Loop: Header=BB6_16763 Depth=2
	s_wait_xcnt 0x0
	s_and_not1_saveexec_b32 s28, s28
	s_cbranch_execz .LBB6_17190
; %bb.17189:                            ;   in Loop: Header=BB6_16763 Depth=2
	v_cmp_lt_i32_e32 vcc_lo, -1, v0
	v_cndmask_b32_e32 v0, 0xfc, v30, vcc_lo
	scratch_store_b32 off, v0, s33 offset:332 ; 4-byte Folded Spill
.LBB6_17190:                            ;   in Loop: Header=BB6_16763 Depth=2
	s_wait_xcnt 0x0
	s_or_b32 exec_lo, exec_lo, s28
.LBB6_17191:                            ;   in Loop: Header=BB6_16763 Depth=2
	s_delay_alu instid0(SALU_CYCLE_1) | instskip(SKIP_2) | instid1(VALU_DEP_1)
	s_or_b32 exec_lo, exec_lo, s10
	v_dual_mov_b32 v1, 0 :: v_dual_lshrrev_b32 v0, 16, v13
	s_mov_b32 s10, exec_lo
	v_and_b32_e32 v2, 0xff, v0
	s_delay_alu instid0(VALU_DEP_1)
	v_cmpx_ne_u16_e32 0, v2
	s_cbranch_execz .LBB6_17201
; %bb.17192:                            ;   in Loop: Header=BB6_16763 Depth=2
	v_bfrev_b32_e32 v1, 1
	s_mov_b32 s28, exec_lo
	v_cmpx_ne_u16_e32 0x80, v2
	s_cbranch_execz .LBB6_17200
; %bb.17193:                            ;   in Loop: Header=BB6_16763 Depth=2
	v_and_b32_e32 v1, 0x7c0000, v13
	v_bfe_u32 v2, v13, 16, 2
	s_delay_alu instid0(VALU_DEP_2) | instskip(SKIP_1) | instid1(SALU_CYCLE_1)
	v_cmp_ne_u32_e32 vcc_lo, 0x7c0000, v1
                                        ; implicit-def: $vgpr1
	s_and_saveexec_b32 s29, vcc_lo
	s_xor_b32 s29, exec_lo, s29
	s_cbranch_execz .LBB6_17197
; %bb.17194:                            ;   in Loop: Header=BB6_16763 Depth=2
	v_bfe_u32 v1, v13, 18, 5
	s_mov_b32 s40, exec_lo
	s_delay_alu instid0(VALU_DEP_1)
	v_cmpx_eq_u32_e32 0, v1
; %bb.17195:                            ;   in Loop: Header=BB6_16763 Depth=2
	v_clz_i32_u32_e32 v1, v2
	s_delay_alu instid0(VALU_DEP_1) | instskip(NEXT) | instid1(VALU_DEP_1)
	v_min_u32_e32 v1, 32, v1
	v_subrev_nc_u32_e32 v2, 29, v1
	s_delay_alu instid0(VALU_DEP_1) | instskip(NEXT) | instid1(VALU_DEP_1)
	v_lshlrev_b64_e32 v[2:3], v2, v[0:1]
	v_dual_sub_nc_u32 v1, 30, v1 :: v_dual_bitop2_b32 v2, 3, v2 bitop3:0x40
; %bb.17196:                            ;   in Loop: Header=BB6_16763 Depth=2
	s_or_b32 exec_lo, exec_lo, s40
	v_lshlrev_b32_e32 v0, 24, v0
	s_delay_alu instid0(VALU_DEP_1) | instskip(NEXT) | instid1(VALU_DEP_1)
	v_and_b32_e32 v0, 0x80000000, v0
	v_lshl_add_u32 v0, v1, 23, v0
	s_delay_alu instid0(VALU_DEP_1) | instskip(NEXT) | instid1(VALU_DEP_1)
	v_lshl_or_b32 v0, v2, 21, v0
                                        ; implicit-def: $vgpr2
	v_add_nc_u32_e32 v1, 0x38000000, v0
                                        ; implicit-def: $vgpr0
.LBB6_17197:                            ;   in Loop: Header=BB6_16763 Depth=2
	s_and_not1_saveexec_b32 s29, s29
; %bb.17198:                            ;   in Loop: Header=BB6_16763 Depth=2
	v_bfe_i32 v0, v0, 0, 8
	s_delay_alu instid0(VALU_DEP_1) | instskip(SKIP_2) | instid1(VALU_DEP_2)
	v_cmp_lt_i16_e32 vcc_lo, -1, v0
	v_cndmask_b32_e32 v0, 0xff800000, v29, vcc_lo
	v_cmp_eq_u32_e32 vcc_lo, 0, v2
	v_cndmask_b32_e32 v1, 0x7f800001, v0, vcc_lo
; %bb.17199:                            ;   in Loop: Header=BB6_16763 Depth=2
	s_or_b32 exec_lo, exec_lo, s29
.LBB6_17200:                            ;   in Loop: Header=BB6_16763 Depth=2
	s_delay_alu instid0(SALU_CYCLE_1)
	s_or_b32 exec_lo, exec_lo, s28
.LBB6_17201:                            ;   in Loop: Header=BB6_16763 Depth=2
	s_delay_alu instid0(SALU_CYCLE_1) | instskip(NEXT) | instid1(VALU_DEP_1)
	s_or_b32 exec_lo, exec_lo, s10
	v_dual_mul_f32 v0, s27, v1 :: v_dual_mov_b32 v3, v55
	s_delay_alu instid0(VALU_DEP_1) | instskip(SKIP_2) | instid1(VALU_DEP_3)
	v_and_b32_e32 v2, 0x7f800000, v0
	v_and_b32_e32 v54, 0x7fffff, v0
	v_lshrrev_b32_e32 v1, 24, v0
	v_cmp_ne_u64_e32 vcc_lo, 0x7f800000, v[2:3]
                                        ; implicit-def: $vgpr2
                                        ; kill: killed $vgpr2
	s_and_saveexec_b32 s10, vcc_lo
	s_delay_alu instid0(SALU_CYCLE_1)
	s_xor_b32 s28, exec_lo, s10
	s_cbranch_execz .LBB6_17215
; %bb.17202:                            ;   in Loop: Header=BB6_16763 Depth=2
	v_and_b32_e32 v2, 0x7fffffff, v0
	v_mov_b32_e32 v3, v55
	v_and_b32_e32 v5, 0x80, v1
                                        ; implicit-def: $vgpr1
                                        ; kill: killed $vgpr1
	s_mov_b32 s10, exec_lo
	s_delay_alu instid0(VALU_DEP_2)
	v_cmpx_gt_u64_e32 0x47600001, v[2:3]
	s_xor_b32 s29, exec_lo, s10
	s_cbranch_execz .LBB6_17212
; %bb.17203:                            ;   in Loop: Header=BB6_16763 Depth=2
	v_mov_b32_e32 v1, 0
	s_mov_b32 s40, exec_lo
	scratch_store_b32 off, v1, s33 offset:340 ; 4-byte Folded Spill
	s_wait_xcnt 0x0
	v_cmpx_ne_u32_e32 0, v0
	s_cbranch_execz .LBB6_17211
; %bb.17204:                            ;   in Loop: Header=BB6_16763 Depth=2
	v_bfe_u32 v6, v0, 23, 8
	v_or_b32_e32 v2, 0x800000, v54
	s_mov_b32 s41, exec_lo
	s_delay_alu instid0(VALU_DEP_2) | instskip(SKIP_1) | instid1(VALU_DEP_2)
	v_dual_mov_b32 v3, v55 :: v_dual_sub_nc_u32 v0, 0x71, v6
	v_cmp_gt_u32_e32 vcc_lo, 0x72, v6
	v_cndmask_b32_e32 v0, 0, v0, vcc_lo
	v_cmp_eq_u32_e32 vcc_lo, 0, v6
	s_delay_alu instid0(VALU_DEP_2) | instskip(NEXT) | instid1(VALU_DEP_1)
	v_cndmask_b32_e64 v7, v0, 0x70, vcc_lo
	v_dual_cndmask_b32 v2, v2, v54, vcc_lo :: v_dual_add_nc_u32 v0, 21, v7
	v_add_nc_u32_e32 v8, 20, v7
	s_delay_alu instid0(VALU_DEP_2) | instskip(NEXT) | instid1(VALU_DEP_2)
	v_lshlrev_b64_e64 v[0:1], v0, -1
	v_lshlrev_b64_e64 v[8:9], v8, 1
	s_delay_alu instid0(VALU_DEP_2) | instskip(NEXT) | instid1(VALU_DEP_3)
	v_bfi_b32 v11, v1, 0, 0
	v_bfi_b32 v10, v0, 0, v2
	v_lshrrev_b64 v[0:1], v7, v[2:3]
	s_delay_alu instid0(VALU_DEP_1) | instskip(NEXT) | instid1(VALU_DEP_3)
	v_mov_b64_e32 v[2:3], v[0:1]
	v_cmpx_eq_u64_e64 v[10:11], v[8:9]
; %bb.17205:                            ;   in Loop: Header=BB6_16763 Depth=2
	v_bfe_u32 v2, v0, 21, 1
	v_mov_b32_e32 v3, v55
	s_delay_alu instid0(VALU_DEP_1) | instskip(NEXT) | instid1(VALU_DEP_1)
	v_add_nc_u64_e32 v[2:3], v[0:1], v[2:3]
	v_add_nc_u64_e32 v[2:3], -1, v[2:3]
; %bb.17206:                            ;   in Loop: Header=BB6_16763 Depth=2
	s_or_b32 exec_lo, exec_lo, s41
	v_add_nc_u32_e32 v1, 0xffffff81, v6
	v_lshrrev_b32_e32 v3, 23, v0
	s_mov_b32 s10, exec_lo
	s_delay_alu instid0(VALU_DEP_2) | instskip(NEXT) | instid1(VALU_DEP_1)
	v_cndmask_b32_e64 v1, v1, 0xffffff82, vcc_lo
	v_add3_u32 v3, v7, v1, v3
	v_and_b32_e32 v1, 0x1fffff, v2
                                        ; implicit-def: $vgpr2
	s_delay_alu instid0(VALU_DEP_1) | instskip(NEXT) | instid1(VALU_DEP_1)
	v_dual_add_nc_u32 v6, 14, v3 :: v_dual_add_nc_u32 v54, v1, v0
                                        ; implicit-def: $vgpr0_vgpr1
	v_cmpx_ne_u32_e32 0, v6
	s_xor_b32 s10, exec_lo, s10
; %bb.17207:                            ;   in Loop: Header=BB6_16763 Depth=2
	s_delay_alu instid0(VALU_DEP_2) | instskip(SKIP_1) | instid1(VALU_DEP_1)
	v_cmp_lt_u64_e32 vcc_lo, 0xffffff, v[54:55]
	v_add_nc_u32_e32 v0, 15, v3
	v_cndmask_b32_e32 v2, v6, v0, vcc_lo
	v_cndmask_b32_e64 v0, 0, 1, vcc_lo
	s_delay_alu instid0(VALU_DEP_1)
	v_lshrrev_b64 v[0:1], v0, v[54:55]
; %bb.17208:                            ;   in Loop: Header=BB6_16763 Depth=2
	s_and_not1_saveexec_b32 s10, s10
; %bb.17209:                            ;   in Loop: Header=BB6_16763 Depth=2
	v_mov_b64_e32 v[0:1], v[54:55]
	v_bfe_u32 v2, v54, 23, 1
; %bb.17210:                            ;   in Loop: Header=BB6_16763 Depth=2
	s_or_b32 exec_lo, exec_lo, s10
	s_delay_alu instid0(VALU_DEP_2) | instskip(NEXT) | instid1(VALU_DEP_2)
	v_lshrrev_b64 v[0:1], 21, v[0:1]
	v_cmp_gt_i32_e32 vcc_lo, 32, v2
	v_min_i32_e32 v3, 31, v2
	v_cmp_eq_u32_e64 s10, 0, v2
	s_delay_alu instid0(VALU_DEP_2) | instskip(SKIP_1) | instid1(VALU_DEP_2)
	v_dual_cndmask_b32 v1, 0, v1, vcc_lo :: v_dual_lshlrev_b32 v3, 2, v3
	v_cndmask_b32_e32 v0, 3, v0, vcc_lo
	v_and_b32_e32 v3, 0xfc, v3
	s_delay_alu instid0(VALU_DEP_2) | instskip(NEXT) | instid1(VALU_DEP_2)
	v_cmp_eq_u64_e32 vcc_lo, 0, v[0:1]
	v_and_or_b32 v0, v0, 3, v3
	s_and_b32 s10, s10, vcc_lo
	s_delay_alu instid0(VALU_DEP_1) | instid1(SALU_CYCLE_1)
	v_cndmask_b32_e64 v0, v0, 0, s10
	s_delay_alu instid0(VALU_DEP_1)
	v_or_b32_e32 v0, v0, v5
	scratch_store_b32 off, v0, s33 offset:340 ; 4-byte Folded Spill
.LBB6_17211:                            ;   in Loop: Header=BB6_16763 Depth=2
	s_wait_xcnt 0x0
	s_or_b32 exec_lo, exec_lo, s40
                                        ; implicit-def: $vgpr5
.LBB6_17212:                            ;   in Loop: Header=BB6_16763 Depth=2
	s_and_not1_saveexec_b32 s10, s29
	s_cbranch_execz .LBB6_17214
; %bb.17213:                            ;   in Loop: Header=BB6_16763 Depth=2
	v_or_b32_e32 v0, 0x7b, v5
	scratch_store_b32 off, v0, s33 offset:340 ; 4-byte Folded Spill
.LBB6_17214:                            ;   in Loop: Header=BB6_16763 Depth=2
	s_wait_xcnt 0x0
	s_or_b32 exec_lo, exec_lo, s10
                                        ; implicit-def: $vgpr0
                                        ; implicit-def: $vgpr1
.LBB6_17215:                            ;   in Loop: Header=BB6_16763 Depth=2
	s_and_not1_saveexec_b32 s10, s28
	s_cbranch_execz .LBB6_17221
; %bb.17216:                            ;   in Loop: Header=BB6_16763 Depth=2
	s_mov_b32 s28, exec_lo
                                        ; implicit-def: $vgpr2
                                        ; kill: killed $vgpr2
	v_cmpx_ne_u64_e32 0, v[54:55]
	s_xor_b32 s28, exec_lo, s28
	s_cbranch_execz .LBB6_17218
; %bb.17217:                            ;   in Loop: Header=BB6_16763 Depth=2
	v_or_b32_e32 v0, 0x7f, v1
	scratch_store_b32 off, v0, s33 offset:340 ; 4-byte Folded Spill
                                        ; implicit-def: $vgpr0
.LBB6_17218:                            ;   in Loop: Header=BB6_16763 Depth=2
	s_wait_xcnt 0x0
	s_and_not1_saveexec_b32 s28, s28
	s_cbranch_execz .LBB6_17220
; %bb.17219:                            ;   in Loop: Header=BB6_16763 Depth=2
	v_cmp_lt_i32_e32 vcc_lo, -1, v0
	v_cndmask_b32_e32 v0, 0xfc, v30, vcc_lo
	scratch_store_b32 off, v0, s33 offset:340 ; 4-byte Folded Spill
.LBB6_17220:                            ;   in Loop: Header=BB6_16763 Depth=2
	s_wait_xcnt 0x0
	s_or_b32 exec_lo, exec_lo, s28
.LBB6_17221:                            ;   in Loop: Header=BB6_16763 Depth=2
	s_delay_alu instid0(SALU_CYCLE_1)
	s_or_b32 exec_lo, exec_lo, s10
	v_mov_b32_e32 v1, 0
	s_mov_b32 s10, exec_lo
	v_cmpx_lt_u64_e64 s[12:13], v[12:13]
	s_cbranch_execz .LBB6_17231
; %bb.17222:                            ;   in Loop: Header=BB6_16763 Depth=2
	v_lshrrev_b32_e32 v0, 24, v13
	v_bfrev_b32_e32 v1, 1
	s_mov_b32 s28, exec_lo
	s_delay_alu instid0(VALU_DEP_2)
	v_cmpx_ne_u32_e32 0x80, v0
	s_cbranch_execz .LBB6_17230
; %bb.17223:                            ;   in Loop: Header=BB6_16763 Depth=2
	v_and_b32_e32 v1, 0x7c000000, v13
	v_bfe_u32 v2, v13, 24, 2
	s_delay_alu instid0(VALU_DEP_2) | instskip(SKIP_1) | instid1(SALU_CYCLE_1)
	v_cmp_ne_u32_e32 vcc_lo, 0x7c000000, v1
                                        ; implicit-def: $vgpr1
	s_and_saveexec_b32 s29, vcc_lo
	s_xor_b32 s29, exec_lo, s29
	s_cbranch_execz .LBB6_17227
; %bb.17224:                            ;   in Loop: Header=BB6_16763 Depth=2
	v_bfe_u32 v1, v13, 26, 5
	s_mov_b32 s40, exec_lo
	s_delay_alu instid0(VALU_DEP_1)
	v_cmpx_eq_u32_e32 0, v1
; %bb.17225:                            ;   in Loop: Header=BB6_16763 Depth=2
	v_clz_i32_u32_e32 v1, v2
	s_delay_alu instid0(VALU_DEP_1) | instskip(NEXT) | instid1(VALU_DEP_1)
	v_min_u32_e32 v2, 32, v1
	v_subrev_nc_u32_e32 v1, 29, v2
	s_delay_alu instid0(VALU_DEP_1) | instskip(NEXT) | instid1(VALU_DEP_1)
	v_lshlrev_b64_e32 v[0:1], v1, v[0:1]
	v_dual_sub_nc_u32 v1, 30, v2 :: v_dual_bitop2_b32 v2, 3, v0 bitop3:0x40
; %bb.17226:                            ;   in Loop: Header=BB6_16763 Depth=2
	s_or_b32 exec_lo, exec_lo, s40
	v_and_b32_e32 v0, 0x80000000, v13
                                        ; implicit-def: $vgpr12_vgpr13
	s_delay_alu instid0(VALU_DEP_1) | instskip(NEXT) | instid1(VALU_DEP_1)
	v_lshl_add_u32 v0, v1, 23, v0
	v_lshl_or_b32 v0, v2, 21, v0
                                        ; implicit-def: $vgpr2
	s_delay_alu instid0(VALU_DEP_1)
	v_add_nc_u32_e32 v1, 0x38000000, v0
.LBB6_17227:                            ;   in Loop: Header=BB6_16763 Depth=2
	s_and_not1_saveexec_b32 s29, s29
; %bb.17228:                            ;   in Loop: Header=BB6_16763 Depth=2
	v_cmp_lt_i64_e32 vcc_lo, -1, v[12:13]
	v_cndmask_b32_e32 v0, 0xff800000, v29, vcc_lo
	v_cmp_eq_u32_e32 vcc_lo, 0, v2
	s_delay_alu instid0(VALU_DEP_2)
	v_cndmask_b32_e32 v1, 0x7f800001, v0, vcc_lo
; %bb.17229:                            ;   in Loop: Header=BB6_16763 Depth=2
	s_or_b32 exec_lo, exec_lo, s29
.LBB6_17230:                            ;   in Loop: Header=BB6_16763 Depth=2
	s_delay_alu instid0(SALU_CYCLE_1)
	s_or_b32 exec_lo, exec_lo, s28
.LBB6_17231:                            ;   in Loop: Header=BB6_16763 Depth=2
	s_delay_alu instid0(SALU_CYCLE_1) | instskip(NEXT) | instid1(VALU_DEP_1)
	s_or_b32 exec_lo, exec_lo, s10
	v_dual_mul_f32 v0, s27, v1 :: v_dual_mov_b32 v3, v55
	s_delay_alu instid0(VALU_DEP_1) | instskip(SKIP_2) | instid1(VALU_DEP_3)
	v_and_b32_e32 v2, 0x7f800000, v0
	v_and_b32_e32 v54, 0x7fffff, v0
	v_lshrrev_b32_e32 v1, 24, v0
	v_cmp_ne_u64_e32 vcc_lo, 0x7f800000, v[2:3]
                                        ; implicit-def: $vgpr2
                                        ; kill: killed $vgpr2
	s_and_saveexec_b32 s10, vcc_lo
	s_delay_alu instid0(SALU_CYCLE_1)
	s_xor_b32 s28, exec_lo, s10
	s_cbranch_execz .LBB6_17245
; %bb.17232:                            ;   in Loop: Header=BB6_16763 Depth=2
	v_and_b32_e32 v2, 0x7fffffff, v0
	v_mov_b32_e32 v3, v55
	v_and_b32_e32 v5, 0x80, v1
                                        ; implicit-def: $vgpr1
                                        ; kill: killed $vgpr1
	s_mov_b32 s10, exec_lo
	s_delay_alu instid0(VALU_DEP_2)
	v_cmpx_gt_u64_e32 0x47600001, v[2:3]
	s_xor_b32 s29, exec_lo, s10
	s_cbranch_execz .LBB6_17242
; %bb.17233:                            ;   in Loop: Header=BB6_16763 Depth=2
	v_mov_b32_e32 v1, 0
	s_mov_b32 s40, exec_lo
	scratch_store_b32 off, v1, s33 offset:344 ; 4-byte Folded Spill
	s_wait_xcnt 0x0
	v_cmpx_ne_u32_e32 0, v0
	s_cbranch_execz .LBB6_17241
; %bb.17234:                            ;   in Loop: Header=BB6_16763 Depth=2
	v_bfe_u32 v6, v0, 23, 8
	v_or_b32_e32 v2, 0x800000, v54
	s_mov_b32 s41, exec_lo
	s_delay_alu instid0(VALU_DEP_2) | instskip(SKIP_1) | instid1(VALU_DEP_2)
	v_dual_mov_b32 v3, v55 :: v_dual_sub_nc_u32 v0, 0x71, v6
	v_cmp_gt_u32_e32 vcc_lo, 0x72, v6
	v_cndmask_b32_e32 v0, 0, v0, vcc_lo
	v_cmp_eq_u32_e32 vcc_lo, 0, v6
	s_delay_alu instid0(VALU_DEP_2) | instskip(NEXT) | instid1(VALU_DEP_1)
	v_cndmask_b32_e64 v7, v0, 0x70, vcc_lo
	v_dual_cndmask_b32 v2, v2, v54, vcc_lo :: v_dual_add_nc_u32 v0, 21, v7
	v_add_nc_u32_e32 v8, 20, v7
	s_delay_alu instid0(VALU_DEP_2) | instskip(NEXT) | instid1(VALU_DEP_2)
	v_lshlrev_b64_e64 v[0:1], v0, -1
	v_lshlrev_b64_e64 v[8:9], v8, 1
	s_delay_alu instid0(VALU_DEP_2) | instskip(NEXT) | instid1(VALU_DEP_3)
	v_bfi_b32 v11, v1, 0, 0
	v_bfi_b32 v10, v0, 0, v2
	v_lshrrev_b64 v[0:1], v7, v[2:3]
	s_delay_alu instid0(VALU_DEP_1) | instskip(NEXT) | instid1(VALU_DEP_3)
	v_mov_b64_e32 v[2:3], v[0:1]
	v_cmpx_eq_u64_e64 v[10:11], v[8:9]
; %bb.17235:                            ;   in Loop: Header=BB6_16763 Depth=2
	v_bfe_u32 v2, v0, 21, 1
	v_mov_b32_e32 v3, v55
	s_delay_alu instid0(VALU_DEP_1) | instskip(NEXT) | instid1(VALU_DEP_1)
	v_add_nc_u64_e32 v[2:3], v[0:1], v[2:3]
	v_add_nc_u64_e32 v[2:3], -1, v[2:3]
; %bb.17236:                            ;   in Loop: Header=BB6_16763 Depth=2
	s_or_b32 exec_lo, exec_lo, s41
	v_add_nc_u32_e32 v1, 0xffffff81, v6
	v_lshrrev_b32_e32 v3, 23, v0
	s_mov_b32 s10, exec_lo
	s_delay_alu instid0(VALU_DEP_2) | instskip(NEXT) | instid1(VALU_DEP_1)
	v_cndmask_b32_e64 v1, v1, 0xffffff82, vcc_lo
	v_add3_u32 v3, v7, v1, v3
	v_and_b32_e32 v1, 0x1fffff, v2
                                        ; implicit-def: $vgpr2
	s_delay_alu instid0(VALU_DEP_1) | instskip(NEXT) | instid1(VALU_DEP_1)
	v_dual_add_nc_u32 v6, 14, v3 :: v_dual_add_nc_u32 v54, v1, v0
                                        ; implicit-def: $vgpr0_vgpr1
	v_cmpx_ne_u32_e32 0, v6
	s_xor_b32 s10, exec_lo, s10
; %bb.17237:                            ;   in Loop: Header=BB6_16763 Depth=2
	s_delay_alu instid0(VALU_DEP_2) | instskip(SKIP_1) | instid1(VALU_DEP_1)
	v_cmp_lt_u64_e32 vcc_lo, 0xffffff, v[54:55]
	v_add_nc_u32_e32 v0, 15, v3
	v_cndmask_b32_e32 v2, v6, v0, vcc_lo
	v_cndmask_b32_e64 v0, 0, 1, vcc_lo
	s_delay_alu instid0(VALU_DEP_1)
	v_lshrrev_b64 v[0:1], v0, v[54:55]
; %bb.17238:                            ;   in Loop: Header=BB6_16763 Depth=2
	s_and_not1_saveexec_b32 s10, s10
; %bb.17239:                            ;   in Loop: Header=BB6_16763 Depth=2
	v_mov_b64_e32 v[0:1], v[54:55]
	v_bfe_u32 v2, v54, 23, 1
; %bb.17240:                            ;   in Loop: Header=BB6_16763 Depth=2
	s_or_b32 exec_lo, exec_lo, s10
	s_delay_alu instid0(VALU_DEP_2) | instskip(NEXT) | instid1(VALU_DEP_2)
	v_lshrrev_b64 v[0:1], 21, v[0:1]
	v_cmp_gt_i32_e32 vcc_lo, 32, v2
	v_min_i32_e32 v3, 31, v2
	v_cmp_eq_u32_e64 s10, 0, v2
	s_delay_alu instid0(VALU_DEP_2) | instskip(SKIP_1) | instid1(VALU_DEP_2)
	v_dual_cndmask_b32 v1, 0, v1, vcc_lo :: v_dual_lshlrev_b32 v3, 2, v3
	v_cndmask_b32_e32 v0, 3, v0, vcc_lo
	v_and_b32_e32 v3, 0xfc, v3
	s_delay_alu instid0(VALU_DEP_2) | instskip(NEXT) | instid1(VALU_DEP_2)
	v_cmp_eq_u64_e32 vcc_lo, 0, v[0:1]
	v_and_or_b32 v0, v0, 3, v3
	s_and_b32 s10, s10, vcc_lo
	s_delay_alu instid0(VALU_DEP_1) | instid1(SALU_CYCLE_1)
	v_cndmask_b32_e64 v0, v0, 0, s10
	s_delay_alu instid0(VALU_DEP_1)
	v_or_b32_e32 v0, v0, v5
	scratch_store_b32 off, v0, s33 offset:344 ; 4-byte Folded Spill
.LBB6_17241:                            ;   in Loop: Header=BB6_16763 Depth=2
	s_wait_xcnt 0x0
	s_or_b32 exec_lo, exec_lo, s40
                                        ; implicit-def: $vgpr5
.LBB6_17242:                            ;   in Loop: Header=BB6_16763 Depth=2
	s_and_not1_saveexec_b32 s10, s29
	s_cbranch_execz .LBB6_17244
; %bb.17243:                            ;   in Loop: Header=BB6_16763 Depth=2
	v_or_b32_e32 v0, 0x7b, v5
	scratch_store_b32 off, v0, s33 offset:344 ; 4-byte Folded Spill
.LBB6_17244:                            ;   in Loop: Header=BB6_16763 Depth=2
	s_wait_xcnt 0x0
	s_or_b32 exec_lo, exec_lo, s10
                                        ; implicit-def: $vgpr0
                                        ; implicit-def: $vgpr1
.LBB6_17245:                            ;   in Loop: Header=BB6_16763 Depth=2
	s_and_not1_saveexec_b32 s10, s28
	s_cbranch_execz .LBB6_17251
; %bb.17246:                            ;   in Loop: Header=BB6_16763 Depth=2
	s_mov_b32 s28, exec_lo
                                        ; implicit-def: $vgpr2
                                        ; kill: killed $vgpr2
	v_cmpx_ne_u64_e32 0, v[54:55]
	s_xor_b32 s28, exec_lo, s28
	s_cbranch_execz .LBB6_17248
; %bb.17247:                            ;   in Loop: Header=BB6_16763 Depth=2
	v_or_b32_e32 v0, 0x7f, v1
	scratch_store_b32 off, v0, s33 offset:344 ; 4-byte Folded Spill
                                        ; implicit-def: $vgpr0
.LBB6_17248:                            ;   in Loop: Header=BB6_16763 Depth=2
	s_wait_xcnt 0x0
	s_and_not1_saveexec_b32 s28, s28
	s_cbranch_execz .LBB6_17250
; %bb.17249:                            ;   in Loop: Header=BB6_16763 Depth=2
	v_cmp_lt_i32_e32 vcc_lo, -1, v0
	v_cndmask_b32_e32 v0, 0xfc, v30, vcc_lo
	scratch_store_b32 off, v0, s33 offset:344 ; 4-byte Folded Spill
.LBB6_17250:                            ;   in Loop: Header=BB6_16763 Depth=2
	s_wait_xcnt 0x0
	s_or_b32 exec_lo, exec_lo, s28
.LBB6_17251:                            ;   in Loop: Header=BB6_16763 Depth=2
	s_delay_alu instid0(SALU_CYCLE_1) | instskip(SKIP_3) | instid1(VALU_DEP_1)
	s_or_b32 exec_lo, exec_lo, s10
	global_load_b128 v[10:13], v[14:15], off offset:512 th:TH_LOAD_NT
	s_wait_loadcnt 0x0
	v_and_b32_e32 v0, 0xff, v10
	v_cmp_ne_u16_e32 vcc_lo, 0, v0
	v_mov_b32_e32 v0, 0
	s_wait_xcnt 0x0
	s_and_saveexec_b32 s10, vcc_lo
	s_cbranch_execz .LBB6_17261
; %bb.17252:                            ;   in Loop: Header=BB6_16763 Depth=2
	v_bfe_i32 v2, v10, 0, 8
	v_bfrev_b32_e32 v0, 1
	s_mov_b32 s28, exec_lo
	s_delay_alu instid0(VALU_DEP_2)
	v_cmpx_ne_u16_e32 0xff80, v2
	s_cbranch_execz .LBB6_17260
; %bb.17253:                            ;   in Loop: Header=BB6_16763 Depth=2
	v_and_b32_e32 v0, 0x7c, v10
	v_and_b32_e32 v1, 3, v10
	s_delay_alu instid0(VALU_DEP_2) | instskip(SKIP_1) | instid1(SALU_CYCLE_1)
	v_cmp_ne_u32_e32 vcc_lo, 0x7c, v0
                                        ; implicit-def: $vgpr0
	s_and_saveexec_b32 s29, vcc_lo
	s_xor_b32 s29, exec_lo, s29
	s_cbranch_execz .LBB6_17257
; %bb.17254:                            ;   in Loop: Header=BB6_16763 Depth=2
	v_bfe_u32 v0, v10, 2, 5
	s_mov_b32 s40, exec_lo
	s_delay_alu instid0(VALU_DEP_1)
	v_cmpx_eq_u32_e32 0, v0
; %bb.17255:                            ;   in Loop: Header=BB6_16763 Depth=2
	v_clz_i32_u32_e32 v0, v1
	s_delay_alu instid0(VALU_DEP_1) | instskip(NEXT) | instid1(VALU_DEP_1)
	v_min_u32_e32 v0, 32, v0
	v_subrev_nc_u32_e32 v1, 29, v0
	s_delay_alu instid0(VALU_DEP_1) | instskip(NEXT) | instid1(VALU_DEP_1)
	v_lshlrev_b64_e32 v[2:3], v1, v[10:11]
	v_dual_sub_nc_u32 v0, 30, v0 :: v_dual_bitop2_b32 v1, 3, v2 bitop3:0x40
; %bb.17256:                            ;   in Loop: Header=BB6_16763 Depth=2
	s_or_b32 exec_lo, exec_lo, s40
	v_lshlrev_b32_e32 v2, 24, v10
	s_delay_alu instid0(VALU_DEP_1) | instskip(NEXT) | instid1(VALU_DEP_1)
	v_and_b32_e32 v2, 0x80000000, v2
	v_lshl_add_u32 v0, v0, 23, v2
                                        ; implicit-def: $vgpr2
	s_delay_alu instid0(VALU_DEP_1) | instskip(NEXT) | instid1(VALU_DEP_1)
	v_lshl_or_b32 v0, v1, 21, v0
                                        ; implicit-def: $vgpr1
	v_add_nc_u32_e32 v0, 0x38000000, v0
.LBB6_17257:                            ;   in Loop: Header=BB6_16763 Depth=2
	s_and_not1_saveexec_b32 s29, s29
; %bb.17258:                            ;   in Loop: Header=BB6_16763 Depth=2
	v_cmp_lt_i16_e32 vcc_lo, -1, v2
	v_cndmask_b32_e32 v0, 0xff800000, v29, vcc_lo
	v_cmp_eq_u32_e32 vcc_lo, 0, v1
	s_delay_alu instid0(VALU_DEP_2)
	v_cndmask_b32_e32 v0, 0x7f800001, v0, vcc_lo
; %bb.17259:                            ;   in Loop: Header=BB6_16763 Depth=2
	s_or_b32 exec_lo, exec_lo, s29
.LBB6_17260:                            ;   in Loop: Header=BB6_16763 Depth=2
	s_delay_alu instid0(SALU_CYCLE_1)
	s_or_b32 exec_lo, exec_lo, s28
.LBB6_17261:                            ;   in Loop: Header=BB6_16763 Depth=2
	s_delay_alu instid0(SALU_CYCLE_1) | instskip(NEXT) | instid1(VALU_DEP_1)
	s_or_b32 exec_lo, exec_lo, s10
	v_dual_mul_f32 v0, s27, v0 :: v_dual_mov_b32 v3, v55
	s_delay_alu instid0(VALU_DEP_1) | instskip(SKIP_2) | instid1(VALU_DEP_3)
	v_and_b32_e32 v2, 0x7f800000, v0
	v_and_b32_e32 v54, 0x7fffff, v0
	v_lshrrev_b32_e32 v1, 24, v0
	v_cmp_ne_u64_e32 vcc_lo, 0x7f800000, v[2:3]
                                        ; implicit-def: $vgpr2
                                        ; kill: killed $vgpr2
	s_and_saveexec_b32 s10, vcc_lo
	s_delay_alu instid0(SALU_CYCLE_1)
	s_xor_b32 s28, exec_lo, s10
	s_cbranch_execz .LBB6_17275
; %bb.17262:                            ;   in Loop: Header=BB6_16763 Depth=2
	v_and_b32_e32 v2, 0x7fffffff, v0
	v_mov_b32_e32 v3, v55
	v_and_b32_e32 v5, 0x80, v1
                                        ; implicit-def: $vgpr1
                                        ; kill: killed $vgpr1
	s_mov_b32 s10, exec_lo
	s_delay_alu instid0(VALU_DEP_2)
	v_cmpx_gt_u64_e32 0x47600001, v[2:3]
	s_xor_b32 s29, exec_lo, s10
	s_cbranch_execz .LBB6_17272
; %bb.17263:                            ;   in Loop: Header=BB6_16763 Depth=2
	v_mov_b32_e32 v1, 0
	s_mov_b32 s40, exec_lo
	scratch_store_b32 off, v1, s33 offset:348 ; 4-byte Folded Spill
	s_wait_xcnt 0x0
	v_cmpx_ne_u32_e32 0, v0
	s_cbranch_execz .LBB6_17271
; %bb.17264:                            ;   in Loop: Header=BB6_16763 Depth=2
	v_bfe_u32 v6, v0, 23, 8
	v_or_b32_e32 v2, 0x800000, v54
	s_mov_b32 s41, exec_lo
	s_delay_alu instid0(VALU_DEP_2) | instskip(SKIP_1) | instid1(VALU_DEP_2)
	v_dual_mov_b32 v3, v55 :: v_dual_sub_nc_u32 v0, 0x71, v6
	v_cmp_gt_u32_e32 vcc_lo, 0x72, v6
	v_cndmask_b32_e32 v0, 0, v0, vcc_lo
	v_cmp_eq_u32_e32 vcc_lo, 0, v6
	s_delay_alu instid0(VALU_DEP_2) | instskip(NEXT) | instid1(VALU_DEP_1)
	v_cndmask_b32_e64 v7, v0, 0x70, vcc_lo
	v_dual_cndmask_b32 v2, v2, v54, vcc_lo :: v_dual_add_nc_u32 v0, 21, v7
	v_add_nc_u32_e32 v8, 20, v7
	s_delay_alu instid0(VALU_DEP_2) | instskip(NEXT) | instid1(VALU_DEP_2)
	v_lshlrev_b64_e64 v[0:1], v0, -1
	v_lshlrev_b64_e64 v[8:9], v8, 1
	s_delay_alu instid0(VALU_DEP_2) | instskip(NEXT) | instid1(VALU_DEP_3)
	v_bfi_b32 v17, v1, 0, 0
	v_bfi_b32 v16, v0, 0, v2
	v_lshrrev_b64 v[0:1], v7, v[2:3]
	s_delay_alu instid0(VALU_DEP_1) | instskip(NEXT) | instid1(VALU_DEP_3)
	v_mov_b64_e32 v[2:3], v[0:1]
	v_cmpx_eq_u64_e64 v[16:17], v[8:9]
; %bb.17265:                            ;   in Loop: Header=BB6_16763 Depth=2
	v_bfe_u32 v2, v0, 21, 1
	v_mov_b32_e32 v3, v55
	s_delay_alu instid0(VALU_DEP_1) | instskip(NEXT) | instid1(VALU_DEP_1)
	v_add_nc_u64_e32 v[2:3], v[0:1], v[2:3]
	v_add_nc_u64_e32 v[2:3], -1, v[2:3]
; %bb.17266:                            ;   in Loop: Header=BB6_16763 Depth=2
	s_or_b32 exec_lo, exec_lo, s41
	v_add_nc_u32_e32 v1, 0xffffff81, v6
	v_lshrrev_b32_e32 v3, 23, v0
	s_mov_b32 s10, exec_lo
	s_delay_alu instid0(VALU_DEP_2) | instskip(NEXT) | instid1(VALU_DEP_1)
	v_cndmask_b32_e64 v1, v1, 0xffffff82, vcc_lo
	v_add3_u32 v3, v7, v1, v3
	v_and_b32_e32 v1, 0x1fffff, v2
                                        ; implicit-def: $vgpr2
	s_delay_alu instid0(VALU_DEP_1) | instskip(NEXT) | instid1(VALU_DEP_1)
	v_dual_add_nc_u32 v6, 14, v3 :: v_dual_add_nc_u32 v54, v1, v0
                                        ; implicit-def: $vgpr0_vgpr1
	v_cmpx_ne_u32_e32 0, v6
	s_xor_b32 s10, exec_lo, s10
; %bb.17267:                            ;   in Loop: Header=BB6_16763 Depth=2
	s_delay_alu instid0(VALU_DEP_2) | instskip(SKIP_1) | instid1(VALU_DEP_1)
	v_cmp_lt_u64_e32 vcc_lo, 0xffffff, v[54:55]
	v_add_nc_u32_e32 v0, 15, v3
	v_cndmask_b32_e32 v2, v6, v0, vcc_lo
	v_cndmask_b32_e64 v0, 0, 1, vcc_lo
	s_delay_alu instid0(VALU_DEP_1)
	v_lshrrev_b64 v[0:1], v0, v[54:55]
; %bb.17268:                            ;   in Loop: Header=BB6_16763 Depth=2
	s_and_not1_saveexec_b32 s10, s10
; %bb.17269:                            ;   in Loop: Header=BB6_16763 Depth=2
	v_mov_b64_e32 v[0:1], v[54:55]
	v_bfe_u32 v2, v54, 23, 1
; %bb.17270:                            ;   in Loop: Header=BB6_16763 Depth=2
	s_or_b32 exec_lo, exec_lo, s10
	s_delay_alu instid0(VALU_DEP_2) | instskip(NEXT) | instid1(VALU_DEP_2)
	v_lshrrev_b64 v[0:1], 21, v[0:1]
	v_cmp_gt_i32_e32 vcc_lo, 32, v2
	v_min_i32_e32 v3, 31, v2
	v_cmp_eq_u32_e64 s10, 0, v2
	s_delay_alu instid0(VALU_DEP_2) | instskip(SKIP_1) | instid1(VALU_DEP_2)
	v_dual_cndmask_b32 v1, 0, v1, vcc_lo :: v_dual_lshlrev_b32 v3, 2, v3
	v_cndmask_b32_e32 v0, 3, v0, vcc_lo
	v_and_b32_e32 v3, 0xfc, v3
	s_delay_alu instid0(VALU_DEP_2) | instskip(NEXT) | instid1(VALU_DEP_2)
	v_cmp_eq_u64_e32 vcc_lo, 0, v[0:1]
	v_and_or_b32 v0, v0, 3, v3
	s_and_b32 s10, s10, vcc_lo
	s_delay_alu instid0(VALU_DEP_1) | instid1(SALU_CYCLE_1)
	v_cndmask_b32_e64 v0, v0, 0, s10
	s_delay_alu instid0(VALU_DEP_1)
	v_or_b32_e32 v0, v0, v5
	scratch_store_b32 off, v0, s33 offset:348 ; 4-byte Folded Spill
.LBB6_17271:                            ;   in Loop: Header=BB6_16763 Depth=2
	s_wait_xcnt 0x0
	s_or_b32 exec_lo, exec_lo, s40
                                        ; implicit-def: $vgpr5
.LBB6_17272:                            ;   in Loop: Header=BB6_16763 Depth=2
	s_and_not1_saveexec_b32 s10, s29
	s_cbranch_execz .LBB6_17274
; %bb.17273:                            ;   in Loop: Header=BB6_16763 Depth=2
	v_or_b32_e32 v0, 0x7b, v5
	scratch_store_b32 off, v0, s33 offset:348 ; 4-byte Folded Spill
.LBB6_17274:                            ;   in Loop: Header=BB6_16763 Depth=2
	s_wait_xcnt 0x0
	s_or_b32 exec_lo, exec_lo, s10
                                        ; implicit-def: $vgpr0
                                        ; implicit-def: $vgpr1
.LBB6_17275:                            ;   in Loop: Header=BB6_16763 Depth=2
	s_and_not1_saveexec_b32 s10, s28
	s_cbranch_execz .LBB6_17281
; %bb.17276:                            ;   in Loop: Header=BB6_16763 Depth=2
	s_mov_b32 s28, exec_lo
                                        ; implicit-def: $vgpr2
                                        ; kill: killed $vgpr2
	v_cmpx_ne_u64_e32 0, v[54:55]
	s_xor_b32 s28, exec_lo, s28
	s_cbranch_execz .LBB6_17278
; %bb.17277:                            ;   in Loop: Header=BB6_16763 Depth=2
	v_or_b32_e32 v0, 0x7f, v1
	scratch_store_b32 off, v0, s33 offset:348 ; 4-byte Folded Spill
                                        ; implicit-def: $vgpr0
.LBB6_17278:                            ;   in Loop: Header=BB6_16763 Depth=2
	s_wait_xcnt 0x0
	s_and_not1_saveexec_b32 s28, s28
	s_cbranch_execz .LBB6_17280
; %bb.17279:                            ;   in Loop: Header=BB6_16763 Depth=2
	v_cmp_lt_i32_e32 vcc_lo, -1, v0
	v_cndmask_b32_e32 v0, 0xfc, v30, vcc_lo
	scratch_store_b32 off, v0, s33 offset:348 ; 4-byte Folded Spill
.LBB6_17280:                            ;   in Loop: Header=BB6_16763 Depth=2
	s_wait_xcnt 0x0
	s_or_b32 exec_lo, exec_lo, s28
.LBB6_17281:                            ;   in Loop: Header=BB6_16763 Depth=2
	s_delay_alu instid0(SALU_CYCLE_1) | instskip(SKIP_3) | instid1(VALU_DEP_2)
	s_or_b32 exec_lo, exec_lo, s10
	v_lshrrev_b16 v0, 8, v10
	v_mov_b32_e32 v2, 0
	s_mov_b32 s10, exec_lo
	v_cmpx_ne_u16_e32 0, v0
	s_cbranch_execz .LBB6_17291
; %bb.17282:                            ;   in Loop: Header=BB6_16763 Depth=2
	v_bfrev_b32_e32 v2, 1
	s_mov_b32 s28, exec_lo
	v_cmpx_ne_u16_e32 0x80, v0
	s_cbranch_execz .LBB6_17290
; %bb.17283:                            ;   in Loop: Header=BB6_16763 Depth=2
	v_and_b32_e32 v3, 0xffff, v0
	s_delay_alu instid0(VALU_DEP_1) | instskip(SKIP_1) | instid1(VALU_DEP_2)
	v_and_b32_e32 v2, 0x7c, v3
	v_and_b32_e32 v1, 3, v3
	v_cmp_ne_u32_e32 vcc_lo, 0x7c, v2
                                        ; implicit-def: $vgpr2
	s_and_saveexec_b32 s29, vcc_lo
	s_delay_alu instid0(SALU_CYCLE_1)
	s_xor_b32 s29, exec_lo, s29
	s_cbranch_execz .LBB6_17287
; %bb.17284:                            ;   in Loop: Header=BB6_16763 Depth=2
	v_bfe_u32 v2, v3, 2, 5
	s_mov_b32 s40, exec_lo
	s_delay_alu instid0(VALU_DEP_1)
	v_cmpx_eq_u32_e32 0, v2
	s_cbranch_execz .LBB6_17286
; %bb.17285:                            ;   in Loop: Header=BB6_16763 Depth=2
	v_clz_i32_u32_e32 v1, v1
	s_delay_alu instid0(VALU_DEP_1) | instskip(SKIP_1) | instid1(VALU_DEP_2)
	v_min_u32_e32 v2, 32, v1
	v_mov_b32_e32 v1, v55
	v_subrev_nc_u32_e32 v3, 29, v2
	v_sub_nc_u32_e32 v2, 30, v2
	s_delay_alu instid0(VALU_DEP_2) | instskip(NEXT) | instid1(VALU_DEP_1)
	v_lshlrev_b64_e32 v[0:1], v3, v[0:1]
	v_and_b32_e32 v1, 3, v0
.LBB6_17286:                            ;   in Loop: Header=BB6_16763 Depth=2
	s_or_b32 exec_lo, exec_lo, s40
	v_lshlrev_b32_e32 v0, 16, v10
	s_delay_alu instid0(VALU_DEP_1) | instskip(NEXT) | instid1(VALU_DEP_1)
	v_and_b32_e32 v0, 0x80000000, v0
	v_lshl_add_u32 v0, v2, 23, v0
	s_delay_alu instid0(VALU_DEP_1) | instskip(NEXT) | instid1(VALU_DEP_1)
	v_lshl_or_b32 v0, v1, 21, v0
                                        ; implicit-def: $vgpr1
	v_add_nc_u32_e32 v2, 0x38000000, v0
.LBB6_17287:                            ;   in Loop: Header=BB6_16763 Depth=2
	s_and_not1_saveexec_b32 s29, s29
; %bb.17288:                            ;   in Loop: Header=BB6_16763 Depth=2
	v_cmp_lt_i16_e32 vcc_lo, -1, v10
	v_cndmask_b32_e32 v0, 0xff800000, v29, vcc_lo
	v_cmp_eq_u32_e32 vcc_lo, 0, v1
	s_delay_alu instid0(VALU_DEP_2)
	v_cndmask_b32_e32 v2, 0x7f800001, v0, vcc_lo
; %bb.17289:                            ;   in Loop: Header=BB6_16763 Depth=2
	s_or_b32 exec_lo, exec_lo, s29
.LBB6_17290:                            ;   in Loop: Header=BB6_16763 Depth=2
	s_delay_alu instid0(SALU_CYCLE_1)
	s_or_b32 exec_lo, exec_lo, s28
.LBB6_17291:                            ;   in Loop: Header=BB6_16763 Depth=2
	s_delay_alu instid0(SALU_CYCLE_1) | instskip(NEXT) | instid1(VALU_DEP_1)
	s_or_b32 exec_lo, exec_lo, s10
	v_dual_mul_f32 v0, s27, v2 :: v_dual_mov_b32 v3, v55
	s_delay_alu instid0(VALU_DEP_1) | instskip(SKIP_2) | instid1(VALU_DEP_3)
	v_and_b32_e32 v2, 0x7f800000, v0
	v_and_b32_e32 v54, 0x7fffff, v0
	v_lshrrev_b32_e32 v1, 24, v0
	v_cmp_ne_u64_e32 vcc_lo, 0x7f800000, v[2:3]
                                        ; implicit-def: $vgpr2
                                        ; kill: killed $vgpr2
	s_and_saveexec_b32 s10, vcc_lo
	s_delay_alu instid0(SALU_CYCLE_1)
	s_xor_b32 s28, exec_lo, s10
	s_cbranch_execz .LBB6_17305
; %bb.17292:                            ;   in Loop: Header=BB6_16763 Depth=2
	v_and_b32_e32 v2, 0x7fffffff, v0
	v_mov_b32_e32 v3, v55
	v_and_b32_e32 v5, 0x80, v1
                                        ; implicit-def: $vgpr1
                                        ; kill: killed $vgpr1
	s_mov_b32 s10, exec_lo
	s_delay_alu instid0(VALU_DEP_2)
	v_cmpx_gt_u64_e32 0x47600001, v[2:3]
	s_xor_b32 s29, exec_lo, s10
	s_cbranch_execz .LBB6_17302
; %bb.17293:                            ;   in Loop: Header=BB6_16763 Depth=2
	v_mov_b32_e32 v1, 0
	s_mov_b32 s40, exec_lo
	scratch_store_b32 off, v1, s33 offset:352 ; 4-byte Folded Spill
	s_wait_xcnt 0x0
	v_cmpx_ne_u32_e32 0, v0
	s_cbranch_execz .LBB6_17301
; %bb.17294:                            ;   in Loop: Header=BB6_16763 Depth=2
	v_bfe_u32 v6, v0, 23, 8
	v_or_b32_e32 v2, 0x800000, v54
	s_mov_b32 s41, exec_lo
	s_delay_alu instid0(VALU_DEP_2) | instskip(SKIP_1) | instid1(VALU_DEP_2)
	v_dual_mov_b32 v3, v55 :: v_dual_sub_nc_u32 v0, 0x71, v6
	v_cmp_gt_u32_e32 vcc_lo, 0x72, v6
	v_cndmask_b32_e32 v0, 0, v0, vcc_lo
	v_cmp_eq_u32_e32 vcc_lo, 0, v6
	s_delay_alu instid0(VALU_DEP_2) | instskip(NEXT) | instid1(VALU_DEP_1)
	v_cndmask_b32_e64 v7, v0, 0x70, vcc_lo
	v_dual_cndmask_b32 v2, v2, v54, vcc_lo :: v_dual_add_nc_u32 v0, 21, v7
	v_add_nc_u32_e32 v8, 20, v7
	s_delay_alu instid0(VALU_DEP_2) | instskip(NEXT) | instid1(VALU_DEP_2)
	v_lshlrev_b64_e64 v[0:1], v0, -1
	v_lshlrev_b64_e64 v[8:9], v8, 1
	s_delay_alu instid0(VALU_DEP_2) | instskip(NEXT) | instid1(VALU_DEP_3)
	v_bfi_b32 v17, v1, 0, 0
	v_bfi_b32 v16, v0, 0, v2
	v_lshrrev_b64 v[0:1], v7, v[2:3]
	s_delay_alu instid0(VALU_DEP_1) | instskip(NEXT) | instid1(VALU_DEP_3)
	v_mov_b64_e32 v[2:3], v[0:1]
	v_cmpx_eq_u64_e64 v[16:17], v[8:9]
; %bb.17295:                            ;   in Loop: Header=BB6_16763 Depth=2
	v_bfe_u32 v2, v0, 21, 1
	v_mov_b32_e32 v3, v55
	s_delay_alu instid0(VALU_DEP_1) | instskip(NEXT) | instid1(VALU_DEP_1)
	v_add_nc_u64_e32 v[2:3], v[0:1], v[2:3]
	v_add_nc_u64_e32 v[2:3], -1, v[2:3]
; %bb.17296:                            ;   in Loop: Header=BB6_16763 Depth=2
	s_or_b32 exec_lo, exec_lo, s41
	v_add_nc_u32_e32 v1, 0xffffff81, v6
	v_lshrrev_b32_e32 v3, 23, v0
	s_mov_b32 s10, exec_lo
	s_delay_alu instid0(VALU_DEP_2) | instskip(NEXT) | instid1(VALU_DEP_1)
	v_cndmask_b32_e64 v1, v1, 0xffffff82, vcc_lo
	v_add3_u32 v3, v7, v1, v3
	v_and_b32_e32 v1, 0x1fffff, v2
                                        ; implicit-def: $vgpr2
	s_delay_alu instid0(VALU_DEP_1) | instskip(NEXT) | instid1(VALU_DEP_1)
	v_dual_add_nc_u32 v6, 14, v3 :: v_dual_add_nc_u32 v54, v1, v0
                                        ; implicit-def: $vgpr0_vgpr1
	v_cmpx_ne_u32_e32 0, v6
	s_xor_b32 s10, exec_lo, s10
; %bb.17297:                            ;   in Loop: Header=BB6_16763 Depth=2
	s_delay_alu instid0(VALU_DEP_2) | instskip(SKIP_1) | instid1(VALU_DEP_1)
	v_cmp_lt_u64_e32 vcc_lo, 0xffffff, v[54:55]
	v_add_nc_u32_e32 v0, 15, v3
	v_cndmask_b32_e32 v2, v6, v0, vcc_lo
	v_cndmask_b32_e64 v0, 0, 1, vcc_lo
	s_delay_alu instid0(VALU_DEP_1)
	v_lshrrev_b64 v[0:1], v0, v[54:55]
; %bb.17298:                            ;   in Loop: Header=BB6_16763 Depth=2
	s_and_not1_saveexec_b32 s10, s10
; %bb.17299:                            ;   in Loop: Header=BB6_16763 Depth=2
	v_mov_b64_e32 v[0:1], v[54:55]
	v_bfe_u32 v2, v54, 23, 1
; %bb.17300:                            ;   in Loop: Header=BB6_16763 Depth=2
	s_or_b32 exec_lo, exec_lo, s10
	s_delay_alu instid0(VALU_DEP_2) | instskip(NEXT) | instid1(VALU_DEP_2)
	v_lshrrev_b64 v[0:1], 21, v[0:1]
	v_cmp_gt_i32_e32 vcc_lo, 32, v2
	v_min_i32_e32 v3, 31, v2
	v_cmp_eq_u32_e64 s10, 0, v2
	s_delay_alu instid0(VALU_DEP_2) | instskip(SKIP_1) | instid1(VALU_DEP_2)
	v_dual_cndmask_b32 v1, 0, v1, vcc_lo :: v_dual_lshlrev_b32 v3, 2, v3
	v_cndmask_b32_e32 v0, 3, v0, vcc_lo
	v_and_b32_e32 v3, 0xfc, v3
	s_delay_alu instid0(VALU_DEP_2) | instskip(NEXT) | instid1(VALU_DEP_2)
	v_cmp_eq_u64_e32 vcc_lo, 0, v[0:1]
	v_and_or_b32 v0, v0, 3, v3
	s_and_b32 s10, s10, vcc_lo
	s_delay_alu instid0(VALU_DEP_1) | instid1(SALU_CYCLE_1)
	v_cndmask_b32_e64 v0, v0, 0, s10
	s_delay_alu instid0(VALU_DEP_1)
	v_or_b32_e32 v0, v0, v5
	scratch_store_b32 off, v0, s33 offset:352 ; 4-byte Folded Spill
.LBB6_17301:                            ;   in Loop: Header=BB6_16763 Depth=2
	s_wait_xcnt 0x0
	s_or_b32 exec_lo, exec_lo, s40
                                        ; implicit-def: $vgpr5
.LBB6_17302:                            ;   in Loop: Header=BB6_16763 Depth=2
	s_and_not1_saveexec_b32 s10, s29
	s_cbranch_execz .LBB6_17304
; %bb.17303:                            ;   in Loop: Header=BB6_16763 Depth=2
	v_or_b32_e32 v0, 0x7b, v5
	scratch_store_b32 off, v0, s33 offset:352 ; 4-byte Folded Spill
.LBB6_17304:                            ;   in Loop: Header=BB6_16763 Depth=2
	s_wait_xcnt 0x0
	s_or_b32 exec_lo, exec_lo, s10
                                        ; implicit-def: $vgpr0
                                        ; implicit-def: $vgpr1
.LBB6_17305:                            ;   in Loop: Header=BB6_16763 Depth=2
	s_and_not1_saveexec_b32 s10, s28
	s_cbranch_execz .LBB6_17311
; %bb.17306:                            ;   in Loop: Header=BB6_16763 Depth=2
	s_mov_b32 s28, exec_lo
                                        ; implicit-def: $vgpr2
                                        ; kill: killed $vgpr2
	v_cmpx_ne_u64_e32 0, v[54:55]
	s_xor_b32 s28, exec_lo, s28
	s_cbranch_execz .LBB6_17308
; %bb.17307:                            ;   in Loop: Header=BB6_16763 Depth=2
	v_or_b32_e32 v0, 0x7f, v1
	scratch_store_b32 off, v0, s33 offset:352 ; 4-byte Folded Spill
                                        ; implicit-def: $vgpr0
.LBB6_17308:                            ;   in Loop: Header=BB6_16763 Depth=2
	s_wait_xcnt 0x0
	s_and_not1_saveexec_b32 s28, s28
	s_cbranch_execz .LBB6_17310
; %bb.17309:                            ;   in Loop: Header=BB6_16763 Depth=2
	v_cmp_lt_i32_e32 vcc_lo, -1, v0
	v_cndmask_b32_e32 v0, 0xfc, v30, vcc_lo
	scratch_store_b32 off, v0, s33 offset:352 ; 4-byte Folded Spill
.LBB6_17310:                            ;   in Loop: Header=BB6_16763 Depth=2
	s_wait_xcnt 0x0
	s_or_b32 exec_lo, exec_lo, s28
.LBB6_17311:                            ;   in Loop: Header=BB6_16763 Depth=2
	s_delay_alu instid0(SALU_CYCLE_1) | instskip(SKIP_2) | instid1(VALU_DEP_1)
	s_or_b32 exec_lo, exec_lo, s10
	v_dual_lshrrev_b32 v0, 16, v10 :: v_dual_mov_b32 v2, 0
	s_mov_b32 s10, exec_lo
	v_and_b32_e32 v1, 0xff, v0
	s_delay_alu instid0(VALU_DEP_1)
	v_cmpx_ne_u16_e32 0, v1
	s_cbranch_execz .LBB6_17321
; %bb.17312:                            ;   in Loop: Header=BB6_16763 Depth=2
	v_bfrev_b32_e32 v2, 1
	s_mov_b32 s28, exec_lo
	v_cmpx_ne_u16_e32 0x80, v1
	s_cbranch_execz .LBB6_17320
; %bb.17313:                            ;   in Loop: Header=BB6_16763 Depth=2
	v_and_b32_e32 v2, 0x7c0000, v10
	v_bfe_u32 v1, v10, 16, 2
	s_delay_alu instid0(VALU_DEP_2) | instskip(SKIP_1) | instid1(SALU_CYCLE_1)
	v_cmp_ne_u32_e32 vcc_lo, 0x7c0000, v2
                                        ; implicit-def: $vgpr2
	s_and_saveexec_b32 s29, vcc_lo
	s_xor_b32 s29, exec_lo, s29
	s_cbranch_execz .LBB6_17317
; %bb.17314:                            ;   in Loop: Header=BB6_16763 Depth=2
	v_bfe_u32 v2, v10, 18, 5
	s_mov_b32 s40, exec_lo
	s_delay_alu instid0(VALU_DEP_1)
	v_cmpx_eq_u32_e32 0, v2
; %bb.17315:                            ;   in Loop: Header=BB6_16763 Depth=2
	v_clz_i32_u32_e32 v1, v1
	s_delay_alu instid0(VALU_DEP_1) | instskip(NEXT) | instid1(VALU_DEP_1)
	v_min_u32_e32 v1, 32, v1
	v_subrev_nc_u32_e32 v2, 29, v1
	s_delay_alu instid0(VALU_DEP_1) | instskip(NEXT) | instid1(VALU_DEP_1)
	v_lshlrev_b64_e32 v[6:7], v2, v[0:1]
	v_dual_sub_nc_u32 v2, 30, v1 :: v_dual_bitop2_b32 v1, 3, v6 bitop3:0x40
; %bb.17316:                            ;   in Loop: Header=BB6_16763 Depth=2
	s_or_b32 exec_lo, exec_lo, s40
	v_lshlrev_b32_e32 v0, 24, v0
	s_delay_alu instid0(VALU_DEP_1) | instskip(NEXT) | instid1(VALU_DEP_1)
	v_and_b32_e32 v0, 0x80000000, v0
	v_lshl_add_u32 v0, v2, 23, v0
	s_delay_alu instid0(VALU_DEP_1) | instskip(NEXT) | instid1(VALU_DEP_1)
	v_lshl_or_b32 v0, v1, 21, v0
                                        ; implicit-def: $vgpr1
	v_add_nc_u32_e32 v2, 0x38000000, v0
                                        ; implicit-def: $vgpr0
.LBB6_17317:                            ;   in Loop: Header=BB6_16763 Depth=2
	s_and_not1_saveexec_b32 s29, s29
; %bb.17318:                            ;   in Loop: Header=BB6_16763 Depth=2
	v_bfe_i32 v0, v0, 0, 8
	s_delay_alu instid0(VALU_DEP_1) | instskip(SKIP_2) | instid1(VALU_DEP_2)
	v_cmp_lt_i16_e32 vcc_lo, -1, v0
	v_cndmask_b32_e32 v0, 0xff800000, v29, vcc_lo
	v_cmp_eq_u32_e32 vcc_lo, 0, v1
	v_cndmask_b32_e32 v2, 0x7f800001, v0, vcc_lo
; %bb.17319:                            ;   in Loop: Header=BB6_16763 Depth=2
	s_or_b32 exec_lo, exec_lo, s29
.LBB6_17320:                            ;   in Loop: Header=BB6_16763 Depth=2
	s_delay_alu instid0(SALU_CYCLE_1)
	s_or_b32 exec_lo, exec_lo, s28
.LBB6_17321:                            ;   in Loop: Header=BB6_16763 Depth=2
	s_delay_alu instid0(SALU_CYCLE_1) | instskip(NEXT) | instid1(VALU_DEP_1)
	s_or_b32 exec_lo, exec_lo, s10
	v_dual_mul_f32 v0, s27, v2 :: v_dual_mov_b32 v3, v55
	s_delay_alu instid0(VALU_DEP_1) | instskip(SKIP_2) | instid1(VALU_DEP_3)
	v_and_b32_e32 v2, 0x7f800000, v0
	v_and_b32_e32 v54, 0x7fffff, v0
	v_lshrrev_b32_e32 v1, 24, v0
	v_cmp_ne_u64_e32 vcc_lo, 0x7f800000, v[2:3]
                                        ; implicit-def: $vgpr2
                                        ; kill: killed $vgpr2
	s_and_saveexec_b32 s10, vcc_lo
	s_delay_alu instid0(SALU_CYCLE_1)
	s_xor_b32 s28, exec_lo, s10
	s_cbranch_execz .LBB6_17335
; %bb.17322:                            ;   in Loop: Header=BB6_16763 Depth=2
	v_and_b32_e32 v2, 0x7fffffff, v0
	v_mov_b32_e32 v3, v55
	v_and_b32_e32 v5, 0x80, v1
                                        ; implicit-def: $vgpr1
                                        ; kill: killed $vgpr1
	s_mov_b32 s10, exec_lo
	s_delay_alu instid0(VALU_DEP_2)
	v_cmpx_gt_u64_e32 0x47600001, v[2:3]
	s_xor_b32 s29, exec_lo, s10
	s_cbranch_execz .LBB6_17332
; %bb.17323:                            ;   in Loop: Header=BB6_16763 Depth=2
	v_mov_b32_e32 v1, 0
	s_mov_b32 s40, exec_lo
	scratch_store_b32 off, v1, s33 offset:356 ; 4-byte Folded Spill
	s_wait_xcnt 0x0
	v_cmpx_ne_u32_e32 0, v0
	s_cbranch_execz .LBB6_17331
; %bb.17324:                            ;   in Loop: Header=BB6_16763 Depth=2
	v_bfe_u32 v6, v0, 23, 8
	v_or_b32_e32 v2, 0x800000, v54
	s_mov_b32 s41, exec_lo
	s_delay_alu instid0(VALU_DEP_2) | instskip(SKIP_1) | instid1(VALU_DEP_2)
	v_dual_mov_b32 v3, v55 :: v_dual_sub_nc_u32 v0, 0x71, v6
	v_cmp_gt_u32_e32 vcc_lo, 0x72, v6
	v_cndmask_b32_e32 v0, 0, v0, vcc_lo
	v_cmp_eq_u32_e32 vcc_lo, 0, v6
	s_delay_alu instid0(VALU_DEP_2) | instskip(NEXT) | instid1(VALU_DEP_1)
	v_cndmask_b32_e64 v7, v0, 0x70, vcc_lo
	v_dual_cndmask_b32 v2, v2, v54, vcc_lo :: v_dual_add_nc_u32 v0, 21, v7
	v_add_nc_u32_e32 v8, 20, v7
	s_delay_alu instid0(VALU_DEP_2) | instskip(NEXT) | instid1(VALU_DEP_2)
	v_lshlrev_b64_e64 v[0:1], v0, -1
	v_lshlrev_b64_e64 v[8:9], v8, 1
	s_delay_alu instid0(VALU_DEP_2) | instskip(NEXT) | instid1(VALU_DEP_3)
	v_bfi_b32 v17, v1, 0, 0
	v_bfi_b32 v16, v0, 0, v2
	v_lshrrev_b64 v[0:1], v7, v[2:3]
	s_delay_alu instid0(VALU_DEP_1) | instskip(NEXT) | instid1(VALU_DEP_3)
	v_mov_b64_e32 v[2:3], v[0:1]
	v_cmpx_eq_u64_e64 v[16:17], v[8:9]
; %bb.17325:                            ;   in Loop: Header=BB6_16763 Depth=2
	v_bfe_u32 v2, v0, 21, 1
	v_mov_b32_e32 v3, v55
	s_delay_alu instid0(VALU_DEP_1) | instskip(NEXT) | instid1(VALU_DEP_1)
	v_add_nc_u64_e32 v[2:3], v[0:1], v[2:3]
	v_add_nc_u64_e32 v[2:3], -1, v[2:3]
; %bb.17326:                            ;   in Loop: Header=BB6_16763 Depth=2
	s_or_b32 exec_lo, exec_lo, s41
	v_add_nc_u32_e32 v1, 0xffffff81, v6
	v_lshrrev_b32_e32 v3, 23, v0
	s_mov_b32 s10, exec_lo
	s_delay_alu instid0(VALU_DEP_2) | instskip(NEXT) | instid1(VALU_DEP_1)
	v_cndmask_b32_e64 v1, v1, 0xffffff82, vcc_lo
	v_add3_u32 v3, v7, v1, v3
	v_and_b32_e32 v1, 0x1fffff, v2
                                        ; implicit-def: $vgpr2
	s_delay_alu instid0(VALU_DEP_1) | instskip(NEXT) | instid1(VALU_DEP_1)
	v_dual_add_nc_u32 v6, 14, v3 :: v_dual_add_nc_u32 v54, v1, v0
                                        ; implicit-def: $vgpr0_vgpr1
	v_cmpx_ne_u32_e32 0, v6
	s_xor_b32 s10, exec_lo, s10
; %bb.17327:                            ;   in Loop: Header=BB6_16763 Depth=2
	s_delay_alu instid0(VALU_DEP_2) | instskip(SKIP_1) | instid1(VALU_DEP_1)
	v_cmp_lt_u64_e32 vcc_lo, 0xffffff, v[54:55]
	v_add_nc_u32_e32 v0, 15, v3
	v_cndmask_b32_e32 v2, v6, v0, vcc_lo
	v_cndmask_b32_e64 v0, 0, 1, vcc_lo
	s_delay_alu instid0(VALU_DEP_1)
	v_lshrrev_b64 v[0:1], v0, v[54:55]
; %bb.17328:                            ;   in Loop: Header=BB6_16763 Depth=2
	s_and_not1_saveexec_b32 s10, s10
; %bb.17329:                            ;   in Loop: Header=BB6_16763 Depth=2
	v_mov_b64_e32 v[0:1], v[54:55]
	v_bfe_u32 v2, v54, 23, 1
; %bb.17330:                            ;   in Loop: Header=BB6_16763 Depth=2
	s_or_b32 exec_lo, exec_lo, s10
	s_delay_alu instid0(VALU_DEP_2) | instskip(NEXT) | instid1(VALU_DEP_2)
	v_lshrrev_b64 v[0:1], 21, v[0:1]
	v_cmp_gt_i32_e32 vcc_lo, 32, v2
	v_min_i32_e32 v3, 31, v2
	v_cmp_eq_u32_e64 s10, 0, v2
	s_delay_alu instid0(VALU_DEP_2) | instskip(SKIP_1) | instid1(VALU_DEP_2)
	v_dual_cndmask_b32 v1, 0, v1, vcc_lo :: v_dual_lshlrev_b32 v3, 2, v3
	v_cndmask_b32_e32 v0, 3, v0, vcc_lo
	v_and_b32_e32 v3, 0xfc, v3
	s_delay_alu instid0(VALU_DEP_2) | instskip(NEXT) | instid1(VALU_DEP_2)
	v_cmp_eq_u64_e32 vcc_lo, 0, v[0:1]
	v_and_or_b32 v0, v0, 3, v3
	s_and_b32 s10, s10, vcc_lo
	s_delay_alu instid0(VALU_DEP_1) | instid1(SALU_CYCLE_1)
	v_cndmask_b32_e64 v0, v0, 0, s10
	s_delay_alu instid0(VALU_DEP_1)
	v_or_b32_e32 v0, v0, v5
	scratch_store_b32 off, v0, s33 offset:356 ; 4-byte Folded Spill
.LBB6_17331:                            ;   in Loop: Header=BB6_16763 Depth=2
	s_wait_xcnt 0x0
	s_or_b32 exec_lo, exec_lo, s40
                                        ; implicit-def: $vgpr5
.LBB6_17332:                            ;   in Loop: Header=BB6_16763 Depth=2
	s_and_not1_saveexec_b32 s10, s29
	s_cbranch_execz .LBB6_17334
; %bb.17333:                            ;   in Loop: Header=BB6_16763 Depth=2
	v_or_b32_e32 v0, 0x7b, v5
	scratch_store_b32 off, v0, s33 offset:356 ; 4-byte Folded Spill
.LBB6_17334:                            ;   in Loop: Header=BB6_16763 Depth=2
	s_wait_xcnt 0x0
	s_or_b32 exec_lo, exec_lo, s10
                                        ; implicit-def: $vgpr0
                                        ; implicit-def: $vgpr1
.LBB6_17335:                            ;   in Loop: Header=BB6_16763 Depth=2
	s_and_not1_saveexec_b32 s10, s28
	s_cbranch_execz .LBB6_17341
; %bb.17336:                            ;   in Loop: Header=BB6_16763 Depth=2
	s_mov_b32 s28, exec_lo
                                        ; implicit-def: $vgpr2
                                        ; kill: killed $vgpr2
	v_cmpx_ne_u64_e32 0, v[54:55]
	s_xor_b32 s28, exec_lo, s28
	s_cbranch_execz .LBB6_17338
; %bb.17337:                            ;   in Loop: Header=BB6_16763 Depth=2
	v_or_b32_e32 v0, 0x7f, v1
	scratch_store_b32 off, v0, s33 offset:356 ; 4-byte Folded Spill
                                        ; implicit-def: $vgpr0
.LBB6_17338:                            ;   in Loop: Header=BB6_16763 Depth=2
	s_wait_xcnt 0x0
	s_and_not1_saveexec_b32 s28, s28
	s_cbranch_execz .LBB6_17340
; %bb.17339:                            ;   in Loop: Header=BB6_16763 Depth=2
	v_cmp_lt_i32_e32 vcc_lo, -1, v0
	v_cndmask_b32_e32 v0, 0xfc, v30, vcc_lo
	scratch_store_b32 off, v0, s33 offset:356 ; 4-byte Folded Spill
.LBB6_17340:                            ;   in Loop: Header=BB6_16763 Depth=2
	s_wait_xcnt 0x0
	s_or_b32 exec_lo, exec_lo, s28
.LBB6_17341:                            ;   in Loop: Header=BB6_16763 Depth=2
	s_delay_alu instid0(SALU_CYCLE_1)
	s_or_b32 exec_lo, exec_lo, s10
	v_mov_b32_e32 v1, 0
	s_mov_b32 s10, exec_lo
	v_cmpx_lt_u32_e32 0xffffff, v10
	s_cbranch_execz .LBB6_17351
; %bb.17342:                            ;   in Loop: Header=BB6_16763 Depth=2
	v_lshrrev_b32_e32 v0, 24, v10
	v_bfrev_b32_e32 v1, 1
	s_mov_b32 s28, exec_lo
	s_delay_alu instid0(VALU_DEP_2)
	v_cmpx_ne_u32_e32 0x80, v0
	s_cbranch_execz .LBB6_17350
; %bb.17343:                            ;   in Loop: Header=BB6_16763 Depth=2
	v_and_b32_e32 v1, 0x7c000000, v10
	v_bfe_u32 v2, v10, 24, 2
	s_delay_alu instid0(VALU_DEP_2) | instskip(SKIP_1) | instid1(SALU_CYCLE_1)
	v_cmp_ne_u32_e32 vcc_lo, 0x7c000000, v1
                                        ; implicit-def: $vgpr1
	s_and_saveexec_b32 s29, vcc_lo
	s_xor_b32 s29, exec_lo, s29
	s_cbranch_execz .LBB6_17347
; %bb.17344:                            ;   in Loop: Header=BB6_16763 Depth=2
	v_bfe_u32 v1, v10, 26, 5
	s_mov_b32 s40, exec_lo
	s_delay_alu instid0(VALU_DEP_1)
	v_cmpx_eq_u32_e32 0, v1
; %bb.17345:                            ;   in Loop: Header=BB6_16763 Depth=2
	v_clz_i32_u32_e32 v1, v2
	s_delay_alu instid0(VALU_DEP_1) | instskip(NEXT) | instid1(VALU_DEP_1)
	v_min_u32_e32 v2, 32, v1
	v_subrev_nc_u32_e32 v1, 29, v2
	s_delay_alu instid0(VALU_DEP_1) | instskip(NEXT) | instid1(VALU_DEP_1)
	v_lshlrev_b64_e32 v[0:1], v1, v[0:1]
	v_dual_sub_nc_u32 v1, 30, v2 :: v_dual_bitop2_b32 v2, 3, v0 bitop3:0x40
; %bb.17346:                            ;   in Loop: Header=BB6_16763 Depth=2
	s_or_b32 exec_lo, exec_lo, s40
	v_and_b32_e32 v0, 0x80000000, v10
	s_delay_alu instid0(VALU_DEP_1) | instskip(NEXT) | instid1(VALU_DEP_1)
	v_lshl_add_u32 v0, v1, 23, v0
	v_lshl_or_b32 v0, v2, 21, v0
                                        ; implicit-def: $vgpr2
	s_delay_alu instid0(VALU_DEP_1)
	v_add_nc_u32_e32 v1, 0x38000000, v0
.LBB6_17347:                            ;   in Loop: Header=BB6_16763 Depth=2
	s_and_not1_saveexec_b32 s29, s29
; %bb.17348:                            ;   in Loop: Header=BB6_16763 Depth=2
	v_cmp_lt_i32_e32 vcc_lo, -1, v10
	v_cndmask_b32_e32 v0, 0xff800000, v29, vcc_lo
	v_cmp_eq_u32_e32 vcc_lo, 0, v2
	s_delay_alu instid0(VALU_DEP_2)
	v_cndmask_b32_e32 v1, 0x7f800001, v0, vcc_lo
; %bb.17349:                            ;   in Loop: Header=BB6_16763 Depth=2
	s_or_b32 exec_lo, exec_lo, s29
.LBB6_17350:                            ;   in Loop: Header=BB6_16763 Depth=2
	s_delay_alu instid0(SALU_CYCLE_1)
	s_or_b32 exec_lo, exec_lo, s28
.LBB6_17351:                            ;   in Loop: Header=BB6_16763 Depth=2
	s_delay_alu instid0(SALU_CYCLE_1) | instskip(NEXT) | instid1(VALU_DEP_1)
	s_or_b32 exec_lo, exec_lo, s10
	v_dual_mul_f32 v0, s27, v1 :: v_dual_mov_b32 v3, v55
	s_delay_alu instid0(VALU_DEP_1) | instskip(SKIP_2) | instid1(VALU_DEP_3)
	v_and_b32_e32 v2, 0x7f800000, v0
	v_and_b32_e32 v54, 0x7fffff, v0
	v_lshrrev_b32_e32 v1, 24, v0
	v_cmp_ne_u64_e32 vcc_lo, 0x7f800000, v[2:3]
                                        ; implicit-def: $vgpr2
                                        ; kill: killed $vgpr2
	s_and_saveexec_b32 s10, vcc_lo
	s_delay_alu instid0(SALU_CYCLE_1)
	s_xor_b32 s28, exec_lo, s10
	s_cbranch_execz .LBB6_17365
; %bb.17352:                            ;   in Loop: Header=BB6_16763 Depth=2
	v_and_b32_e32 v2, 0x7fffffff, v0
	v_mov_b32_e32 v3, v55
	v_and_b32_e32 v5, 0x80, v1
                                        ; implicit-def: $vgpr1
                                        ; kill: killed $vgpr1
	s_mov_b32 s10, exec_lo
	s_delay_alu instid0(VALU_DEP_2)
	v_cmpx_gt_u64_e32 0x47600001, v[2:3]
	s_xor_b32 s29, exec_lo, s10
	s_cbranch_execz .LBB6_17362
; %bb.17353:                            ;   in Loop: Header=BB6_16763 Depth=2
	v_mov_b32_e32 v1, 0
	s_mov_b32 s40, exec_lo
	scratch_store_b32 off, v1, s33 offset:360 ; 4-byte Folded Spill
	s_wait_xcnt 0x0
	v_cmpx_ne_u32_e32 0, v0
	s_cbranch_execz .LBB6_17361
; %bb.17354:                            ;   in Loop: Header=BB6_16763 Depth=2
	v_bfe_u32 v6, v0, 23, 8
	v_or_b32_e32 v2, 0x800000, v54
	s_mov_b32 s41, exec_lo
	s_delay_alu instid0(VALU_DEP_2) | instskip(SKIP_1) | instid1(VALU_DEP_2)
	v_dual_mov_b32 v3, v55 :: v_dual_sub_nc_u32 v0, 0x71, v6
	v_cmp_gt_u32_e32 vcc_lo, 0x72, v6
	v_cndmask_b32_e32 v0, 0, v0, vcc_lo
	v_cmp_eq_u32_e32 vcc_lo, 0, v6
	s_delay_alu instid0(VALU_DEP_2) | instskip(NEXT) | instid1(VALU_DEP_1)
	v_cndmask_b32_e64 v7, v0, 0x70, vcc_lo
	v_dual_cndmask_b32 v2, v2, v54, vcc_lo :: v_dual_add_nc_u32 v0, 21, v7
	v_add_nc_u32_e32 v8, 20, v7
	s_delay_alu instid0(VALU_DEP_2) | instskip(NEXT) | instid1(VALU_DEP_2)
	v_lshlrev_b64_e64 v[0:1], v0, -1
	v_lshlrev_b64_e64 v[8:9], v8, 1
	s_delay_alu instid0(VALU_DEP_2) | instskip(NEXT) | instid1(VALU_DEP_3)
	v_bfi_b32 v17, v1, 0, 0
	v_bfi_b32 v16, v0, 0, v2
	v_lshrrev_b64 v[0:1], v7, v[2:3]
	s_delay_alu instid0(VALU_DEP_1) | instskip(NEXT) | instid1(VALU_DEP_3)
	v_mov_b64_e32 v[2:3], v[0:1]
	v_cmpx_eq_u64_e64 v[16:17], v[8:9]
; %bb.17355:                            ;   in Loop: Header=BB6_16763 Depth=2
	v_bfe_u32 v2, v0, 21, 1
	v_mov_b32_e32 v3, v55
	s_delay_alu instid0(VALU_DEP_1) | instskip(NEXT) | instid1(VALU_DEP_1)
	v_add_nc_u64_e32 v[2:3], v[0:1], v[2:3]
	v_add_nc_u64_e32 v[2:3], -1, v[2:3]
; %bb.17356:                            ;   in Loop: Header=BB6_16763 Depth=2
	s_or_b32 exec_lo, exec_lo, s41
	v_add_nc_u32_e32 v1, 0xffffff81, v6
	v_lshrrev_b32_e32 v3, 23, v0
	s_mov_b32 s10, exec_lo
	s_delay_alu instid0(VALU_DEP_2) | instskip(NEXT) | instid1(VALU_DEP_1)
	v_cndmask_b32_e64 v1, v1, 0xffffff82, vcc_lo
	v_add3_u32 v3, v7, v1, v3
	v_and_b32_e32 v1, 0x1fffff, v2
                                        ; implicit-def: $vgpr2
	s_delay_alu instid0(VALU_DEP_1) | instskip(NEXT) | instid1(VALU_DEP_1)
	v_dual_add_nc_u32 v6, 14, v3 :: v_dual_add_nc_u32 v54, v1, v0
                                        ; implicit-def: $vgpr0_vgpr1
	v_cmpx_ne_u32_e32 0, v6
	s_xor_b32 s10, exec_lo, s10
; %bb.17357:                            ;   in Loop: Header=BB6_16763 Depth=2
	s_delay_alu instid0(VALU_DEP_2) | instskip(SKIP_1) | instid1(VALU_DEP_1)
	v_cmp_lt_u64_e32 vcc_lo, 0xffffff, v[54:55]
	v_add_nc_u32_e32 v0, 15, v3
	v_cndmask_b32_e32 v2, v6, v0, vcc_lo
	v_cndmask_b32_e64 v0, 0, 1, vcc_lo
	s_delay_alu instid0(VALU_DEP_1)
	v_lshrrev_b64 v[0:1], v0, v[54:55]
; %bb.17358:                            ;   in Loop: Header=BB6_16763 Depth=2
	s_and_not1_saveexec_b32 s10, s10
; %bb.17359:                            ;   in Loop: Header=BB6_16763 Depth=2
	v_mov_b64_e32 v[0:1], v[54:55]
	v_bfe_u32 v2, v54, 23, 1
; %bb.17360:                            ;   in Loop: Header=BB6_16763 Depth=2
	s_or_b32 exec_lo, exec_lo, s10
	s_delay_alu instid0(VALU_DEP_2) | instskip(NEXT) | instid1(VALU_DEP_2)
	v_lshrrev_b64 v[0:1], 21, v[0:1]
	v_cmp_gt_i32_e32 vcc_lo, 32, v2
	v_min_i32_e32 v3, 31, v2
	v_cmp_eq_u32_e64 s10, 0, v2
	s_delay_alu instid0(VALU_DEP_2) | instskip(SKIP_1) | instid1(VALU_DEP_2)
	v_dual_cndmask_b32 v1, 0, v1, vcc_lo :: v_dual_lshlrev_b32 v3, 2, v3
	v_cndmask_b32_e32 v0, 3, v0, vcc_lo
	v_and_b32_e32 v3, 0xfc, v3
	s_delay_alu instid0(VALU_DEP_2) | instskip(NEXT) | instid1(VALU_DEP_2)
	v_cmp_eq_u64_e32 vcc_lo, 0, v[0:1]
	v_and_or_b32 v0, v0, 3, v3
	s_and_b32 s10, s10, vcc_lo
	s_delay_alu instid0(VALU_DEP_1) | instid1(SALU_CYCLE_1)
	v_cndmask_b32_e64 v0, v0, 0, s10
	s_delay_alu instid0(VALU_DEP_1)
	v_or_b32_e32 v0, v0, v5
	scratch_store_b32 off, v0, s33 offset:360 ; 4-byte Folded Spill
.LBB6_17361:                            ;   in Loop: Header=BB6_16763 Depth=2
	s_wait_xcnt 0x0
	s_or_b32 exec_lo, exec_lo, s40
                                        ; implicit-def: $vgpr5
.LBB6_17362:                            ;   in Loop: Header=BB6_16763 Depth=2
	s_and_not1_saveexec_b32 s10, s29
	s_cbranch_execz .LBB6_17364
; %bb.17363:                            ;   in Loop: Header=BB6_16763 Depth=2
	v_or_b32_e32 v0, 0x7b, v5
	scratch_store_b32 off, v0, s33 offset:360 ; 4-byte Folded Spill
.LBB6_17364:                            ;   in Loop: Header=BB6_16763 Depth=2
	s_wait_xcnt 0x0
	s_or_b32 exec_lo, exec_lo, s10
                                        ; implicit-def: $vgpr0
                                        ; implicit-def: $vgpr1
.LBB6_17365:                            ;   in Loop: Header=BB6_16763 Depth=2
	s_and_not1_saveexec_b32 s10, s28
	s_cbranch_execz .LBB6_17371
; %bb.17366:                            ;   in Loop: Header=BB6_16763 Depth=2
	s_mov_b32 s28, exec_lo
                                        ; implicit-def: $vgpr2
                                        ; kill: killed $vgpr2
	v_cmpx_ne_u64_e32 0, v[54:55]
	s_xor_b32 s28, exec_lo, s28
	s_cbranch_execz .LBB6_17368
; %bb.17367:                            ;   in Loop: Header=BB6_16763 Depth=2
	v_or_b32_e32 v0, 0x7f, v1
	scratch_store_b32 off, v0, s33 offset:360 ; 4-byte Folded Spill
                                        ; implicit-def: $vgpr0
.LBB6_17368:                            ;   in Loop: Header=BB6_16763 Depth=2
	s_wait_xcnt 0x0
	s_and_not1_saveexec_b32 s28, s28
	s_cbranch_execz .LBB6_17370
; %bb.17369:                            ;   in Loop: Header=BB6_16763 Depth=2
	v_cmp_lt_i32_e32 vcc_lo, -1, v0
	v_cndmask_b32_e32 v0, 0xfc, v30, vcc_lo
	scratch_store_b32 off, v0, s33 offset:360 ; 4-byte Folded Spill
.LBB6_17370:                            ;   in Loop: Header=BB6_16763 Depth=2
	s_wait_xcnt 0x0
	s_or_b32 exec_lo, exec_lo, s28
.LBB6_17371:                            ;   in Loop: Header=BB6_16763 Depth=2
	s_delay_alu instid0(SALU_CYCLE_1) | instskip(SKIP_3) | instid1(VALU_DEP_2)
	s_or_b32 exec_lo, exec_lo, s10
	v_and_b32_e32 v0, 0xff, v11
	v_dual_mov_b32 v54, v11 :: v_dual_mov_b32 v1, 0
	s_mov_b32 s10, exec_lo
	v_cmpx_ne_u16_e32 0, v0
	s_cbranch_execz .LBB6_17381
; %bb.17372:                            ;   in Loop: Header=BB6_16763 Depth=2
	v_bfrev_b32_e32 v1, 1
	s_mov_b32 s28, exec_lo
	v_cmpx_ne_u16_e32 0x80, v0
	s_cbranch_execz .LBB6_17380
; %bb.17373:                            ;   in Loop: Header=BB6_16763 Depth=2
	v_and_b32_e32 v1, 0x7c, v11
	v_and_b32_e32 v0, 3, v11
	s_delay_alu instid0(VALU_DEP_2) | instskip(SKIP_1) | instid1(SALU_CYCLE_1)
	v_cmp_ne_u32_e32 vcc_lo, 0x7c, v1
                                        ; implicit-def: $vgpr1
	s_and_saveexec_b32 s29, vcc_lo
	s_xor_b32 s29, exec_lo, s29
	s_cbranch_execz .LBB6_17377
; %bb.17374:                            ;   in Loop: Header=BB6_16763 Depth=2
	v_bfe_u32 v1, v11, 2, 5
	s_mov_b32 s40, exec_lo
	s_delay_alu instid0(VALU_DEP_1)
	v_cmpx_eq_u32_e32 0, v1
; %bb.17375:                            ;   in Loop: Header=BB6_16763 Depth=2
	v_clz_i32_u32_e32 v0, v0
	s_delay_alu instid0(VALU_DEP_1) | instskip(NEXT) | instid1(VALU_DEP_1)
	v_min_u32_e32 v2, 32, v0
	v_subrev_nc_u32_e32 v0, 29, v2
	s_delay_alu instid0(VALU_DEP_1) | instskip(NEXT) | instid1(VALU_DEP_1)
	v_lshlrev_b64_e32 v[0:1], v0, v[54:55]
	v_dual_sub_nc_u32 v1, 30, v2 :: v_dual_bitop2_b32 v0, 3, v0 bitop3:0x40
; %bb.17376:                            ;   in Loop: Header=BB6_16763 Depth=2
	s_or_b32 exec_lo, exec_lo, s40
	v_lshlrev_b32_e32 v2, 24, v11
	s_delay_alu instid0(VALU_DEP_1) | instskip(NEXT) | instid1(VALU_DEP_1)
	v_and_b32_e32 v2, 0x80000000, v2
	v_lshl_add_u32 v1, v1, 23, v2
	s_delay_alu instid0(VALU_DEP_1) | instskip(NEXT) | instid1(VALU_DEP_1)
	v_lshl_or_b32 v0, v0, 21, v1
	v_add_nc_u32_e32 v1, 0x38000000, v0
                                        ; implicit-def: $vgpr0
.LBB6_17377:                            ;   in Loop: Header=BB6_16763 Depth=2
	s_and_not1_saveexec_b32 s29, s29
; %bb.17378:                            ;   in Loop: Header=BB6_16763 Depth=2
	v_bfe_i32 v1, v11, 0, 8
	s_delay_alu instid0(VALU_DEP_1) | instskip(SKIP_2) | instid1(VALU_DEP_2)
	v_cmp_lt_i16_e32 vcc_lo, -1, v1
	v_cndmask_b32_e32 v1, 0xff800000, v29, vcc_lo
	v_cmp_eq_u32_e32 vcc_lo, 0, v0
	v_cndmask_b32_e32 v1, 0x7f800001, v1, vcc_lo
; %bb.17379:                            ;   in Loop: Header=BB6_16763 Depth=2
	s_or_b32 exec_lo, exec_lo, s29
.LBB6_17380:                            ;   in Loop: Header=BB6_16763 Depth=2
	s_delay_alu instid0(SALU_CYCLE_1)
	s_or_b32 exec_lo, exec_lo, s28
.LBB6_17381:                            ;   in Loop: Header=BB6_16763 Depth=2
	s_delay_alu instid0(SALU_CYCLE_1) | instskip(NEXT) | instid1(VALU_DEP_1)
	s_or_b32 exec_lo, exec_lo, s10
	v_dual_mul_f32 v2, s27, v1 :: v_dual_mov_b32 v7, v55
	v_mov_b32_e32 v1, v55
                                        ; implicit-def: $vgpr5
                                        ; kill: killed $vgpr5
	s_mov_b32 s10, exec_lo
	s_delay_alu instid0(VALU_DEP_2) | instskip(SKIP_2) | instid1(VALU_DEP_3)
	v_and_b32_e32 v6, 0x7f800000, v2
	v_and_b32_e32 v0, 0x7fffff, v2
	v_lshrrev_b32_e32 v3, 24, v2
	v_cmpx_ne_u64_e32 0x7f800000, v[6:7]
	s_xor_b32 s28, exec_lo, s10
	s_cbranch_execz .LBB6_17395
; %bb.17382:                            ;   in Loop: Header=BB6_16763 Depth=2
	v_and_b32_e32 v6, 0x7fffffff, v2
	v_mov_b32_e32 v7, v55
	v_and_b32_e32 v5, 0x80, v3
                                        ; implicit-def: $vgpr3
                                        ; kill: killed $vgpr3
	s_mov_b32 s10, exec_lo
	s_delay_alu instid0(VALU_DEP_2)
	v_cmpx_gt_u64_e32 0x47600001, v[6:7]
	s_xor_b32 s29, exec_lo, s10
	s_cbranch_execz .LBB6_17392
; %bb.17383:                            ;   in Loop: Header=BB6_16763 Depth=2
	v_mov_b32_e32 v3, 0
	s_mov_b32 s40, exec_lo
	scratch_store_b32 off, v3, s33 offset:368 ; 4-byte Folded Spill
	s_wait_xcnt 0x0
	v_cmpx_ne_u32_e32 0, v2
	s_cbranch_execz .LBB6_17391
; %bb.17384:                            ;   in Loop: Header=BB6_16763 Depth=2
	v_bfe_u32 v6, v2, 23, 8
	v_or_b32_e32 v8, 0x800000, v0
	s_delay_alu instid0(VALU_DEP_2) | instskip(SKIP_1) | instid1(VALU_DEP_2)
	v_sub_nc_u32_e32 v2, 0x71, v6
	v_cmp_gt_u32_e32 vcc_lo, 0x72, v6
	v_cndmask_b32_e32 v2, 0, v2, vcc_lo
	v_cmp_eq_u32_e32 vcc_lo, 0, v6
	s_delay_alu instid0(VALU_DEP_2) | instskip(NEXT) | instid1(VALU_DEP_1)
	v_cndmask_b32_e64 v7, v2, 0x70, vcc_lo
	v_dual_cndmask_b32 v0, v8, v0, vcc_lo :: v_dual_add_nc_u32 v2, 21, v7
	v_add_nc_u32_e32 v9, 20, v7
	s_delay_alu instid0(VALU_DEP_2) | instskip(NEXT) | instid1(VALU_DEP_2)
	v_lshlrev_b64_e64 v[2:3], v2, -1
	v_lshlrev_b64_e64 v[8:9], v9, 1
	s_delay_alu instid0(VALU_DEP_2) | instskip(SKIP_1) | instid1(VALU_DEP_4)
	v_bfi_b32 v2, v2, 0, v0
	v_lshrrev_b64 v[0:1], v7, v[0:1]
	v_bfi_b32 v3, v3, 0, 0
	s_delay_alu instid0(VALU_DEP_1) | instskip(NEXT) | instid1(VALU_DEP_3)
	v_cmp_eq_u64_e64 s10, v[2:3], v[8:9]
	v_mov_b64_e32 v[2:3], v[0:1]
	s_and_saveexec_b32 s41, s10
; %bb.17385:                            ;   in Loop: Header=BB6_16763 Depth=2
	v_bfe_u32 v2, v0, 21, 1
	v_mov_b32_e32 v3, v55
	s_delay_alu instid0(VALU_DEP_1) | instskip(NEXT) | instid1(VALU_DEP_1)
	v_add_nc_u64_e32 v[2:3], v[0:1], v[2:3]
	v_add_nc_u64_e32 v[2:3], -1, v[2:3]
; %bb.17386:                            ;   in Loop: Header=BB6_16763 Depth=2
	s_or_b32 exec_lo, exec_lo, s41
	v_add_nc_u32_e32 v1, 0xffffff81, v6
	v_lshrrev_b32_e32 v3, 23, v0
	s_mov_b32 s10, exec_lo
	s_delay_alu instid0(VALU_DEP_2) | instskip(NEXT) | instid1(VALU_DEP_1)
	v_cndmask_b32_e64 v1, v1, 0xffffff82, vcc_lo
	v_add3_u32 v3, v7, v1, v3
	v_and_b32_e32 v1, 0x1fffff, v2
                                        ; implicit-def: $vgpr2
	s_delay_alu instid0(VALU_DEP_1) | instskip(SKIP_1) | instid1(VALU_DEP_2)
	v_dual_add_nc_u32 v6, 14, v3 :: v_dual_add_nc_u32 v0, v1, v0
	v_mov_b32_e32 v1, v55
	v_cmpx_ne_u32_e32 0, v6
	s_xor_b32 s10, exec_lo, s10
; %bb.17387:                            ;   in Loop: Header=BB6_16763 Depth=2
	s_delay_alu instid0(VALU_DEP_2) | instskip(SKIP_2) | instid1(VALU_DEP_2)
	v_cmp_lt_u64_e32 vcc_lo, 0xffffff, v[0:1]
	v_add_nc_u32_e32 v2, 15, v3
	v_cndmask_b32_e64 v3, 0, 1, vcc_lo
	v_cndmask_b32_e32 v2, v6, v2, vcc_lo
	s_delay_alu instid0(VALU_DEP_2)
	v_lshrrev_b64 v[0:1], v3, v[0:1]
; %bb.17388:                            ;   in Loop: Header=BB6_16763 Depth=2
	s_and_not1_saveexec_b32 s10, s10
; %bb.17389:                            ;   in Loop: Header=BB6_16763 Depth=2
	s_delay_alu instid0(VALU_DEP_1)
	v_bfe_u32 v2, v0, 23, 1
; %bb.17390:                            ;   in Loop: Header=BB6_16763 Depth=2
	s_or_b32 exec_lo, exec_lo, s10
	s_delay_alu instid0(VALU_DEP_2) | instskip(NEXT) | instid1(VALU_DEP_2)
	v_lshrrev_b64 v[0:1], 21, v[0:1]
	v_cmp_gt_i32_e32 vcc_lo, 32, v2
	v_min_i32_e32 v3, 31, v2
	v_cmp_eq_u32_e64 s10, 0, v2
	s_delay_alu instid0(VALU_DEP_2) | instskip(SKIP_1) | instid1(VALU_DEP_2)
	v_dual_cndmask_b32 v1, 0, v1, vcc_lo :: v_dual_lshlrev_b32 v3, 2, v3
	v_cndmask_b32_e32 v0, 3, v0, vcc_lo
	v_and_b32_e32 v3, 0xfc, v3
	s_delay_alu instid0(VALU_DEP_2) | instskip(NEXT) | instid1(VALU_DEP_2)
	v_cmp_eq_u64_e32 vcc_lo, 0, v[0:1]
	v_and_or_b32 v0, v0, 3, v3
	s_and_b32 s10, s10, vcc_lo
	s_delay_alu instid0(VALU_DEP_1) | instid1(SALU_CYCLE_1)
	v_cndmask_b32_e64 v0, v0, 0, s10
	s_delay_alu instid0(VALU_DEP_1)
	v_or_b32_e32 v0, v0, v5
	scratch_store_b32 off, v0, s33 offset:368 ; 4-byte Folded Spill
.LBB6_17391:                            ;   in Loop: Header=BB6_16763 Depth=2
	s_wait_xcnt 0x0
	s_or_b32 exec_lo, exec_lo, s40
                                        ; implicit-def: $vgpr5
.LBB6_17392:                            ;   in Loop: Header=BB6_16763 Depth=2
	s_and_not1_saveexec_b32 s10, s29
	s_cbranch_execz .LBB6_17394
; %bb.17393:                            ;   in Loop: Header=BB6_16763 Depth=2
	v_or_b32_e32 v0, 0x7b, v5
	scratch_store_b32 off, v0, s33 offset:368 ; 4-byte Folded Spill
.LBB6_17394:                            ;   in Loop: Header=BB6_16763 Depth=2
	s_wait_xcnt 0x0
	s_or_b32 exec_lo, exec_lo, s10
                                        ; implicit-def: $vgpr2
                                        ; implicit-def: $vgpr0_vgpr1
                                        ; implicit-def: $vgpr3
.LBB6_17395:                            ;   in Loop: Header=BB6_16763 Depth=2
	s_and_not1_saveexec_b32 s10, s28
	s_cbranch_execz .LBB6_17401
; %bb.17396:                            ;   in Loop: Header=BB6_16763 Depth=2
	v_cmp_ne_u64_e32 vcc_lo, 0, v[0:1]
                                        ; implicit-def: $vgpr0
                                        ; kill: killed $vgpr0
	s_and_saveexec_b32 s28, vcc_lo
	s_delay_alu instid0(SALU_CYCLE_1)
	s_xor_b32 s28, exec_lo, s28
	s_cbranch_execz .LBB6_17398
; %bb.17397:                            ;   in Loop: Header=BB6_16763 Depth=2
	v_or_b32_e32 v0, 0x7f, v3
                                        ; implicit-def: $vgpr2
	scratch_store_b32 off, v0, s33 offset:368 ; 4-byte Folded Spill
.LBB6_17398:                            ;   in Loop: Header=BB6_16763 Depth=2
	s_wait_xcnt 0x0
	s_and_not1_saveexec_b32 s28, s28
	s_cbranch_execz .LBB6_17400
; %bb.17399:                            ;   in Loop: Header=BB6_16763 Depth=2
	v_cmp_lt_i32_e32 vcc_lo, -1, v2
	v_cndmask_b32_e32 v0, 0xfc, v30, vcc_lo
	scratch_store_b32 off, v0, s33 offset:368 ; 4-byte Folded Spill
.LBB6_17400:                            ;   in Loop: Header=BB6_16763 Depth=2
	s_wait_xcnt 0x0
	s_or_b32 exec_lo, exec_lo, s28
.LBB6_17401:                            ;   in Loop: Header=BB6_16763 Depth=2
	s_delay_alu instid0(SALU_CYCLE_1) | instskip(SKIP_3) | instid1(VALU_DEP_2)
	s_or_b32 exec_lo, exec_lo, s10
	v_lshrrev_b16 v0, 8, v54
	v_mov_b32_e32 v2, 0
	s_mov_b32 s10, exec_lo
	v_cmpx_ne_u16_e32 0, v0
	s_cbranch_execz .LBB6_17411
; %bb.17402:                            ;   in Loop: Header=BB6_16763 Depth=2
	v_bfrev_b32_e32 v2, 1
	s_mov_b32 s28, exec_lo
	v_cmpx_ne_u16_e32 0x80, v0
	s_cbranch_execz .LBB6_17410
; %bb.17403:                            ;   in Loop: Header=BB6_16763 Depth=2
	v_and_b32_e32 v3, 0xffff, v0
	s_delay_alu instid0(VALU_DEP_1) | instskip(SKIP_1) | instid1(VALU_DEP_2)
	v_and_b32_e32 v2, 0x7c, v3
	v_and_b32_e32 v1, 3, v3
	v_cmp_ne_u32_e32 vcc_lo, 0x7c, v2
                                        ; implicit-def: $vgpr2
	s_and_saveexec_b32 s29, vcc_lo
	s_delay_alu instid0(SALU_CYCLE_1)
	s_xor_b32 s29, exec_lo, s29
	s_cbranch_execz .LBB6_17407
; %bb.17404:                            ;   in Loop: Header=BB6_16763 Depth=2
	v_bfe_u32 v2, v3, 2, 5
	s_mov_b32 s40, exec_lo
	s_delay_alu instid0(VALU_DEP_1)
	v_cmpx_eq_u32_e32 0, v2
	s_cbranch_execz .LBB6_17406
; %bb.17405:                            ;   in Loop: Header=BB6_16763 Depth=2
	v_clz_i32_u32_e32 v1, v1
	s_delay_alu instid0(VALU_DEP_1) | instskip(SKIP_1) | instid1(VALU_DEP_2)
	v_min_u32_e32 v2, 32, v1
	v_mov_b32_e32 v1, v55
	v_subrev_nc_u32_e32 v3, 29, v2
	v_sub_nc_u32_e32 v2, 30, v2
	s_delay_alu instid0(VALU_DEP_2) | instskip(NEXT) | instid1(VALU_DEP_1)
	v_lshlrev_b64_e32 v[0:1], v3, v[0:1]
	v_and_b32_e32 v1, 3, v0
.LBB6_17406:                            ;   in Loop: Header=BB6_16763 Depth=2
	s_or_b32 exec_lo, exec_lo, s40
	v_lshlrev_b32_e32 v0, 16, v54
	s_delay_alu instid0(VALU_DEP_1) | instskip(NEXT) | instid1(VALU_DEP_1)
	v_and_b32_e32 v0, 0x80000000, v0
	v_lshl_add_u32 v0, v2, 23, v0
	s_delay_alu instid0(VALU_DEP_1) | instskip(NEXT) | instid1(VALU_DEP_1)
	v_lshl_or_b32 v0, v1, 21, v0
                                        ; implicit-def: $vgpr1
	v_add_nc_u32_e32 v2, 0x38000000, v0
.LBB6_17407:                            ;   in Loop: Header=BB6_16763 Depth=2
	s_and_not1_saveexec_b32 s29, s29
; %bb.17408:                            ;   in Loop: Header=BB6_16763 Depth=2
	v_cmp_lt_i16_e32 vcc_lo, -1, v54
	v_cndmask_b32_e32 v0, 0xff800000, v29, vcc_lo
	v_cmp_eq_u32_e32 vcc_lo, 0, v1
	s_delay_alu instid0(VALU_DEP_2)
	v_cndmask_b32_e32 v2, 0x7f800001, v0, vcc_lo
; %bb.17409:                            ;   in Loop: Header=BB6_16763 Depth=2
	s_or_b32 exec_lo, exec_lo, s29
.LBB6_17410:                            ;   in Loop: Header=BB6_16763 Depth=2
	s_delay_alu instid0(SALU_CYCLE_1)
	s_or_b32 exec_lo, exec_lo, s28
.LBB6_17411:                            ;   in Loop: Header=BB6_16763 Depth=2
	s_delay_alu instid0(SALU_CYCLE_1) | instskip(NEXT) | instid1(VALU_DEP_1)
	s_or_b32 exec_lo, exec_lo, s10
	v_dual_mul_f32 v0, s27, v2 :: v_dual_mov_b32 v3, v55
	s_delay_alu instid0(VALU_DEP_1) | instskip(SKIP_2) | instid1(VALU_DEP_3)
	v_and_b32_e32 v2, 0x7f800000, v0
	v_and_b32_e32 v54, 0x7fffff, v0
	v_lshrrev_b32_e32 v1, 24, v0
	v_cmp_ne_u64_e32 vcc_lo, 0x7f800000, v[2:3]
                                        ; implicit-def: $vgpr2
                                        ; kill: killed $vgpr2
	s_and_saveexec_b32 s10, vcc_lo
	s_delay_alu instid0(SALU_CYCLE_1)
	s_xor_b32 s28, exec_lo, s10
	s_cbranch_execz .LBB6_17425
; %bb.17412:                            ;   in Loop: Header=BB6_16763 Depth=2
	v_and_b32_e32 v2, 0x7fffffff, v0
	v_mov_b32_e32 v3, v55
	v_and_b32_e32 v5, 0x80, v1
                                        ; implicit-def: $vgpr1
                                        ; kill: killed $vgpr1
	s_mov_b32 s10, exec_lo
	s_delay_alu instid0(VALU_DEP_2)
	v_cmpx_gt_u64_e32 0x47600001, v[2:3]
	s_xor_b32 s29, exec_lo, s10
	s_cbranch_execz .LBB6_17422
; %bb.17413:                            ;   in Loop: Header=BB6_16763 Depth=2
	v_mov_b32_e32 v1, 0
	s_mov_b32 s40, exec_lo
	scratch_store_b32 off, v1, s33 offset:376 ; 4-byte Folded Spill
	s_wait_xcnt 0x0
	v_cmpx_ne_u32_e32 0, v0
	s_cbranch_execz .LBB6_17421
; %bb.17414:                            ;   in Loop: Header=BB6_16763 Depth=2
	v_bfe_u32 v6, v0, 23, 8
	v_or_b32_e32 v2, 0x800000, v54
	s_mov_b32 s41, exec_lo
	s_delay_alu instid0(VALU_DEP_2) | instskip(SKIP_1) | instid1(VALU_DEP_2)
	v_dual_mov_b32 v3, v55 :: v_dual_sub_nc_u32 v0, 0x71, v6
	v_cmp_gt_u32_e32 vcc_lo, 0x72, v6
	v_cndmask_b32_e32 v0, 0, v0, vcc_lo
	v_cmp_eq_u32_e32 vcc_lo, 0, v6
	s_delay_alu instid0(VALU_DEP_2) | instskip(NEXT) | instid1(VALU_DEP_1)
	v_cndmask_b32_e64 v7, v0, 0x70, vcc_lo
	v_dual_cndmask_b32 v2, v2, v54, vcc_lo :: v_dual_add_nc_u32 v0, 21, v7
	v_add_nc_u32_e32 v8, 20, v7
	s_delay_alu instid0(VALU_DEP_2) | instskip(NEXT) | instid1(VALU_DEP_2)
	v_lshlrev_b64_e64 v[0:1], v0, -1
	v_lshlrev_b64_e64 v[8:9], v8, 1
	s_delay_alu instid0(VALU_DEP_2) | instskip(NEXT) | instid1(VALU_DEP_3)
	v_bfi_b32 v17, v1, 0, 0
	v_bfi_b32 v16, v0, 0, v2
	v_lshrrev_b64 v[0:1], v7, v[2:3]
	s_delay_alu instid0(VALU_DEP_1) | instskip(NEXT) | instid1(VALU_DEP_3)
	v_mov_b64_e32 v[2:3], v[0:1]
	v_cmpx_eq_u64_e64 v[16:17], v[8:9]
; %bb.17415:                            ;   in Loop: Header=BB6_16763 Depth=2
	v_bfe_u32 v2, v0, 21, 1
	v_mov_b32_e32 v3, v55
	s_delay_alu instid0(VALU_DEP_1) | instskip(NEXT) | instid1(VALU_DEP_1)
	v_add_nc_u64_e32 v[2:3], v[0:1], v[2:3]
	v_add_nc_u64_e32 v[2:3], -1, v[2:3]
; %bb.17416:                            ;   in Loop: Header=BB6_16763 Depth=2
	s_or_b32 exec_lo, exec_lo, s41
	v_add_nc_u32_e32 v1, 0xffffff81, v6
	v_lshrrev_b32_e32 v3, 23, v0
	s_mov_b32 s10, exec_lo
	s_delay_alu instid0(VALU_DEP_2) | instskip(NEXT) | instid1(VALU_DEP_1)
	v_cndmask_b32_e64 v1, v1, 0xffffff82, vcc_lo
	v_add3_u32 v3, v7, v1, v3
	v_and_b32_e32 v1, 0x1fffff, v2
                                        ; implicit-def: $vgpr2
	s_delay_alu instid0(VALU_DEP_1) | instskip(NEXT) | instid1(VALU_DEP_1)
	v_dual_add_nc_u32 v6, 14, v3 :: v_dual_add_nc_u32 v54, v1, v0
                                        ; implicit-def: $vgpr0_vgpr1
	v_cmpx_ne_u32_e32 0, v6
	s_xor_b32 s10, exec_lo, s10
; %bb.17417:                            ;   in Loop: Header=BB6_16763 Depth=2
	s_delay_alu instid0(VALU_DEP_2) | instskip(SKIP_1) | instid1(VALU_DEP_1)
	v_cmp_lt_u64_e32 vcc_lo, 0xffffff, v[54:55]
	v_add_nc_u32_e32 v0, 15, v3
	v_cndmask_b32_e32 v2, v6, v0, vcc_lo
	v_cndmask_b32_e64 v0, 0, 1, vcc_lo
	s_delay_alu instid0(VALU_DEP_1)
	v_lshrrev_b64 v[0:1], v0, v[54:55]
; %bb.17418:                            ;   in Loop: Header=BB6_16763 Depth=2
	s_and_not1_saveexec_b32 s10, s10
; %bb.17419:                            ;   in Loop: Header=BB6_16763 Depth=2
	v_mov_b64_e32 v[0:1], v[54:55]
	v_bfe_u32 v2, v54, 23, 1
; %bb.17420:                            ;   in Loop: Header=BB6_16763 Depth=2
	s_or_b32 exec_lo, exec_lo, s10
	s_delay_alu instid0(VALU_DEP_2) | instskip(NEXT) | instid1(VALU_DEP_2)
	v_lshrrev_b64 v[0:1], 21, v[0:1]
	v_cmp_gt_i32_e32 vcc_lo, 32, v2
	v_min_i32_e32 v3, 31, v2
	v_cmp_eq_u32_e64 s10, 0, v2
	s_delay_alu instid0(VALU_DEP_2) | instskip(SKIP_1) | instid1(VALU_DEP_2)
	v_dual_cndmask_b32 v1, 0, v1, vcc_lo :: v_dual_lshlrev_b32 v3, 2, v3
	v_cndmask_b32_e32 v0, 3, v0, vcc_lo
	v_and_b32_e32 v3, 0xfc, v3
	s_delay_alu instid0(VALU_DEP_2) | instskip(NEXT) | instid1(VALU_DEP_2)
	v_cmp_eq_u64_e32 vcc_lo, 0, v[0:1]
	v_and_or_b32 v0, v0, 3, v3
	s_and_b32 s10, s10, vcc_lo
	s_delay_alu instid0(VALU_DEP_1) | instid1(SALU_CYCLE_1)
	v_cndmask_b32_e64 v0, v0, 0, s10
	s_delay_alu instid0(VALU_DEP_1)
	v_or_b32_e32 v0, v0, v5
	scratch_store_b32 off, v0, s33 offset:376 ; 4-byte Folded Spill
.LBB6_17421:                            ;   in Loop: Header=BB6_16763 Depth=2
	s_wait_xcnt 0x0
	s_or_b32 exec_lo, exec_lo, s40
                                        ; implicit-def: $vgpr5
.LBB6_17422:                            ;   in Loop: Header=BB6_16763 Depth=2
	s_and_not1_saveexec_b32 s10, s29
	s_cbranch_execz .LBB6_17424
; %bb.17423:                            ;   in Loop: Header=BB6_16763 Depth=2
	v_or_b32_e32 v0, 0x7b, v5
	scratch_store_b32 off, v0, s33 offset:376 ; 4-byte Folded Spill
.LBB6_17424:                            ;   in Loop: Header=BB6_16763 Depth=2
	s_wait_xcnt 0x0
	s_or_b32 exec_lo, exec_lo, s10
                                        ; implicit-def: $vgpr0
                                        ; implicit-def: $vgpr1
.LBB6_17425:                            ;   in Loop: Header=BB6_16763 Depth=2
	s_and_not1_saveexec_b32 s10, s28
	s_cbranch_execz .LBB6_17431
; %bb.17426:                            ;   in Loop: Header=BB6_16763 Depth=2
	s_mov_b32 s28, exec_lo
                                        ; implicit-def: $vgpr2
                                        ; kill: killed $vgpr2
	v_cmpx_ne_u64_e32 0, v[54:55]
	s_xor_b32 s28, exec_lo, s28
	s_cbranch_execz .LBB6_17428
; %bb.17427:                            ;   in Loop: Header=BB6_16763 Depth=2
	v_or_b32_e32 v0, 0x7f, v1
	scratch_store_b32 off, v0, s33 offset:376 ; 4-byte Folded Spill
                                        ; implicit-def: $vgpr0
.LBB6_17428:                            ;   in Loop: Header=BB6_16763 Depth=2
	s_wait_xcnt 0x0
	s_and_not1_saveexec_b32 s28, s28
	s_cbranch_execz .LBB6_17430
; %bb.17429:                            ;   in Loop: Header=BB6_16763 Depth=2
	v_cmp_lt_i32_e32 vcc_lo, -1, v0
	v_cndmask_b32_e32 v0, 0xfc, v30, vcc_lo
	scratch_store_b32 off, v0, s33 offset:376 ; 4-byte Folded Spill
.LBB6_17430:                            ;   in Loop: Header=BB6_16763 Depth=2
	s_wait_xcnt 0x0
	s_or_b32 exec_lo, exec_lo, s28
.LBB6_17431:                            ;   in Loop: Header=BB6_16763 Depth=2
	s_delay_alu instid0(SALU_CYCLE_1) | instskip(SKIP_2) | instid1(VALU_DEP_1)
	s_or_b32 exec_lo, exec_lo, s10
	v_dual_lshrrev_b32 v0, 16, v11 :: v_dual_mov_b32 v2, 0
	s_mov_b32 s10, exec_lo
	v_and_b32_e32 v1, 0xff, v0
	s_delay_alu instid0(VALU_DEP_1)
	v_cmpx_ne_u16_e32 0, v1
	s_cbranch_execz .LBB6_17441
; %bb.17432:                            ;   in Loop: Header=BB6_16763 Depth=2
	v_bfrev_b32_e32 v2, 1
	s_mov_b32 s28, exec_lo
	v_cmpx_ne_u16_e32 0x80, v1
	s_cbranch_execz .LBB6_17440
; %bb.17433:                            ;   in Loop: Header=BB6_16763 Depth=2
	v_and_b32_e32 v2, 0x7c0000, v11
	v_bfe_u32 v1, v11, 16, 2
	s_delay_alu instid0(VALU_DEP_2) | instskip(SKIP_1) | instid1(SALU_CYCLE_1)
	v_cmp_ne_u32_e32 vcc_lo, 0x7c0000, v2
                                        ; implicit-def: $vgpr2
	s_and_saveexec_b32 s29, vcc_lo
	s_xor_b32 s29, exec_lo, s29
	s_cbranch_execz .LBB6_17437
; %bb.17434:                            ;   in Loop: Header=BB6_16763 Depth=2
	v_bfe_u32 v2, v11, 18, 5
	s_mov_b32 s40, exec_lo
	s_delay_alu instid0(VALU_DEP_1)
	v_cmpx_eq_u32_e32 0, v2
; %bb.17435:                            ;   in Loop: Header=BB6_16763 Depth=2
	v_clz_i32_u32_e32 v1, v1
	s_delay_alu instid0(VALU_DEP_1) | instskip(NEXT) | instid1(VALU_DEP_1)
	v_min_u32_e32 v1, 32, v1
	v_subrev_nc_u32_e32 v2, 29, v1
	s_delay_alu instid0(VALU_DEP_1) | instskip(NEXT) | instid1(VALU_DEP_1)
	v_lshlrev_b64_e32 v[6:7], v2, v[0:1]
	v_dual_sub_nc_u32 v2, 30, v1 :: v_dual_bitop2_b32 v1, 3, v6 bitop3:0x40
; %bb.17436:                            ;   in Loop: Header=BB6_16763 Depth=2
	s_or_b32 exec_lo, exec_lo, s40
	v_lshlrev_b32_e32 v0, 24, v0
	s_delay_alu instid0(VALU_DEP_1) | instskip(NEXT) | instid1(VALU_DEP_1)
	v_and_b32_e32 v0, 0x80000000, v0
	v_lshl_add_u32 v0, v2, 23, v0
	s_delay_alu instid0(VALU_DEP_1) | instskip(NEXT) | instid1(VALU_DEP_1)
	v_lshl_or_b32 v0, v1, 21, v0
                                        ; implicit-def: $vgpr1
	v_add_nc_u32_e32 v2, 0x38000000, v0
                                        ; implicit-def: $vgpr0
.LBB6_17437:                            ;   in Loop: Header=BB6_16763 Depth=2
	s_and_not1_saveexec_b32 s29, s29
; %bb.17438:                            ;   in Loop: Header=BB6_16763 Depth=2
	v_bfe_i32 v0, v0, 0, 8
	s_delay_alu instid0(VALU_DEP_1) | instskip(SKIP_2) | instid1(VALU_DEP_2)
	v_cmp_lt_i16_e32 vcc_lo, -1, v0
	v_cndmask_b32_e32 v0, 0xff800000, v29, vcc_lo
	v_cmp_eq_u32_e32 vcc_lo, 0, v1
	v_cndmask_b32_e32 v2, 0x7f800001, v0, vcc_lo
; %bb.17439:                            ;   in Loop: Header=BB6_16763 Depth=2
	s_or_b32 exec_lo, exec_lo, s29
.LBB6_17440:                            ;   in Loop: Header=BB6_16763 Depth=2
	s_delay_alu instid0(SALU_CYCLE_1)
	s_or_b32 exec_lo, exec_lo, s28
.LBB6_17441:                            ;   in Loop: Header=BB6_16763 Depth=2
	s_delay_alu instid0(SALU_CYCLE_1) | instskip(NEXT) | instid1(VALU_DEP_1)
	s_or_b32 exec_lo, exec_lo, s10
	v_dual_mul_f32 v0, s27, v2 :: v_dual_mov_b32 v3, v55
	s_delay_alu instid0(VALU_DEP_1) | instskip(SKIP_2) | instid1(VALU_DEP_3)
	v_and_b32_e32 v2, 0x7f800000, v0
	v_and_b32_e32 v54, 0x7fffff, v0
	v_lshrrev_b32_e32 v1, 24, v0
	v_cmp_ne_u64_e32 vcc_lo, 0x7f800000, v[2:3]
                                        ; implicit-def: $vgpr2
                                        ; kill: killed $vgpr2
	s_and_saveexec_b32 s10, vcc_lo
	s_delay_alu instid0(SALU_CYCLE_1)
	s_xor_b32 s28, exec_lo, s10
	s_cbranch_execz .LBB6_17455
; %bb.17442:                            ;   in Loop: Header=BB6_16763 Depth=2
	v_and_b32_e32 v2, 0x7fffffff, v0
	v_mov_b32_e32 v3, v55
	v_and_b32_e32 v5, 0x80, v1
                                        ; implicit-def: $vgpr1
                                        ; kill: killed $vgpr1
	s_mov_b32 s10, exec_lo
	s_delay_alu instid0(VALU_DEP_2)
	v_cmpx_gt_u64_e32 0x47600001, v[2:3]
	s_xor_b32 s29, exec_lo, s10
	s_cbranch_execz .LBB6_17452
; %bb.17443:                            ;   in Loop: Header=BB6_16763 Depth=2
	v_mov_b32_e32 v1, 0
	s_mov_b32 s40, exec_lo
	scratch_store_b32 off, v1, s33 offset:380 ; 4-byte Folded Spill
	s_wait_xcnt 0x0
	v_cmpx_ne_u32_e32 0, v0
	s_cbranch_execz .LBB6_17451
; %bb.17444:                            ;   in Loop: Header=BB6_16763 Depth=2
	v_bfe_u32 v6, v0, 23, 8
	v_or_b32_e32 v2, 0x800000, v54
	s_mov_b32 s41, exec_lo
	s_delay_alu instid0(VALU_DEP_2) | instskip(SKIP_1) | instid1(VALU_DEP_2)
	v_dual_mov_b32 v3, v55 :: v_dual_sub_nc_u32 v0, 0x71, v6
	v_cmp_gt_u32_e32 vcc_lo, 0x72, v6
	v_cndmask_b32_e32 v0, 0, v0, vcc_lo
	v_cmp_eq_u32_e32 vcc_lo, 0, v6
	s_delay_alu instid0(VALU_DEP_2) | instskip(NEXT) | instid1(VALU_DEP_1)
	v_cndmask_b32_e64 v7, v0, 0x70, vcc_lo
	v_dual_cndmask_b32 v2, v2, v54, vcc_lo :: v_dual_add_nc_u32 v0, 21, v7
	v_add_nc_u32_e32 v8, 20, v7
	s_delay_alu instid0(VALU_DEP_2) | instskip(NEXT) | instid1(VALU_DEP_2)
	v_lshlrev_b64_e64 v[0:1], v0, -1
	v_lshlrev_b64_e64 v[8:9], v8, 1
	s_delay_alu instid0(VALU_DEP_2) | instskip(NEXT) | instid1(VALU_DEP_3)
	v_bfi_b32 v17, v1, 0, 0
	v_bfi_b32 v16, v0, 0, v2
	v_lshrrev_b64 v[0:1], v7, v[2:3]
	s_delay_alu instid0(VALU_DEP_1) | instskip(NEXT) | instid1(VALU_DEP_3)
	v_mov_b64_e32 v[2:3], v[0:1]
	v_cmpx_eq_u64_e64 v[16:17], v[8:9]
; %bb.17445:                            ;   in Loop: Header=BB6_16763 Depth=2
	v_bfe_u32 v2, v0, 21, 1
	v_mov_b32_e32 v3, v55
	s_delay_alu instid0(VALU_DEP_1) | instskip(NEXT) | instid1(VALU_DEP_1)
	v_add_nc_u64_e32 v[2:3], v[0:1], v[2:3]
	v_add_nc_u64_e32 v[2:3], -1, v[2:3]
; %bb.17446:                            ;   in Loop: Header=BB6_16763 Depth=2
	s_or_b32 exec_lo, exec_lo, s41
	v_add_nc_u32_e32 v1, 0xffffff81, v6
	v_lshrrev_b32_e32 v3, 23, v0
	s_mov_b32 s10, exec_lo
	s_delay_alu instid0(VALU_DEP_2) | instskip(NEXT) | instid1(VALU_DEP_1)
	v_cndmask_b32_e64 v1, v1, 0xffffff82, vcc_lo
	v_add3_u32 v3, v7, v1, v3
	v_and_b32_e32 v1, 0x1fffff, v2
                                        ; implicit-def: $vgpr2
	s_delay_alu instid0(VALU_DEP_1) | instskip(NEXT) | instid1(VALU_DEP_1)
	v_dual_add_nc_u32 v6, 14, v3 :: v_dual_add_nc_u32 v54, v1, v0
                                        ; implicit-def: $vgpr0_vgpr1
	v_cmpx_ne_u32_e32 0, v6
	s_xor_b32 s10, exec_lo, s10
; %bb.17447:                            ;   in Loop: Header=BB6_16763 Depth=2
	s_delay_alu instid0(VALU_DEP_2) | instskip(SKIP_1) | instid1(VALU_DEP_1)
	v_cmp_lt_u64_e32 vcc_lo, 0xffffff, v[54:55]
	v_add_nc_u32_e32 v0, 15, v3
	v_cndmask_b32_e32 v2, v6, v0, vcc_lo
	v_cndmask_b32_e64 v0, 0, 1, vcc_lo
	s_delay_alu instid0(VALU_DEP_1)
	v_lshrrev_b64 v[0:1], v0, v[54:55]
; %bb.17448:                            ;   in Loop: Header=BB6_16763 Depth=2
	s_and_not1_saveexec_b32 s10, s10
; %bb.17449:                            ;   in Loop: Header=BB6_16763 Depth=2
	v_mov_b64_e32 v[0:1], v[54:55]
	v_bfe_u32 v2, v54, 23, 1
; %bb.17450:                            ;   in Loop: Header=BB6_16763 Depth=2
	s_or_b32 exec_lo, exec_lo, s10
	s_delay_alu instid0(VALU_DEP_2) | instskip(NEXT) | instid1(VALU_DEP_2)
	v_lshrrev_b64 v[0:1], 21, v[0:1]
	v_cmp_gt_i32_e32 vcc_lo, 32, v2
	v_min_i32_e32 v3, 31, v2
	v_cmp_eq_u32_e64 s10, 0, v2
	s_delay_alu instid0(VALU_DEP_2) | instskip(SKIP_1) | instid1(VALU_DEP_2)
	v_dual_cndmask_b32 v1, 0, v1, vcc_lo :: v_dual_lshlrev_b32 v3, 2, v3
	v_cndmask_b32_e32 v0, 3, v0, vcc_lo
	v_and_b32_e32 v3, 0xfc, v3
	s_delay_alu instid0(VALU_DEP_2) | instskip(NEXT) | instid1(VALU_DEP_2)
	v_cmp_eq_u64_e32 vcc_lo, 0, v[0:1]
	v_and_or_b32 v0, v0, 3, v3
	s_and_b32 s10, s10, vcc_lo
	s_delay_alu instid0(VALU_DEP_1) | instid1(SALU_CYCLE_1)
	v_cndmask_b32_e64 v0, v0, 0, s10
	s_delay_alu instid0(VALU_DEP_1)
	v_or_b32_e32 v0, v0, v5
	scratch_store_b32 off, v0, s33 offset:380 ; 4-byte Folded Spill
.LBB6_17451:                            ;   in Loop: Header=BB6_16763 Depth=2
	s_wait_xcnt 0x0
	s_or_b32 exec_lo, exec_lo, s40
                                        ; implicit-def: $vgpr5
.LBB6_17452:                            ;   in Loop: Header=BB6_16763 Depth=2
	s_and_not1_saveexec_b32 s10, s29
	s_cbranch_execz .LBB6_17454
; %bb.17453:                            ;   in Loop: Header=BB6_16763 Depth=2
	v_or_b32_e32 v0, 0x7b, v5
	scratch_store_b32 off, v0, s33 offset:380 ; 4-byte Folded Spill
.LBB6_17454:                            ;   in Loop: Header=BB6_16763 Depth=2
	s_wait_xcnt 0x0
	s_or_b32 exec_lo, exec_lo, s10
                                        ; implicit-def: $vgpr0
                                        ; implicit-def: $vgpr1
.LBB6_17455:                            ;   in Loop: Header=BB6_16763 Depth=2
	s_and_not1_saveexec_b32 s10, s28
	s_cbranch_execz .LBB6_17461
; %bb.17456:                            ;   in Loop: Header=BB6_16763 Depth=2
	s_mov_b32 s28, exec_lo
                                        ; implicit-def: $vgpr2
                                        ; kill: killed $vgpr2
	v_cmpx_ne_u64_e32 0, v[54:55]
	s_xor_b32 s28, exec_lo, s28
	s_cbranch_execz .LBB6_17458
; %bb.17457:                            ;   in Loop: Header=BB6_16763 Depth=2
	v_or_b32_e32 v0, 0x7f, v1
	scratch_store_b32 off, v0, s33 offset:380 ; 4-byte Folded Spill
                                        ; implicit-def: $vgpr0
.LBB6_17458:                            ;   in Loop: Header=BB6_16763 Depth=2
	s_wait_xcnt 0x0
	s_and_not1_saveexec_b32 s28, s28
	s_cbranch_execz .LBB6_17460
; %bb.17459:                            ;   in Loop: Header=BB6_16763 Depth=2
	v_cmp_lt_i32_e32 vcc_lo, -1, v0
	v_cndmask_b32_e32 v0, 0xfc, v30, vcc_lo
	scratch_store_b32 off, v0, s33 offset:380 ; 4-byte Folded Spill
.LBB6_17460:                            ;   in Loop: Header=BB6_16763 Depth=2
	s_wait_xcnt 0x0
	s_or_b32 exec_lo, exec_lo, s28
.LBB6_17461:                            ;   in Loop: Header=BB6_16763 Depth=2
	s_delay_alu instid0(SALU_CYCLE_1)
	s_or_b32 exec_lo, exec_lo, s10
	v_mov_b32_e32 v1, 0
	s_mov_b32 s10, exec_lo
	v_cmpx_lt_u64_e64 s[12:13], v[10:11]
	s_cbranch_execz .LBB6_17471
; %bb.17462:                            ;   in Loop: Header=BB6_16763 Depth=2
	v_lshrrev_b32_e32 v0, 24, v11
	v_bfrev_b32_e32 v1, 1
	s_mov_b32 s28, exec_lo
	s_delay_alu instid0(VALU_DEP_2)
	v_cmpx_ne_u32_e32 0x80, v0
	s_cbranch_execz .LBB6_17470
; %bb.17463:                            ;   in Loop: Header=BB6_16763 Depth=2
	v_and_b32_e32 v1, 0x7c000000, v11
	v_bfe_u32 v2, v11, 24, 2
	s_delay_alu instid0(VALU_DEP_2) | instskip(SKIP_1) | instid1(SALU_CYCLE_1)
	v_cmp_ne_u32_e32 vcc_lo, 0x7c000000, v1
                                        ; implicit-def: $vgpr1
	s_and_saveexec_b32 s29, vcc_lo
	s_xor_b32 s29, exec_lo, s29
	s_cbranch_execz .LBB6_17467
; %bb.17464:                            ;   in Loop: Header=BB6_16763 Depth=2
	v_bfe_u32 v1, v11, 26, 5
	s_mov_b32 s40, exec_lo
	s_delay_alu instid0(VALU_DEP_1)
	v_cmpx_eq_u32_e32 0, v1
; %bb.17465:                            ;   in Loop: Header=BB6_16763 Depth=2
	v_clz_i32_u32_e32 v1, v2
	s_delay_alu instid0(VALU_DEP_1) | instskip(NEXT) | instid1(VALU_DEP_1)
	v_min_u32_e32 v2, 32, v1
	v_subrev_nc_u32_e32 v1, 29, v2
	s_delay_alu instid0(VALU_DEP_1) | instskip(NEXT) | instid1(VALU_DEP_1)
	v_lshlrev_b64_e32 v[0:1], v1, v[0:1]
	v_dual_sub_nc_u32 v1, 30, v2 :: v_dual_bitop2_b32 v2, 3, v0 bitop3:0x40
; %bb.17466:                            ;   in Loop: Header=BB6_16763 Depth=2
	s_or_b32 exec_lo, exec_lo, s40
	v_and_b32_e32 v0, 0x80000000, v11
	s_delay_alu instid0(VALU_DEP_1) | instskip(NEXT) | instid1(VALU_DEP_1)
	v_lshl_add_u32 v0, v1, 23, v0
	v_lshl_or_b32 v0, v2, 21, v0
                                        ; implicit-def: $vgpr2
	s_delay_alu instid0(VALU_DEP_1)
	v_add_nc_u32_e32 v1, 0x38000000, v0
.LBB6_17467:                            ;   in Loop: Header=BB6_16763 Depth=2
	s_and_not1_saveexec_b32 s29, s29
; %bb.17468:                            ;   in Loop: Header=BB6_16763 Depth=2
	v_cmp_lt_i64_e32 vcc_lo, -1, v[10:11]
	v_cndmask_b32_e32 v0, 0xff800000, v29, vcc_lo
	v_cmp_eq_u32_e32 vcc_lo, 0, v2
	s_delay_alu instid0(VALU_DEP_2)
	v_cndmask_b32_e32 v1, 0x7f800001, v0, vcc_lo
; %bb.17469:                            ;   in Loop: Header=BB6_16763 Depth=2
	s_or_b32 exec_lo, exec_lo, s29
.LBB6_17470:                            ;   in Loop: Header=BB6_16763 Depth=2
	s_delay_alu instid0(SALU_CYCLE_1)
	s_or_b32 exec_lo, exec_lo, s28
.LBB6_17471:                            ;   in Loop: Header=BB6_16763 Depth=2
	s_delay_alu instid0(SALU_CYCLE_1) | instskip(NEXT) | instid1(VALU_DEP_1)
	s_or_b32 exec_lo, exec_lo, s10
	v_dual_mul_f32 v0, s27, v1 :: v_dual_mov_b32 v3, v55
	s_delay_alu instid0(VALU_DEP_1) | instskip(SKIP_2) | instid1(VALU_DEP_3)
	v_and_b32_e32 v2, 0x7f800000, v0
	v_and_b32_e32 v54, 0x7fffff, v0
	v_lshrrev_b32_e32 v1, 24, v0
	v_cmp_ne_u64_e32 vcc_lo, 0x7f800000, v[2:3]
                                        ; implicit-def: $vgpr2
                                        ; kill: killed $vgpr2
	s_and_saveexec_b32 s10, vcc_lo
	s_delay_alu instid0(SALU_CYCLE_1)
	s_xor_b32 s28, exec_lo, s10
	s_cbranch_execz .LBB6_17485
; %bb.17472:                            ;   in Loop: Header=BB6_16763 Depth=2
	v_and_b32_e32 v2, 0x7fffffff, v0
	v_mov_b32_e32 v3, v55
	v_and_b32_e32 v5, 0x80, v1
                                        ; implicit-def: $vgpr1
                                        ; kill: killed $vgpr1
	s_mov_b32 s10, exec_lo
	s_delay_alu instid0(VALU_DEP_2)
	v_cmpx_gt_u64_e32 0x47600001, v[2:3]
	s_xor_b32 s29, exec_lo, s10
	s_cbranch_execz .LBB6_17482
; %bb.17473:                            ;   in Loop: Header=BB6_16763 Depth=2
	v_mov_b32_e32 v1, 0
	s_mov_b32 s40, exec_lo
	scratch_store_b32 off, v1, s33 offset:384 ; 4-byte Folded Spill
	s_wait_xcnt 0x0
	v_cmpx_ne_u32_e32 0, v0
	s_cbranch_execz .LBB6_17481
; %bb.17474:                            ;   in Loop: Header=BB6_16763 Depth=2
	v_bfe_u32 v6, v0, 23, 8
	v_or_b32_e32 v2, 0x800000, v54
	s_mov_b32 s41, exec_lo
	s_delay_alu instid0(VALU_DEP_2) | instskip(SKIP_1) | instid1(VALU_DEP_2)
	v_dual_mov_b32 v3, v55 :: v_dual_sub_nc_u32 v0, 0x71, v6
	v_cmp_gt_u32_e32 vcc_lo, 0x72, v6
	v_cndmask_b32_e32 v0, 0, v0, vcc_lo
	v_cmp_eq_u32_e32 vcc_lo, 0, v6
	s_delay_alu instid0(VALU_DEP_2) | instskip(NEXT) | instid1(VALU_DEP_1)
	v_cndmask_b32_e64 v7, v0, 0x70, vcc_lo
	v_dual_cndmask_b32 v2, v2, v54, vcc_lo :: v_dual_add_nc_u32 v0, 21, v7
	v_add_nc_u32_e32 v8, 20, v7
	s_delay_alu instid0(VALU_DEP_2) | instskip(NEXT) | instid1(VALU_DEP_2)
	v_lshlrev_b64_e64 v[0:1], v0, -1
	v_lshlrev_b64_e64 v[8:9], v8, 1
	s_delay_alu instid0(VALU_DEP_2) | instskip(NEXT) | instid1(VALU_DEP_3)
	v_bfi_b32 v11, v1, 0, 0
	v_bfi_b32 v10, v0, 0, v2
	v_lshrrev_b64 v[0:1], v7, v[2:3]
	s_delay_alu instid0(VALU_DEP_1) | instskip(NEXT) | instid1(VALU_DEP_3)
	v_mov_b64_e32 v[2:3], v[0:1]
	v_cmpx_eq_u64_e64 v[10:11], v[8:9]
; %bb.17475:                            ;   in Loop: Header=BB6_16763 Depth=2
	v_bfe_u32 v2, v0, 21, 1
	v_mov_b32_e32 v3, v55
	s_delay_alu instid0(VALU_DEP_1) | instskip(NEXT) | instid1(VALU_DEP_1)
	v_add_nc_u64_e32 v[2:3], v[0:1], v[2:3]
	v_add_nc_u64_e32 v[2:3], -1, v[2:3]
; %bb.17476:                            ;   in Loop: Header=BB6_16763 Depth=2
	s_or_b32 exec_lo, exec_lo, s41
	v_add_nc_u32_e32 v1, 0xffffff81, v6
	v_lshrrev_b32_e32 v3, 23, v0
	s_mov_b32 s10, exec_lo
	s_delay_alu instid0(VALU_DEP_2) | instskip(NEXT) | instid1(VALU_DEP_1)
	v_cndmask_b32_e64 v1, v1, 0xffffff82, vcc_lo
	v_add3_u32 v3, v7, v1, v3
	v_and_b32_e32 v1, 0x1fffff, v2
                                        ; implicit-def: $vgpr2
	s_delay_alu instid0(VALU_DEP_1) | instskip(NEXT) | instid1(VALU_DEP_1)
	v_dual_add_nc_u32 v6, 14, v3 :: v_dual_add_nc_u32 v54, v1, v0
                                        ; implicit-def: $vgpr0_vgpr1
	v_cmpx_ne_u32_e32 0, v6
	s_xor_b32 s10, exec_lo, s10
; %bb.17477:                            ;   in Loop: Header=BB6_16763 Depth=2
	s_delay_alu instid0(VALU_DEP_2) | instskip(SKIP_1) | instid1(VALU_DEP_1)
	v_cmp_lt_u64_e32 vcc_lo, 0xffffff, v[54:55]
	v_add_nc_u32_e32 v0, 15, v3
	v_cndmask_b32_e32 v2, v6, v0, vcc_lo
	v_cndmask_b32_e64 v0, 0, 1, vcc_lo
	s_delay_alu instid0(VALU_DEP_1)
	v_lshrrev_b64 v[0:1], v0, v[54:55]
; %bb.17478:                            ;   in Loop: Header=BB6_16763 Depth=2
	s_and_not1_saveexec_b32 s10, s10
; %bb.17479:                            ;   in Loop: Header=BB6_16763 Depth=2
	v_mov_b64_e32 v[0:1], v[54:55]
	v_bfe_u32 v2, v54, 23, 1
; %bb.17480:                            ;   in Loop: Header=BB6_16763 Depth=2
	s_or_b32 exec_lo, exec_lo, s10
	s_delay_alu instid0(VALU_DEP_2) | instskip(NEXT) | instid1(VALU_DEP_2)
	v_lshrrev_b64 v[0:1], 21, v[0:1]
	v_cmp_gt_i32_e32 vcc_lo, 32, v2
	v_min_i32_e32 v3, 31, v2
	v_cmp_eq_u32_e64 s10, 0, v2
	s_delay_alu instid0(VALU_DEP_2) | instskip(SKIP_1) | instid1(VALU_DEP_2)
	v_dual_cndmask_b32 v1, 0, v1, vcc_lo :: v_dual_lshlrev_b32 v3, 2, v3
	v_cndmask_b32_e32 v0, 3, v0, vcc_lo
	v_and_b32_e32 v3, 0xfc, v3
	s_delay_alu instid0(VALU_DEP_2) | instskip(NEXT) | instid1(VALU_DEP_2)
	v_cmp_eq_u64_e32 vcc_lo, 0, v[0:1]
	v_and_or_b32 v0, v0, 3, v3
	s_and_b32 s10, s10, vcc_lo
	s_delay_alu instid0(VALU_DEP_1) | instid1(SALU_CYCLE_1)
	v_cndmask_b32_e64 v0, v0, 0, s10
	s_delay_alu instid0(VALU_DEP_1)
	v_or_b32_e32 v0, v0, v5
	scratch_store_b32 off, v0, s33 offset:384 ; 4-byte Folded Spill
.LBB6_17481:                            ;   in Loop: Header=BB6_16763 Depth=2
	s_wait_xcnt 0x0
	s_or_b32 exec_lo, exec_lo, s40
                                        ; implicit-def: $vgpr5
.LBB6_17482:                            ;   in Loop: Header=BB6_16763 Depth=2
	s_and_not1_saveexec_b32 s10, s29
	s_cbranch_execz .LBB6_17484
; %bb.17483:                            ;   in Loop: Header=BB6_16763 Depth=2
	v_or_b32_e32 v0, 0x7b, v5
	scratch_store_b32 off, v0, s33 offset:384 ; 4-byte Folded Spill
.LBB6_17484:                            ;   in Loop: Header=BB6_16763 Depth=2
	s_wait_xcnt 0x0
	s_or_b32 exec_lo, exec_lo, s10
                                        ; implicit-def: $vgpr0
                                        ; implicit-def: $vgpr1
.LBB6_17485:                            ;   in Loop: Header=BB6_16763 Depth=2
	s_and_not1_saveexec_b32 s10, s28
	s_cbranch_execz .LBB6_17491
; %bb.17486:                            ;   in Loop: Header=BB6_16763 Depth=2
	s_mov_b32 s28, exec_lo
                                        ; implicit-def: $vgpr2
                                        ; kill: killed $vgpr2
	v_cmpx_ne_u64_e32 0, v[54:55]
	s_xor_b32 s28, exec_lo, s28
	s_cbranch_execz .LBB6_17488
; %bb.17487:                            ;   in Loop: Header=BB6_16763 Depth=2
	v_or_b32_e32 v0, 0x7f, v1
	scratch_store_b32 off, v0, s33 offset:384 ; 4-byte Folded Spill
                                        ; implicit-def: $vgpr0
.LBB6_17488:                            ;   in Loop: Header=BB6_16763 Depth=2
	s_wait_xcnt 0x0
	s_and_not1_saveexec_b32 s28, s28
	s_cbranch_execz .LBB6_17490
; %bb.17489:                            ;   in Loop: Header=BB6_16763 Depth=2
	v_cmp_lt_i32_e32 vcc_lo, -1, v0
	v_cndmask_b32_e32 v0, 0xfc, v30, vcc_lo
	scratch_store_b32 off, v0, s33 offset:384 ; 4-byte Folded Spill
.LBB6_17490:                            ;   in Loop: Header=BB6_16763 Depth=2
	s_wait_xcnt 0x0
	s_or_b32 exec_lo, exec_lo, s28
.LBB6_17491:                            ;   in Loop: Header=BB6_16763 Depth=2
	s_delay_alu instid0(SALU_CYCLE_1) | instskip(SKIP_1) | instid1(VALU_DEP_1)
	s_or_b32 exec_lo, exec_lo, s10
	v_and_b32_e32 v0, 0xff, v12
	v_cmp_ne_u16_e32 vcc_lo, 0, v0
	v_mov_b32_e32 v0, 0
	s_and_saveexec_b32 s10, vcc_lo
	s_cbranch_execz .LBB6_17501
; %bb.17492:                            ;   in Loop: Header=BB6_16763 Depth=2
	v_bfe_i32 v2, v12, 0, 8
	v_bfrev_b32_e32 v0, 1
	s_mov_b32 s28, exec_lo
	s_delay_alu instid0(VALU_DEP_2)
	v_cmpx_ne_u16_e32 0xff80, v2
	s_cbranch_execz .LBB6_17500
; %bb.17493:                            ;   in Loop: Header=BB6_16763 Depth=2
	v_and_b32_e32 v0, 0x7c, v12
	v_and_b32_e32 v1, 3, v12
	s_delay_alu instid0(VALU_DEP_2) | instskip(SKIP_1) | instid1(SALU_CYCLE_1)
	v_cmp_ne_u32_e32 vcc_lo, 0x7c, v0
                                        ; implicit-def: $vgpr0
	s_and_saveexec_b32 s29, vcc_lo
	s_xor_b32 s29, exec_lo, s29
	s_cbranch_execz .LBB6_17497
; %bb.17494:                            ;   in Loop: Header=BB6_16763 Depth=2
	v_bfe_u32 v0, v12, 2, 5
	s_mov_b32 s40, exec_lo
	s_delay_alu instid0(VALU_DEP_1)
	v_cmpx_eq_u32_e32 0, v0
; %bb.17495:                            ;   in Loop: Header=BB6_16763 Depth=2
	v_clz_i32_u32_e32 v0, v1
	s_delay_alu instid0(VALU_DEP_1) | instskip(NEXT) | instid1(VALU_DEP_1)
	v_min_u32_e32 v0, 32, v0
	v_subrev_nc_u32_e32 v1, 29, v0
	s_delay_alu instid0(VALU_DEP_1) | instskip(NEXT) | instid1(VALU_DEP_1)
	v_lshlrev_b64_e32 v[2:3], v1, v[12:13]
	v_dual_sub_nc_u32 v0, 30, v0 :: v_dual_bitop2_b32 v1, 3, v2 bitop3:0x40
; %bb.17496:                            ;   in Loop: Header=BB6_16763 Depth=2
	s_or_b32 exec_lo, exec_lo, s40
	v_lshlrev_b32_e32 v2, 24, v12
	s_delay_alu instid0(VALU_DEP_1) | instskip(NEXT) | instid1(VALU_DEP_1)
	v_and_b32_e32 v2, 0x80000000, v2
	v_lshl_add_u32 v0, v0, 23, v2
                                        ; implicit-def: $vgpr2
	s_delay_alu instid0(VALU_DEP_1) | instskip(NEXT) | instid1(VALU_DEP_1)
	v_lshl_or_b32 v0, v1, 21, v0
                                        ; implicit-def: $vgpr1
	v_add_nc_u32_e32 v0, 0x38000000, v0
.LBB6_17497:                            ;   in Loop: Header=BB6_16763 Depth=2
	s_and_not1_saveexec_b32 s29, s29
; %bb.17498:                            ;   in Loop: Header=BB6_16763 Depth=2
	v_cmp_lt_i16_e32 vcc_lo, -1, v2
	v_cndmask_b32_e32 v0, 0xff800000, v29, vcc_lo
	v_cmp_eq_u32_e32 vcc_lo, 0, v1
	s_delay_alu instid0(VALU_DEP_2)
	v_cndmask_b32_e32 v0, 0x7f800001, v0, vcc_lo
; %bb.17499:                            ;   in Loop: Header=BB6_16763 Depth=2
	s_or_b32 exec_lo, exec_lo, s29
.LBB6_17500:                            ;   in Loop: Header=BB6_16763 Depth=2
	s_delay_alu instid0(SALU_CYCLE_1)
	s_or_b32 exec_lo, exec_lo, s28
.LBB6_17501:                            ;   in Loop: Header=BB6_16763 Depth=2
	s_delay_alu instid0(SALU_CYCLE_1) | instskip(NEXT) | instid1(VALU_DEP_1)
	s_or_b32 exec_lo, exec_lo, s10
	v_dual_mul_f32 v0, s27, v0 :: v_dual_mov_b32 v3, v55
	s_delay_alu instid0(VALU_DEP_1) | instskip(SKIP_2) | instid1(VALU_DEP_3)
	v_and_b32_e32 v2, 0x7f800000, v0
	v_and_b32_e32 v54, 0x7fffff, v0
	v_lshrrev_b32_e32 v1, 24, v0
	v_cmp_ne_u64_e32 vcc_lo, 0x7f800000, v[2:3]
                                        ; implicit-def: $vgpr2
                                        ; kill: killed $vgpr2
	s_and_saveexec_b32 s10, vcc_lo
	s_delay_alu instid0(SALU_CYCLE_1)
	s_xor_b32 s28, exec_lo, s10
	s_cbranch_execz .LBB6_17515
; %bb.17502:                            ;   in Loop: Header=BB6_16763 Depth=2
	v_and_b32_e32 v2, 0x7fffffff, v0
	v_mov_b32_e32 v3, v55
	v_and_b32_e32 v5, 0x80, v1
                                        ; implicit-def: $vgpr1
                                        ; kill: killed $vgpr1
	s_mov_b32 s10, exec_lo
	s_delay_alu instid0(VALU_DEP_2)
	v_cmpx_gt_u64_e32 0x47600001, v[2:3]
	s_xor_b32 s29, exec_lo, s10
	s_cbranch_execz .LBB6_17512
; %bb.17503:                            ;   in Loop: Header=BB6_16763 Depth=2
	v_mov_b32_e32 v1, 0
	s_mov_b32 s40, exec_lo
	scratch_store_b32 off, v1, s33 offset:388 ; 4-byte Folded Spill
	s_wait_xcnt 0x0
	v_cmpx_ne_u32_e32 0, v0
	s_cbranch_execz .LBB6_17511
; %bb.17504:                            ;   in Loop: Header=BB6_16763 Depth=2
	v_bfe_u32 v6, v0, 23, 8
	v_or_b32_e32 v2, 0x800000, v54
	s_mov_b32 s41, exec_lo
	s_delay_alu instid0(VALU_DEP_2) | instskip(SKIP_1) | instid1(VALU_DEP_2)
	v_dual_mov_b32 v3, v55 :: v_dual_sub_nc_u32 v0, 0x71, v6
	v_cmp_gt_u32_e32 vcc_lo, 0x72, v6
	v_cndmask_b32_e32 v0, 0, v0, vcc_lo
	v_cmp_eq_u32_e32 vcc_lo, 0, v6
	s_delay_alu instid0(VALU_DEP_2) | instskip(NEXT) | instid1(VALU_DEP_1)
	v_cndmask_b32_e64 v7, v0, 0x70, vcc_lo
	v_dual_cndmask_b32 v2, v2, v54, vcc_lo :: v_dual_add_nc_u32 v0, 21, v7
	v_add_nc_u32_e32 v8, 20, v7
	s_delay_alu instid0(VALU_DEP_2) | instskip(NEXT) | instid1(VALU_DEP_2)
	v_lshlrev_b64_e64 v[0:1], v0, -1
	v_lshlrev_b64_e64 v[8:9], v8, 1
	s_delay_alu instid0(VALU_DEP_2) | instskip(NEXT) | instid1(VALU_DEP_3)
	v_bfi_b32 v11, v1, 0, 0
	v_bfi_b32 v10, v0, 0, v2
	v_lshrrev_b64 v[0:1], v7, v[2:3]
	s_delay_alu instid0(VALU_DEP_1) | instskip(NEXT) | instid1(VALU_DEP_3)
	v_mov_b64_e32 v[2:3], v[0:1]
	v_cmpx_eq_u64_e64 v[10:11], v[8:9]
; %bb.17505:                            ;   in Loop: Header=BB6_16763 Depth=2
	v_bfe_u32 v2, v0, 21, 1
	v_mov_b32_e32 v3, v55
	s_delay_alu instid0(VALU_DEP_1) | instskip(NEXT) | instid1(VALU_DEP_1)
	v_add_nc_u64_e32 v[2:3], v[0:1], v[2:3]
	v_add_nc_u64_e32 v[2:3], -1, v[2:3]
; %bb.17506:                            ;   in Loop: Header=BB6_16763 Depth=2
	s_or_b32 exec_lo, exec_lo, s41
	v_add_nc_u32_e32 v1, 0xffffff81, v6
	v_lshrrev_b32_e32 v3, 23, v0
	s_mov_b32 s10, exec_lo
	s_delay_alu instid0(VALU_DEP_2) | instskip(NEXT) | instid1(VALU_DEP_1)
	v_cndmask_b32_e64 v1, v1, 0xffffff82, vcc_lo
	v_add3_u32 v3, v7, v1, v3
	v_and_b32_e32 v1, 0x1fffff, v2
                                        ; implicit-def: $vgpr2
	s_delay_alu instid0(VALU_DEP_1) | instskip(NEXT) | instid1(VALU_DEP_1)
	v_dual_add_nc_u32 v6, 14, v3 :: v_dual_add_nc_u32 v54, v1, v0
                                        ; implicit-def: $vgpr0_vgpr1
	v_cmpx_ne_u32_e32 0, v6
	s_xor_b32 s10, exec_lo, s10
; %bb.17507:                            ;   in Loop: Header=BB6_16763 Depth=2
	s_delay_alu instid0(VALU_DEP_2) | instskip(SKIP_1) | instid1(VALU_DEP_1)
	v_cmp_lt_u64_e32 vcc_lo, 0xffffff, v[54:55]
	v_add_nc_u32_e32 v0, 15, v3
	v_cndmask_b32_e32 v2, v6, v0, vcc_lo
	v_cndmask_b32_e64 v0, 0, 1, vcc_lo
	s_delay_alu instid0(VALU_DEP_1)
	v_lshrrev_b64 v[0:1], v0, v[54:55]
; %bb.17508:                            ;   in Loop: Header=BB6_16763 Depth=2
	s_and_not1_saveexec_b32 s10, s10
; %bb.17509:                            ;   in Loop: Header=BB6_16763 Depth=2
	v_mov_b64_e32 v[0:1], v[54:55]
	v_bfe_u32 v2, v54, 23, 1
; %bb.17510:                            ;   in Loop: Header=BB6_16763 Depth=2
	s_or_b32 exec_lo, exec_lo, s10
	s_delay_alu instid0(VALU_DEP_2) | instskip(NEXT) | instid1(VALU_DEP_2)
	v_lshrrev_b64 v[0:1], 21, v[0:1]
	v_cmp_gt_i32_e32 vcc_lo, 32, v2
	v_min_i32_e32 v3, 31, v2
	v_cmp_eq_u32_e64 s10, 0, v2
	s_delay_alu instid0(VALU_DEP_2) | instskip(SKIP_1) | instid1(VALU_DEP_2)
	v_dual_cndmask_b32 v1, 0, v1, vcc_lo :: v_dual_lshlrev_b32 v3, 2, v3
	v_cndmask_b32_e32 v0, 3, v0, vcc_lo
	v_and_b32_e32 v3, 0xfc, v3
	s_delay_alu instid0(VALU_DEP_2) | instskip(NEXT) | instid1(VALU_DEP_2)
	v_cmp_eq_u64_e32 vcc_lo, 0, v[0:1]
	v_and_or_b32 v0, v0, 3, v3
	s_and_b32 s10, s10, vcc_lo
	s_delay_alu instid0(VALU_DEP_1) | instid1(SALU_CYCLE_1)
	v_cndmask_b32_e64 v0, v0, 0, s10
	s_delay_alu instid0(VALU_DEP_1)
	v_or_b32_e32 v0, v0, v5
	scratch_store_b32 off, v0, s33 offset:388 ; 4-byte Folded Spill
.LBB6_17511:                            ;   in Loop: Header=BB6_16763 Depth=2
	s_wait_xcnt 0x0
	s_or_b32 exec_lo, exec_lo, s40
                                        ; implicit-def: $vgpr5
.LBB6_17512:                            ;   in Loop: Header=BB6_16763 Depth=2
	s_and_not1_saveexec_b32 s10, s29
	s_cbranch_execz .LBB6_17514
; %bb.17513:                            ;   in Loop: Header=BB6_16763 Depth=2
	v_or_b32_e32 v0, 0x7b, v5
	scratch_store_b32 off, v0, s33 offset:388 ; 4-byte Folded Spill
.LBB6_17514:                            ;   in Loop: Header=BB6_16763 Depth=2
	s_wait_xcnt 0x0
	s_or_b32 exec_lo, exec_lo, s10
                                        ; implicit-def: $vgpr0
                                        ; implicit-def: $vgpr1
.LBB6_17515:                            ;   in Loop: Header=BB6_16763 Depth=2
	s_and_not1_saveexec_b32 s10, s28
	s_cbranch_execz .LBB6_17521
; %bb.17516:                            ;   in Loop: Header=BB6_16763 Depth=2
	s_mov_b32 s28, exec_lo
                                        ; implicit-def: $vgpr2
                                        ; kill: killed $vgpr2
	v_cmpx_ne_u64_e32 0, v[54:55]
	s_xor_b32 s28, exec_lo, s28
	s_cbranch_execz .LBB6_17518
; %bb.17517:                            ;   in Loop: Header=BB6_16763 Depth=2
	v_or_b32_e32 v0, 0x7f, v1
	scratch_store_b32 off, v0, s33 offset:388 ; 4-byte Folded Spill
                                        ; implicit-def: $vgpr0
.LBB6_17518:                            ;   in Loop: Header=BB6_16763 Depth=2
	s_wait_xcnt 0x0
	s_and_not1_saveexec_b32 s28, s28
	s_cbranch_execz .LBB6_17520
; %bb.17519:                            ;   in Loop: Header=BB6_16763 Depth=2
	v_cmp_lt_i32_e32 vcc_lo, -1, v0
	v_cndmask_b32_e32 v0, 0xfc, v30, vcc_lo
	scratch_store_b32 off, v0, s33 offset:388 ; 4-byte Folded Spill
.LBB6_17520:                            ;   in Loop: Header=BB6_16763 Depth=2
	s_wait_xcnt 0x0
	s_or_b32 exec_lo, exec_lo, s28
.LBB6_17521:                            ;   in Loop: Header=BB6_16763 Depth=2
	s_delay_alu instid0(SALU_CYCLE_1) | instskip(SKIP_3) | instid1(VALU_DEP_2)
	s_or_b32 exec_lo, exec_lo, s10
	v_lshrrev_b16 v0, 8, v12
	v_mov_b32_e32 v2, 0
	s_mov_b32 s10, exec_lo
	v_cmpx_ne_u16_e32 0, v0
	s_cbranch_execz .LBB6_17531
; %bb.17522:                            ;   in Loop: Header=BB6_16763 Depth=2
	v_bfrev_b32_e32 v2, 1
	s_mov_b32 s28, exec_lo
	v_cmpx_ne_u16_e32 0x80, v0
	s_cbranch_execz .LBB6_17530
; %bb.17523:                            ;   in Loop: Header=BB6_16763 Depth=2
	v_and_b32_e32 v3, 0xffff, v0
	s_delay_alu instid0(VALU_DEP_1) | instskip(SKIP_1) | instid1(VALU_DEP_2)
	v_and_b32_e32 v2, 0x7c, v3
	v_and_b32_e32 v1, 3, v3
	v_cmp_ne_u32_e32 vcc_lo, 0x7c, v2
                                        ; implicit-def: $vgpr2
	s_and_saveexec_b32 s29, vcc_lo
	s_delay_alu instid0(SALU_CYCLE_1)
	s_xor_b32 s29, exec_lo, s29
	s_cbranch_execz .LBB6_17527
; %bb.17524:                            ;   in Loop: Header=BB6_16763 Depth=2
	v_bfe_u32 v2, v3, 2, 5
	s_mov_b32 s40, exec_lo
	s_delay_alu instid0(VALU_DEP_1)
	v_cmpx_eq_u32_e32 0, v2
	s_cbranch_execz .LBB6_17526
; %bb.17525:                            ;   in Loop: Header=BB6_16763 Depth=2
	v_clz_i32_u32_e32 v1, v1
	s_delay_alu instid0(VALU_DEP_1) | instskip(SKIP_1) | instid1(VALU_DEP_2)
	v_min_u32_e32 v2, 32, v1
	v_mov_b32_e32 v1, v55
	v_subrev_nc_u32_e32 v3, 29, v2
	v_sub_nc_u32_e32 v2, 30, v2
	s_delay_alu instid0(VALU_DEP_2) | instskip(NEXT) | instid1(VALU_DEP_1)
	v_lshlrev_b64_e32 v[0:1], v3, v[0:1]
	v_and_b32_e32 v1, 3, v0
.LBB6_17526:                            ;   in Loop: Header=BB6_16763 Depth=2
	s_or_b32 exec_lo, exec_lo, s40
	v_lshlrev_b32_e32 v0, 16, v12
	s_delay_alu instid0(VALU_DEP_1) | instskip(NEXT) | instid1(VALU_DEP_1)
	v_and_b32_e32 v0, 0x80000000, v0
	v_lshl_add_u32 v0, v2, 23, v0
	s_delay_alu instid0(VALU_DEP_1) | instskip(NEXT) | instid1(VALU_DEP_1)
	v_lshl_or_b32 v0, v1, 21, v0
                                        ; implicit-def: $vgpr1
	v_add_nc_u32_e32 v2, 0x38000000, v0
.LBB6_17527:                            ;   in Loop: Header=BB6_16763 Depth=2
	s_and_not1_saveexec_b32 s29, s29
; %bb.17528:                            ;   in Loop: Header=BB6_16763 Depth=2
	v_cmp_lt_i16_e32 vcc_lo, -1, v12
	v_cndmask_b32_e32 v0, 0xff800000, v29, vcc_lo
	v_cmp_eq_u32_e32 vcc_lo, 0, v1
	s_delay_alu instid0(VALU_DEP_2)
	v_cndmask_b32_e32 v2, 0x7f800001, v0, vcc_lo
; %bb.17529:                            ;   in Loop: Header=BB6_16763 Depth=2
	s_or_b32 exec_lo, exec_lo, s29
.LBB6_17530:                            ;   in Loop: Header=BB6_16763 Depth=2
	s_delay_alu instid0(SALU_CYCLE_1)
	s_or_b32 exec_lo, exec_lo, s28
.LBB6_17531:                            ;   in Loop: Header=BB6_16763 Depth=2
	s_delay_alu instid0(SALU_CYCLE_1) | instskip(NEXT) | instid1(VALU_DEP_1)
	s_or_b32 exec_lo, exec_lo, s10
	v_dual_mul_f32 v0, s27, v2 :: v_dual_mov_b32 v3, v55
	s_delay_alu instid0(VALU_DEP_1) | instskip(SKIP_2) | instid1(VALU_DEP_3)
	v_and_b32_e32 v2, 0x7f800000, v0
	v_and_b32_e32 v54, 0x7fffff, v0
	v_lshrrev_b32_e32 v1, 24, v0
	v_cmp_ne_u64_e32 vcc_lo, 0x7f800000, v[2:3]
                                        ; implicit-def: $vgpr2
                                        ; kill: killed $vgpr2
	s_and_saveexec_b32 s10, vcc_lo
	s_delay_alu instid0(SALU_CYCLE_1)
	s_xor_b32 s28, exec_lo, s10
	s_cbranch_execz .LBB6_17545
; %bb.17532:                            ;   in Loop: Header=BB6_16763 Depth=2
	v_and_b32_e32 v2, 0x7fffffff, v0
	v_mov_b32_e32 v3, v55
	v_and_b32_e32 v5, 0x80, v1
                                        ; implicit-def: $vgpr1
                                        ; kill: killed $vgpr1
	s_mov_b32 s10, exec_lo
	s_delay_alu instid0(VALU_DEP_2)
	v_cmpx_gt_u64_e32 0x47600001, v[2:3]
	s_xor_b32 s29, exec_lo, s10
	s_cbranch_execz .LBB6_17542
; %bb.17533:                            ;   in Loop: Header=BB6_16763 Depth=2
	v_mov_b32_e32 v1, 0
	s_mov_b32 s40, exec_lo
	scratch_store_b32 off, v1, s33 offset:392 ; 4-byte Folded Spill
	s_wait_xcnt 0x0
	v_cmpx_ne_u32_e32 0, v0
	s_cbranch_execz .LBB6_17541
; %bb.17534:                            ;   in Loop: Header=BB6_16763 Depth=2
	v_bfe_u32 v6, v0, 23, 8
	v_or_b32_e32 v2, 0x800000, v54
	s_mov_b32 s41, exec_lo
	s_delay_alu instid0(VALU_DEP_2) | instskip(SKIP_1) | instid1(VALU_DEP_2)
	v_dual_mov_b32 v3, v55 :: v_dual_sub_nc_u32 v0, 0x71, v6
	v_cmp_gt_u32_e32 vcc_lo, 0x72, v6
	v_cndmask_b32_e32 v0, 0, v0, vcc_lo
	v_cmp_eq_u32_e32 vcc_lo, 0, v6
	s_delay_alu instid0(VALU_DEP_2) | instskip(NEXT) | instid1(VALU_DEP_1)
	v_cndmask_b32_e64 v7, v0, 0x70, vcc_lo
	v_dual_cndmask_b32 v2, v2, v54, vcc_lo :: v_dual_add_nc_u32 v0, 21, v7
	v_add_nc_u32_e32 v8, 20, v7
	s_delay_alu instid0(VALU_DEP_2) | instskip(NEXT) | instid1(VALU_DEP_2)
	v_lshlrev_b64_e64 v[0:1], v0, -1
	v_lshlrev_b64_e64 v[8:9], v8, 1
	s_delay_alu instid0(VALU_DEP_2) | instskip(NEXT) | instid1(VALU_DEP_3)
	v_bfi_b32 v11, v1, 0, 0
	v_bfi_b32 v10, v0, 0, v2
	v_lshrrev_b64 v[0:1], v7, v[2:3]
	s_delay_alu instid0(VALU_DEP_1) | instskip(NEXT) | instid1(VALU_DEP_3)
	v_mov_b64_e32 v[2:3], v[0:1]
	v_cmpx_eq_u64_e64 v[10:11], v[8:9]
; %bb.17535:                            ;   in Loop: Header=BB6_16763 Depth=2
	v_bfe_u32 v2, v0, 21, 1
	v_mov_b32_e32 v3, v55
	s_delay_alu instid0(VALU_DEP_1) | instskip(NEXT) | instid1(VALU_DEP_1)
	v_add_nc_u64_e32 v[2:3], v[0:1], v[2:3]
	v_add_nc_u64_e32 v[2:3], -1, v[2:3]
; %bb.17536:                            ;   in Loop: Header=BB6_16763 Depth=2
	s_or_b32 exec_lo, exec_lo, s41
	v_add_nc_u32_e32 v1, 0xffffff81, v6
	v_lshrrev_b32_e32 v3, 23, v0
	s_mov_b32 s10, exec_lo
	s_delay_alu instid0(VALU_DEP_2) | instskip(NEXT) | instid1(VALU_DEP_1)
	v_cndmask_b32_e64 v1, v1, 0xffffff82, vcc_lo
	v_add3_u32 v3, v7, v1, v3
	v_and_b32_e32 v1, 0x1fffff, v2
                                        ; implicit-def: $vgpr2
	s_delay_alu instid0(VALU_DEP_1) | instskip(NEXT) | instid1(VALU_DEP_1)
	v_dual_add_nc_u32 v6, 14, v3 :: v_dual_add_nc_u32 v54, v1, v0
                                        ; implicit-def: $vgpr0_vgpr1
	v_cmpx_ne_u32_e32 0, v6
	s_xor_b32 s10, exec_lo, s10
; %bb.17537:                            ;   in Loop: Header=BB6_16763 Depth=2
	s_delay_alu instid0(VALU_DEP_2) | instskip(SKIP_1) | instid1(VALU_DEP_1)
	v_cmp_lt_u64_e32 vcc_lo, 0xffffff, v[54:55]
	v_add_nc_u32_e32 v0, 15, v3
	v_cndmask_b32_e32 v2, v6, v0, vcc_lo
	v_cndmask_b32_e64 v0, 0, 1, vcc_lo
	s_delay_alu instid0(VALU_DEP_1)
	v_lshrrev_b64 v[0:1], v0, v[54:55]
; %bb.17538:                            ;   in Loop: Header=BB6_16763 Depth=2
	s_and_not1_saveexec_b32 s10, s10
; %bb.17539:                            ;   in Loop: Header=BB6_16763 Depth=2
	v_mov_b64_e32 v[0:1], v[54:55]
	v_bfe_u32 v2, v54, 23, 1
; %bb.17540:                            ;   in Loop: Header=BB6_16763 Depth=2
	s_or_b32 exec_lo, exec_lo, s10
	s_delay_alu instid0(VALU_DEP_2) | instskip(NEXT) | instid1(VALU_DEP_2)
	v_lshrrev_b64 v[0:1], 21, v[0:1]
	v_cmp_gt_i32_e32 vcc_lo, 32, v2
	v_min_i32_e32 v3, 31, v2
	v_cmp_eq_u32_e64 s10, 0, v2
	s_delay_alu instid0(VALU_DEP_2) | instskip(SKIP_1) | instid1(VALU_DEP_2)
	v_dual_cndmask_b32 v1, 0, v1, vcc_lo :: v_dual_lshlrev_b32 v3, 2, v3
	v_cndmask_b32_e32 v0, 3, v0, vcc_lo
	v_and_b32_e32 v3, 0xfc, v3
	s_delay_alu instid0(VALU_DEP_2) | instskip(NEXT) | instid1(VALU_DEP_2)
	v_cmp_eq_u64_e32 vcc_lo, 0, v[0:1]
	v_and_or_b32 v0, v0, 3, v3
	s_and_b32 s10, s10, vcc_lo
	s_delay_alu instid0(VALU_DEP_1) | instid1(SALU_CYCLE_1)
	v_cndmask_b32_e64 v0, v0, 0, s10
	s_delay_alu instid0(VALU_DEP_1)
	v_or_b32_e32 v0, v0, v5
	scratch_store_b32 off, v0, s33 offset:392 ; 4-byte Folded Spill
.LBB6_17541:                            ;   in Loop: Header=BB6_16763 Depth=2
	s_wait_xcnt 0x0
	s_or_b32 exec_lo, exec_lo, s40
                                        ; implicit-def: $vgpr5
.LBB6_17542:                            ;   in Loop: Header=BB6_16763 Depth=2
	s_and_not1_saveexec_b32 s10, s29
	s_cbranch_execz .LBB6_17544
; %bb.17543:                            ;   in Loop: Header=BB6_16763 Depth=2
	v_or_b32_e32 v0, 0x7b, v5
	scratch_store_b32 off, v0, s33 offset:392 ; 4-byte Folded Spill
.LBB6_17544:                            ;   in Loop: Header=BB6_16763 Depth=2
	s_wait_xcnt 0x0
	s_or_b32 exec_lo, exec_lo, s10
                                        ; implicit-def: $vgpr0
                                        ; implicit-def: $vgpr1
.LBB6_17545:                            ;   in Loop: Header=BB6_16763 Depth=2
	s_and_not1_saveexec_b32 s10, s28
	s_cbranch_execz .LBB6_17551
; %bb.17546:                            ;   in Loop: Header=BB6_16763 Depth=2
	s_mov_b32 s28, exec_lo
                                        ; implicit-def: $vgpr2
                                        ; kill: killed $vgpr2
	v_cmpx_ne_u64_e32 0, v[54:55]
	s_xor_b32 s28, exec_lo, s28
	s_cbranch_execz .LBB6_17548
; %bb.17547:                            ;   in Loop: Header=BB6_16763 Depth=2
	v_or_b32_e32 v0, 0x7f, v1
	scratch_store_b32 off, v0, s33 offset:392 ; 4-byte Folded Spill
                                        ; implicit-def: $vgpr0
.LBB6_17548:                            ;   in Loop: Header=BB6_16763 Depth=2
	s_wait_xcnt 0x0
	s_and_not1_saveexec_b32 s28, s28
	s_cbranch_execz .LBB6_17550
; %bb.17549:                            ;   in Loop: Header=BB6_16763 Depth=2
	v_cmp_lt_i32_e32 vcc_lo, -1, v0
	v_cndmask_b32_e32 v0, 0xfc, v30, vcc_lo
	scratch_store_b32 off, v0, s33 offset:392 ; 4-byte Folded Spill
.LBB6_17550:                            ;   in Loop: Header=BB6_16763 Depth=2
	s_wait_xcnt 0x0
	s_or_b32 exec_lo, exec_lo, s28
.LBB6_17551:                            ;   in Loop: Header=BB6_16763 Depth=2
	s_delay_alu instid0(SALU_CYCLE_1) | instskip(SKIP_2) | instid1(VALU_DEP_1)
	s_or_b32 exec_lo, exec_lo, s10
	v_dual_lshrrev_b32 v0, 16, v12 :: v_dual_mov_b32 v2, 0
	s_mov_b32 s10, exec_lo
	v_and_b32_e32 v1, 0xff, v0
	s_delay_alu instid0(VALU_DEP_1)
	v_cmpx_ne_u16_e32 0, v1
	s_cbranch_execz .LBB6_17561
; %bb.17552:                            ;   in Loop: Header=BB6_16763 Depth=2
	v_bfrev_b32_e32 v2, 1
	s_mov_b32 s28, exec_lo
	v_cmpx_ne_u16_e32 0x80, v1
	s_cbranch_execz .LBB6_17560
; %bb.17553:                            ;   in Loop: Header=BB6_16763 Depth=2
	v_and_b32_e32 v2, 0x7c0000, v12
	v_bfe_u32 v1, v12, 16, 2
	s_delay_alu instid0(VALU_DEP_2) | instskip(SKIP_1) | instid1(SALU_CYCLE_1)
	v_cmp_ne_u32_e32 vcc_lo, 0x7c0000, v2
                                        ; implicit-def: $vgpr2
	s_and_saveexec_b32 s29, vcc_lo
	s_xor_b32 s29, exec_lo, s29
	s_cbranch_execz .LBB6_17557
; %bb.17554:                            ;   in Loop: Header=BB6_16763 Depth=2
	v_bfe_u32 v2, v12, 18, 5
	s_mov_b32 s40, exec_lo
	s_delay_alu instid0(VALU_DEP_1)
	v_cmpx_eq_u32_e32 0, v2
; %bb.17555:                            ;   in Loop: Header=BB6_16763 Depth=2
	v_clz_i32_u32_e32 v1, v1
	s_delay_alu instid0(VALU_DEP_1) | instskip(NEXT) | instid1(VALU_DEP_1)
	v_min_u32_e32 v1, 32, v1
	v_subrev_nc_u32_e32 v2, 29, v1
	s_delay_alu instid0(VALU_DEP_1) | instskip(NEXT) | instid1(VALU_DEP_1)
	v_lshlrev_b64_e32 v[6:7], v2, v[0:1]
	v_dual_sub_nc_u32 v2, 30, v1 :: v_dual_bitop2_b32 v1, 3, v6 bitop3:0x40
; %bb.17556:                            ;   in Loop: Header=BB6_16763 Depth=2
	s_or_b32 exec_lo, exec_lo, s40
	v_lshlrev_b32_e32 v0, 24, v0
	s_delay_alu instid0(VALU_DEP_1) | instskip(NEXT) | instid1(VALU_DEP_1)
	v_and_b32_e32 v0, 0x80000000, v0
	v_lshl_add_u32 v0, v2, 23, v0
	s_delay_alu instid0(VALU_DEP_1) | instskip(NEXT) | instid1(VALU_DEP_1)
	v_lshl_or_b32 v0, v1, 21, v0
                                        ; implicit-def: $vgpr1
	v_add_nc_u32_e32 v2, 0x38000000, v0
                                        ; implicit-def: $vgpr0
.LBB6_17557:                            ;   in Loop: Header=BB6_16763 Depth=2
	s_and_not1_saveexec_b32 s29, s29
; %bb.17558:                            ;   in Loop: Header=BB6_16763 Depth=2
	v_bfe_i32 v0, v0, 0, 8
	s_delay_alu instid0(VALU_DEP_1) | instskip(SKIP_2) | instid1(VALU_DEP_2)
	v_cmp_lt_i16_e32 vcc_lo, -1, v0
	v_cndmask_b32_e32 v0, 0xff800000, v29, vcc_lo
	v_cmp_eq_u32_e32 vcc_lo, 0, v1
	v_cndmask_b32_e32 v2, 0x7f800001, v0, vcc_lo
; %bb.17559:                            ;   in Loop: Header=BB6_16763 Depth=2
	s_or_b32 exec_lo, exec_lo, s29
.LBB6_17560:                            ;   in Loop: Header=BB6_16763 Depth=2
	s_delay_alu instid0(SALU_CYCLE_1)
	s_or_b32 exec_lo, exec_lo, s28
.LBB6_17561:                            ;   in Loop: Header=BB6_16763 Depth=2
	s_delay_alu instid0(SALU_CYCLE_1) | instskip(NEXT) | instid1(VALU_DEP_1)
	s_or_b32 exec_lo, exec_lo, s10
	v_dual_mul_f32 v0, s27, v2 :: v_dual_mov_b32 v3, v55
	s_delay_alu instid0(VALU_DEP_1) | instskip(SKIP_2) | instid1(VALU_DEP_3)
	v_and_b32_e32 v2, 0x7f800000, v0
	v_and_b32_e32 v54, 0x7fffff, v0
	v_lshrrev_b32_e32 v1, 24, v0
	v_cmp_ne_u64_e32 vcc_lo, 0x7f800000, v[2:3]
                                        ; implicit-def: $vgpr2
                                        ; kill: killed $vgpr2
	s_and_saveexec_b32 s10, vcc_lo
	s_delay_alu instid0(SALU_CYCLE_1)
	s_xor_b32 s28, exec_lo, s10
	s_cbranch_execz .LBB6_17575
; %bb.17562:                            ;   in Loop: Header=BB6_16763 Depth=2
	v_and_b32_e32 v2, 0x7fffffff, v0
	v_mov_b32_e32 v3, v55
	v_and_b32_e32 v5, 0x80, v1
                                        ; implicit-def: $vgpr1
                                        ; kill: killed $vgpr1
	s_mov_b32 s10, exec_lo
	s_delay_alu instid0(VALU_DEP_2)
	v_cmpx_gt_u64_e32 0x47600001, v[2:3]
	s_xor_b32 s29, exec_lo, s10
	s_cbranch_execz .LBB6_17572
; %bb.17563:                            ;   in Loop: Header=BB6_16763 Depth=2
	v_mov_b32_e32 v1, 0
	s_mov_b32 s40, exec_lo
	scratch_store_b32 off, v1, s33 offset:396 ; 4-byte Folded Spill
	s_wait_xcnt 0x0
	v_cmpx_ne_u32_e32 0, v0
	s_cbranch_execz .LBB6_17571
; %bb.17564:                            ;   in Loop: Header=BB6_16763 Depth=2
	v_bfe_u32 v6, v0, 23, 8
	v_or_b32_e32 v2, 0x800000, v54
	s_mov_b32 s41, exec_lo
	s_delay_alu instid0(VALU_DEP_2) | instskip(SKIP_1) | instid1(VALU_DEP_2)
	v_dual_mov_b32 v3, v55 :: v_dual_sub_nc_u32 v0, 0x71, v6
	v_cmp_gt_u32_e32 vcc_lo, 0x72, v6
	v_cndmask_b32_e32 v0, 0, v0, vcc_lo
	v_cmp_eq_u32_e32 vcc_lo, 0, v6
	s_delay_alu instid0(VALU_DEP_2) | instskip(NEXT) | instid1(VALU_DEP_1)
	v_cndmask_b32_e64 v7, v0, 0x70, vcc_lo
	v_dual_cndmask_b32 v2, v2, v54, vcc_lo :: v_dual_add_nc_u32 v0, 21, v7
	v_add_nc_u32_e32 v8, 20, v7
	s_delay_alu instid0(VALU_DEP_2) | instskip(NEXT) | instid1(VALU_DEP_2)
	v_lshlrev_b64_e64 v[0:1], v0, -1
	v_lshlrev_b64_e64 v[8:9], v8, 1
	s_delay_alu instid0(VALU_DEP_2) | instskip(NEXT) | instid1(VALU_DEP_3)
	v_bfi_b32 v11, v1, 0, 0
	v_bfi_b32 v10, v0, 0, v2
	v_lshrrev_b64 v[0:1], v7, v[2:3]
	s_delay_alu instid0(VALU_DEP_1) | instskip(NEXT) | instid1(VALU_DEP_3)
	v_mov_b64_e32 v[2:3], v[0:1]
	v_cmpx_eq_u64_e64 v[10:11], v[8:9]
; %bb.17565:                            ;   in Loop: Header=BB6_16763 Depth=2
	v_bfe_u32 v2, v0, 21, 1
	v_mov_b32_e32 v3, v55
	s_delay_alu instid0(VALU_DEP_1) | instskip(NEXT) | instid1(VALU_DEP_1)
	v_add_nc_u64_e32 v[2:3], v[0:1], v[2:3]
	v_add_nc_u64_e32 v[2:3], -1, v[2:3]
; %bb.17566:                            ;   in Loop: Header=BB6_16763 Depth=2
	s_or_b32 exec_lo, exec_lo, s41
	v_add_nc_u32_e32 v1, 0xffffff81, v6
	v_lshrrev_b32_e32 v3, 23, v0
	s_mov_b32 s10, exec_lo
	s_delay_alu instid0(VALU_DEP_2) | instskip(NEXT) | instid1(VALU_DEP_1)
	v_cndmask_b32_e64 v1, v1, 0xffffff82, vcc_lo
	v_add3_u32 v3, v7, v1, v3
	v_and_b32_e32 v1, 0x1fffff, v2
                                        ; implicit-def: $vgpr2
	s_delay_alu instid0(VALU_DEP_1) | instskip(NEXT) | instid1(VALU_DEP_1)
	v_dual_add_nc_u32 v6, 14, v3 :: v_dual_add_nc_u32 v54, v1, v0
                                        ; implicit-def: $vgpr0_vgpr1
	v_cmpx_ne_u32_e32 0, v6
	s_xor_b32 s10, exec_lo, s10
; %bb.17567:                            ;   in Loop: Header=BB6_16763 Depth=2
	s_delay_alu instid0(VALU_DEP_2) | instskip(SKIP_1) | instid1(VALU_DEP_1)
	v_cmp_lt_u64_e32 vcc_lo, 0xffffff, v[54:55]
	v_add_nc_u32_e32 v0, 15, v3
	v_cndmask_b32_e32 v2, v6, v0, vcc_lo
	v_cndmask_b32_e64 v0, 0, 1, vcc_lo
	s_delay_alu instid0(VALU_DEP_1)
	v_lshrrev_b64 v[0:1], v0, v[54:55]
; %bb.17568:                            ;   in Loop: Header=BB6_16763 Depth=2
	s_and_not1_saveexec_b32 s10, s10
; %bb.17569:                            ;   in Loop: Header=BB6_16763 Depth=2
	v_mov_b64_e32 v[0:1], v[54:55]
	v_bfe_u32 v2, v54, 23, 1
; %bb.17570:                            ;   in Loop: Header=BB6_16763 Depth=2
	s_or_b32 exec_lo, exec_lo, s10
	s_delay_alu instid0(VALU_DEP_2) | instskip(NEXT) | instid1(VALU_DEP_2)
	v_lshrrev_b64 v[0:1], 21, v[0:1]
	v_cmp_gt_i32_e32 vcc_lo, 32, v2
	v_min_i32_e32 v3, 31, v2
	v_cmp_eq_u32_e64 s10, 0, v2
	s_delay_alu instid0(VALU_DEP_2) | instskip(SKIP_1) | instid1(VALU_DEP_2)
	v_dual_cndmask_b32 v1, 0, v1, vcc_lo :: v_dual_lshlrev_b32 v3, 2, v3
	v_cndmask_b32_e32 v0, 3, v0, vcc_lo
	v_and_b32_e32 v3, 0xfc, v3
	s_delay_alu instid0(VALU_DEP_2) | instskip(NEXT) | instid1(VALU_DEP_2)
	v_cmp_eq_u64_e32 vcc_lo, 0, v[0:1]
	v_and_or_b32 v0, v0, 3, v3
	s_and_b32 s10, s10, vcc_lo
	s_delay_alu instid0(VALU_DEP_1) | instid1(SALU_CYCLE_1)
	v_cndmask_b32_e64 v0, v0, 0, s10
	s_delay_alu instid0(VALU_DEP_1)
	v_or_b32_e32 v0, v0, v5
	scratch_store_b32 off, v0, s33 offset:396 ; 4-byte Folded Spill
.LBB6_17571:                            ;   in Loop: Header=BB6_16763 Depth=2
	s_wait_xcnt 0x0
	s_or_b32 exec_lo, exec_lo, s40
                                        ; implicit-def: $vgpr5
.LBB6_17572:                            ;   in Loop: Header=BB6_16763 Depth=2
	s_and_not1_saveexec_b32 s10, s29
	s_cbranch_execz .LBB6_17574
; %bb.17573:                            ;   in Loop: Header=BB6_16763 Depth=2
	v_or_b32_e32 v0, 0x7b, v5
	scratch_store_b32 off, v0, s33 offset:396 ; 4-byte Folded Spill
.LBB6_17574:                            ;   in Loop: Header=BB6_16763 Depth=2
	s_wait_xcnt 0x0
	s_or_b32 exec_lo, exec_lo, s10
                                        ; implicit-def: $vgpr0
                                        ; implicit-def: $vgpr1
.LBB6_17575:                            ;   in Loop: Header=BB6_16763 Depth=2
	s_and_not1_saveexec_b32 s10, s28
	s_cbranch_execz .LBB6_17581
; %bb.17576:                            ;   in Loop: Header=BB6_16763 Depth=2
	s_mov_b32 s28, exec_lo
                                        ; implicit-def: $vgpr2
                                        ; kill: killed $vgpr2
	v_cmpx_ne_u64_e32 0, v[54:55]
	s_xor_b32 s28, exec_lo, s28
	s_cbranch_execz .LBB6_17578
; %bb.17577:                            ;   in Loop: Header=BB6_16763 Depth=2
	v_or_b32_e32 v0, 0x7f, v1
	scratch_store_b32 off, v0, s33 offset:396 ; 4-byte Folded Spill
                                        ; implicit-def: $vgpr0
.LBB6_17578:                            ;   in Loop: Header=BB6_16763 Depth=2
	s_wait_xcnt 0x0
	s_and_not1_saveexec_b32 s28, s28
	s_cbranch_execz .LBB6_17580
; %bb.17579:                            ;   in Loop: Header=BB6_16763 Depth=2
	v_cmp_lt_i32_e32 vcc_lo, -1, v0
	v_cndmask_b32_e32 v0, 0xfc, v30, vcc_lo
	scratch_store_b32 off, v0, s33 offset:396 ; 4-byte Folded Spill
.LBB6_17580:                            ;   in Loop: Header=BB6_16763 Depth=2
	s_wait_xcnt 0x0
	s_or_b32 exec_lo, exec_lo, s28
.LBB6_17581:                            ;   in Loop: Header=BB6_16763 Depth=2
	s_delay_alu instid0(SALU_CYCLE_1)
	s_or_b32 exec_lo, exec_lo, s10
	v_mov_b32_e32 v1, 0
	s_mov_b32 s10, exec_lo
	v_cmpx_lt_u32_e32 0xffffff, v12
	s_cbranch_execz .LBB6_17591
; %bb.17582:                            ;   in Loop: Header=BB6_16763 Depth=2
	v_lshrrev_b32_e32 v0, 24, v12
	v_bfrev_b32_e32 v1, 1
	s_mov_b32 s28, exec_lo
	s_delay_alu instid0(VALU_DEP_2)
	v_cmpx_ne_u32_e32 0x80, v0
	s_cbranch_execz .LBB6_17590
; %bb.17583:                            ;   in Loop: Header=BB6_16763 Depth=2
	v_and_b32_e32 v1, 0x7c000000, v12
	v_bfe_u32 v2, v12, 24, 2
	s_delay_alu instid0(VALU_DEP_2) | instskip(SKIP_1) | instid1(SALU_CYCLE_1)
	v_cmp_ne_u32_e32 vcc_lo, 0x7c000000, v1
                                        ; implicit-def: $vgpr1
	s_and_saveexec_b32 s29, vcc_lo
	s_xor_b32 s29, exec_lo, s29
	s_cbranch_execz .LBB6_17587
; %bb.17584:                            ;   in Loop: Header=BB6_16763 Depth=2
	v_bfe_u32 v1, v12, 26, 5
	s_mov_b32 s40, exec_lo
	s_delay_alu instid0(VALU_DEP_1)
	v_cmpx_eq_u32_e32 0, v1
; %bb.17585:                            ;   in Loop: Header=BB6_16763 Depth=2
	v_clz_i32_u32_e32 v1, v2
	s_delay_alu instid0(VALU_DEP_1) | instskip(NEXT) | instid1(VALU_DEP_1)
	v_min_u32_e32 v2, 32, v1
	v_subrev_nc_u32_e32 v1, 29, v2
	s_delay_alu instid0(VALU_DEP_1) | instskip(NEXT) | instid1(VALU_DEP_1)
	v_lshlrev_b64_e32 v[0:1], v1, v[0:1]
	v_dual_sub_nc_u32 v1, 30, v2 :: v_dual_bitop2_b32 v2, 3, v0 bitop3:0x40
; %bb.17586:                            ;   in Loop: Header=BB6_16763 Depth=2
	s_or_b32 exec_lo, exec_lo, s40
	v_and_b32_e32 v0, 0x80000000, v12
	s_delay_alu instid0(VALU_DEP_1) | instskip(NEXT) | instid1(VALU_DEP_1)
	v_lshl_add_u32 v0, v1, 23, v0
	v_lshl_or_b32 v0, v2, 21, v0
                                        ; implicit-def: $vgpr2
	s_delay_alu instid0(VALU_DEP_1)
	v_add_nc_u32_e32 v1, 0x38000000, v0
.LBB6_17587:                            ;   in Loop: Header=BB6_16763 Depth=2
	s_and_not1_saveexec_b32 s29, s29
; %bb.17588:                            ;   in Loop: Header=BB6_16763 Depth=2
	v_cmp_lt_i32_e32 vcc_lo, -1, v12
	v_cndmask_b32_e32 v0, 0xff800000, v29, vcc_lo
	v_cmp_eq_u32_e32 vcc_lo, 0, v2
	s_delay_alu instid0(VALU_DEP_2)
	v_cndmask_b32_e32 v1, 0x7f800001, v0, vcc_lo
; %bb.17589:                            ;   in Loop: Header=BB6_16763 Depth=2
	s_or_b32 exec_lo, exec_lo, s29
.LBB6_17590:                            ;   in Loop: Header=BB6_16763 Depth=2
	s_delay_alu instid0(SALU_CYCLE_1)
	s_or_b32 exec_lo, exec_lo, s28
.LBB6_17591:                            ;   in Loop: Header=BB6_16763 Depth=2
	s_delay_alu instid0(SALU_CYCLE_1) | instskip(NEXT) | instid1(VALU_DEP_1)
	s_or_b32 exec_lo, exec_lo, s10
	v_dual_mul_f32 v0, s27, v1 :: v_dual_mov_b32 v3, v55
	s_delay_alu instid0(VALU_DEP_1) | instskip(SKIP_2) | instid1(VALU_DEP_3)
	v_and_b32_e32 v2, 0x7f800000, v0
	v_and_b32_e32 v54, 0x7fffff, v0
	v_lshrrev_b32_e32 v1, 24, v0
	v_cmp_ne_u64_e32 vcc_lo, 0x7f800000, v[2:3]
                                        ; implicit-def: $vgpr2
                                        ; kill: killed $vgpr2
	s_and_saveexec_b32 s10, vcc_lo
	s_delay_alu instid0(SALU_CYCLE_1)
	s_xor_b32 s28, exec_lo, s10
	s_cbranch_execz .LBB6_17605
; %bb.17592:                            ;   in Loop: Header=BB6_16763 Depth=2
	v_and_b32_e32 v2, 0x7fffffff, v0
	v_mov_b32_e32 v3, v55
	v_and_b32_e32 v5, 0x80, v1
                                        ; implicit-def: $vgpr1
                                        ; kill: killed $vgpr1
	s_mov_b32 s10, exec_lo
	s_delay_alu instid0(VALU_DEP_2)
	v_cmpx_gt_u64_e32 0x47600001, v[2:3]
	s_xor_b32 s29, exec_lo, s10
	s_cbranch_execz .LBB6_17602
; %bb.17593:                            ;   in Loop: Header=BB6_16763 Depth=2
	v_mov_b32_e32 v1, 0
	s_mov_b32 s40, exec_lo
	scratch_store_b32 off, v1, s33 offset:400 ; 4-byte Folded Spill
	s_wait_xcnt 0x0
	v_cmpx_ne_u32_e32 0, v0
	s_cbranch_execz .LBB6_17601
; %bb.17594:                            ;   in Loop: Header=BB6_16763 Depth=2
	v_bfe_u32 v6, v0, 23, 8
	v_or_b32_e32 v2, 0x800000, v54
	s_mov_b32 s41, exec_lo
	s_delay_alu instid0(VALU_DEP_2) | instskip(SKIP_1) | instid1(VALU_DEP_2)
	v_dual_mov_b32 v3, v55 :: v_dual_sub_nc_u32 v0, 0x71, v6
	v_cmp_gt_u32_e32 vcc_lo, 0x72, v6
	v_cndmask_b32_e32 v0, 0, v0, vcc_lo
	v_cmp_eq_u32_e32 vcc_lo, 0, v6
	s_delay_alu instid0(VALU_DEP_2) | instskip(NEXT) | instid1(VALU_DEP_1)
	v_cndmask_b32_e64 v7, v0, 0x70, vcc_lo
	v_dual_cndmask_b32 v2, v2, v54, vcc_lo :: v_dual_add_nc_u32 v0, 21, v7
	v_add_nc_u32_e32 v8, 20, v7
	s_delay_alu instid0(VALU_DEP_2) | instskip(NEXT) | instid1(VALU_DEP_2)
	v_lshlrev_b64_e64 v[0:1], v0, -1
	v_lshlrev_b64_e64 v[8:9], v8, 1
	s_delay_alu instid0(VALU_DEP_2) | instskip(NEXT) | instid1(VALU_DEP_3)
	v_bfi_b32 v11, v1, 0, 0
	v_bfi_b32 v10, v0, 0, v2
	v_lshrrev_b64 v[0:1], v7, v[2:3]
	s_delay_alu instid0(VALU_DEP_1) | instskip(NEXT) | instid1(VALU_DEP_3)
	v_mov_b64_e32 v[2:3], v[0:1]
	v_cmpx_eq_u64_e64 v[10:11], v[8:9]
; %bb.17595:                            ;   in Loop: Header=BB6_16763 Depth=2
	v_bfe_u32 v2, v0, 21, 1
	v_mov_b32_e32 v3, v55
	s_delay_alu instid0(VALU_DEP_1) | instskip(NEXT) | instid1(VALU_DEP_1)
	v_add_nc_u64_e32 v[2:3], v[0:1], v[2:3]
	v_add_nc_u64_e32 v[2:3], -1, v[2:3]
; %bb.17596:                            ;   in Loop: Header=BB6_16763 Depth=2
	s_or_b32 exec_lo, exec_lo, s41
	v_add_nc_u32_e32 v1, 0xffffff81, v6
	v_lshrrev_b32_e32 v3, 23, v0
	s_mov_b32 s10, exec_lo
	s_delay_alu instid0(VALU_DEP_2) | instskip(NEXT) | instid1(VALU_DEP_1)
	v_cndmask_b32_e64 v1, v1, 0xffffff82, vcc_lo
	v_add3_u32 v3, v7, v1, v3
	v_and_b32_e32 v1, 0x1fffff, v2
                                        ; implicit-def: $vgpr2
	s_delay_alu instid0(VALU_DEP_1) | instskip(NEXT) | instid1(VALU_DEP_1)
	v_dual_add_nc_u32 v6, 14, v3 :: v_dual_add_nc_u32 v54, v1, v0
                                        ; implicit-def: $vgpr0_vgpr1
	v_cmpx_ne_u32_e32 0, v6
	s_xor_b32 s10, exec_lo, s10
; %bb.17597:                            ;   in Loop: Header=BB6_16763 Depth=2
	s_delay_alu instid0(VALU_DEP_2) | instskip(SKIP_1) | instid1(VALU_DEP_1)
	v_cmp_lt_u64_e32 vcc_lo, 0xffffff, v[54:55]
	v_add_nc_u32_e32 v0, 15, v3
	v_cndmask_b32_e32 v2, v6, v0, vcc_lo
	v_cndmask_b32_e64 v0, 0, 1, vcc_lo
	s_delay_alu instid0(VALU_DEP_1)
	v_lshrrev_b64 v[0:1], v0, v[54:55]
; %bb.17598:                            ;   in Loop: Header=BB6_16763 Depth=2
	s_and_not1_saveexec_b32 s10, s10
; %bb.17599:                            ;   in Loop: Header=BB6_16763 Depth=2
	v_mov_b64_e32 v[0:1], v[54:55]
	v_bfe_u32 v2, v54, 23, 1
; %bb.17600:                            ;   in Loop: Header=BB6_16763 Depth=2
	s_or_b32 exec_lo, exec_lo, s10
	s_delay_alu instid0(VALU_DEP_2) | instskip(NEXT) | instid1(VALU_DEP_2)
	v_lshrrev_b64 v[0:1], 21, v[0:1]
	v_cmp_gt_i32_e32 vcc_lo, 32, v2
	v_min_i32_e32 v3, 31, v2
	v_cmp_eq_u32_e64 s10, 0, v2
	s_delay_alu instid0(VALU_DEP_2) | instskip(SKIP_1) | instid1(VALU_DEP_2)
	v_dual_cndmask_b32 v1, 0, v1, vcc_lo :: v_dual_lshlrev_b32 v3, 2, v3
	v_cndmask_b32_e32 v0, 3, v0, vcc_lo
	v_and_b32_e32 v3, 0xfc, v3
	s_delay_alu instid0(VALU_DEP_2) | instskip(NEXT) | instid1(VALU_DEP_2)
	v_cmp_eq_u64_e32 vcc_lo, 0, v[0:1]
	v_and_or_b32 v0, v0, 3, v3
	s_and_b32 s10, s10, vcc_lo
	s_delay_alu instid0(VALU_DEP_1) | instid1(SALU_CYCLE_1)
	v_cndmask_b32_e64 v0, v0, 0, s10
	s_delay_alu instid0(VALU_DEP_1)
	v_or_b32_e32 v0, v0, v5
	scratch_store_b32 off, v0, s33 offset:400 ; 4-byte Folded Spill
.LBB6_17601:                            ;   in Loop: Header=BB6_16763 Depth=2
	s_wait_xcnt 0x0
	s_or_b32 exec_lo, exec_lo, s40
                                        ; implicit-def: $vgpr5
.LBB6_17602:                            ;   in Loop: Header=BB6_16763 Depth=2
	s_and_not1_saveexec_b32 s10, s29
	s_cbranch_execz .LBB6_17604
; %bb.17603:                            ;   in Loop: Header=BB6_16763 Depth=2
	v_or_b32_e32 v0, 0x7b, v5
	scratch_store_b32 off, v0, s33 offset:400 ; 4-byte Folded Spill
.LBB6_17604:                            ;   in Loop: Header=BB6_16763 Depth=2
	s_wait_xcnt 0x0
	s_or_b32 exec_lo, exec_lo, s10
                                        ; implicit-def: $vgpr0
                                        ; implicit-def: $vgpr1
.LBB6_17605:                            ;   in Loop: Header=BB6_16763 Depth=2
	s_and_not1_saveexec_b32 s10, s28
	s_cbranch_execz .LBB6_17611
; %bb.17606:                            ;   in Loop: Header=BB6_16763 Depth=2
	s_mov_b32 s28, exec_lo
                                        ; implicit-def: $vgpr2
                                        ; kill: killed $vgpr2
	v_cmpx_ne_u64_e32 0, v[54:55]
	s_xor_b32 s28, exec_lo, s28
	s_cbranch_execz .LBB6_17608
; %bb.17607:                            ;   in Loop: Header=BB6_16763 Depth=2
	v_or_b32_e32 v0, 0x7f, v1
	scratch_store_b32 off, v0, s33 offset:400 ; 4-byte Folded Spill
                                        ; implicit-def: $vgpr0
.LBB6_17608:                            ;   in Loop: Header=BB6_16763 Depth=2
	s_wait_xcnt 0x0
	s_and_not1_saveexec_b32 s28, s28
	s_cbranch_execz .LBB6_17610
; %bb.17609:                            ;   in Loop: Header=BB6_16763 Depth=2
	v_cmp_lt_i32_e32 vcc_lo, -1, v0
	v_cndmask_b32_e32 v0, 0xfc, v30, vcc_lo
	scratch_store_b32 off, v0, s33 offset:400 ; 4-byte Folded Spill
.LBB6_17610:                            ;   in Loop: Header=BB6_16763 Depth=2
	s_wait_xcnt 0x0
	s_or_b32 exec_lo, exec_lo, s28
.LBB6_17611:                            ;   in Loop: Header=BB6_16763 Depth=2
	s_delay_alu instid0(SALU_CYCLE_1) | instskip(SKIP_3) | instid1(VALU_DEP_2)
	s_or_b32 exec_lo, exec_lo, s10
	v_and_b32_e32 v0, 0xff, v13
	v_dual_mov_b32 v54, v13 :: v_dual_mov_b32 v1, 0
	s_mov_b32 s10, exec_lo
	v_cmpx_ne_u16_e32 0, v0
	s_cbranch_execz .LBB6_17621
; %bb.17612:                            ;   in Loop: Header=BB6_16763 Depth=2
	v_bfrev_b32_e32 v1, 1
	s_mov_b32 s28, exec_lo
	v_cmpx_ne_u16_e32 0x80, v0
	s_cbranch_execz .LBB6_17620
; %bb.17613:                            ;   in Loop: Header=BB6_16763 Depth=2
	v_and_b32_e32 v1, 0x7c, v13
	v_and_b32_e32 v0, 3, v13
	s_delay_alu instid0(VALU_DEP_2) | instskip(SKIP_1) | instid1(SALU_CYCLE_1)
	v_cmp_ne_u32_e32 vcc_lo, 0x7c, v1
                                        ; implicit-def: $vgpr1
	s_and_saveexec_b32 s29, vcc_lo
	s_xor_b32 s29, exec_lo, s29
	s_cbranch_execz .LBB6_17617
; %bb.17614:                            ;   in Loop: Header=BB6_16763 Depth=2
	v_bfe_u32 v1, v13, 2, 5
	s_mov_b32 s40, exec_lo
	s_delay_alu instid0(VALU_DEP_1)
	v_cmpx_eq_u32_e32 0, v1
; %bb.17615:                            ;   in Loop: Header=BB6_16763 Depth=2
	v_clz_i32_u32_e32 v0, v0
	s_delay_alu instid0(VALU_DEP_1) | instskip(NEXT) | instid1(VALU_DEP_1)
	v_min_u32_e32 v2, 32, v0
	v_subrev_nc_u32_e32 v0, 29, v2
	s_delay_alu instid0(VALU_DEP_1) | instskip(NEXT) | instid1(VALU_DEP_1)
	v_lshlrev_b64_e32 v[0:1], v0, v[54:55]
	v_dual_sub_nc_u32 v1, 30, v2 :: v_dual_bitop2_b32 v0, 3, v0 bitop3:0x40
; %bb.17616:                            ;   in Loop: Header=BB6_16763 Depth=2
	s_or_b32 exec_lo, exec_lo, s40
	v_lshlrev_b32_e32 v2, 24, v13
	s_delay_alu instid0(VALU_DEP_1) | instskip(NEXT) | instid1(VALU_DEP_1)
	v_and_b32_e32 v2, 0x80000000, v2
	v_lshl_add_u32 v1, v1, 23, v2
	s_delay_alu instid0(VALU_DEP_1) | instskip(NEXT) | instid1(VALU_DEP_1)
	v_lshl_or_b32 v0, v0, 21, v1
	v_add_nc_u32_e32 v1, 0x38000000, v0
                                        ; implicit-def: $vgpr0
.LBB6_17617:                            ;   in Loop: Header=BB6_16763 Depth=2
	s_and_not1_saveexec_b32 s29, s29
; %bb.17618:                            ;   in Loop: Header=BB6_16763 Depth=2
	v_bfe_i32 v1, v13, 0, 8
	s_delay_alu instid0(VALU_DEP_1) | instskip(SKIP_2) | instid1(VALU_DEP_2)
	v_cmp_lt_i16_e32 vcc_lo, -1, v1
	v_cndmask_b32_e32 v1, 0xff800000, v29, vcc_lo
	v_cmp_eq_u32_e32 vcc_lo, 0, v0
	v_cndmask_b32_e32 v1, 0x7f800001, v1, vcc_lo
; %bb.17619:                            ;   in Loop: Header=BB6_16763 Depth=2
	s_or_b32 exec_lo, exec_lo, s29
.LBB6_17620:                            ;   in Loop: Header=BB6_16763 Depth=2
	s_delay_alu instid0(SALU_CYCLE_1)
	s_or_b32 exec_lo, exec_lo, s28
.LBB6_17621:                            ;   in Loop: Header=BB6_16763 Depth=2
	s_delay_alu instid0(SALU_CYCLE_1) | instskip(NEXT) | instid1(VALU_DEP_1)
	s_or_b32 exec_lo, exec_lo, s10
	v_dual_mul_f32 v2, s27, v1 :: v_dual_mov_b32 v7, v55
	v_mov_b32_e32 v1, v55
                                        ; implicit-def: $vgpr5
                                        ; kill: killed $vgpr5
	s_mov_b32 s10, exec_lo
	s_delay_alu instid0(VALU_DEP_2) | instskip(SKIP_2) | instid1(VALU_DEP_3)
	v_and_b32_e32 v6, 0x7f800000, v2
	v_and_b32_e32 v0, 0x7fffff, v2
	v_lshrrev_b32_e32 v3, 24, v2
	v_cmpx_ne_u64_e32 0x7f800000, v[6:7]
	s_xor_b32 s28, exec_lo, s10
	s_cbranch_execz .LBB6_17635
; %bb.17622:                            ;   in Loop: Header=BB6_16763 Depth=2
	v_and_b32_e32 v6, 0x7fffffff, v2
	v_mov_b32_e32 v7, v55
	v_and_b32_e32 v5, 0x80, v3
                                        ; implicit-def: $vgpr3
                                        ; kill: killed $vgpr3
	s_mov_b32 s10, exec_lo
	s_delay_alu instid0(VALU_DEP_2)
	v_cmpx_gt_u64_e32 0x47600001, v[6:7]
	s_xor_b32 s29, exec_lo, s10
	s_cbranch_execz .LBB6_17632
; %bb.17623:                            ;   in Loop: Header=BB6_16763 Depth=2
	v_mov_b32_e32 v3, 0
	s_mov_b32 s40, exec_lo
	scratch_store_b32 off, v3, s33 offset:404 ; 4-byte Folded Spill
	s_wait_xcnt 0x0
	v_cmpx_ne_u32_e32 0, v2
	s_cbranch_execz .LBB6_17631
; %bb.17624:                            ;   in Loop: Header=BB6_16763 Depth=2
	v_bfe_u32 v6, v2, 23, 8
	v_or_b32_e32 v8, 0x800000, v0
	s_delay_alu instid0(VALU_DEP_2) | instskip(SKIP_1) | instid1(VALU_DEP_2)
	v_sub_nc_u32_e32 v2, 0x71, v6
	v_cmp_gt_u32_e32 vcc_lo, 0x72, v6
	v_cndmask_b32_e32 v2, 0, v2, vcc_lo
	v_cmp_eq_u32_e32 vcc_lo, 0, v6
	s_delay_alu instid0(VALU_DEP_2) | instskip(NEXT) | instid1(VALU_DEP_1)
	v_cndmask_b32_e64 v7, v2, 0x70, vcc_lo
	v_dual_cndmask_b32 v0, v8, v0, vcc_lo :: v_dual_add_nc_u32 v2, 21, v7
	v_add_nc_u32_e32 v9, 20, v7
	s_delay_alu instid0(VALU_DEP_2) | instskip(NEXT) | instid1(VALU_DEP_2)
	v_lshlrev_b64_e64 v[2:3], v2, -1
	v_lshlrev_b64_e64 v[8:9], v9, 1
	s_delay_alu instid0(VALU_DEP_2) | instskip(SKIP_1) | instid1(VALU_DEP_4)
	v_bfi_b32 v2, v2, 0, v0
	v_lshrrev_b64 v[0:1], v7, v[0:1]
	v_bfi_b32 v3, v3, 0, 0
	s_delay_alu instid0(VALU_DEP_1) | instskip(NEXT) | instid1(VALU_DEP_3)
	v_cmp_eq_u64_e64 s10, v[2:3], v[8:9]
	v_mov_b64_e32 v[2:3], v[0:1]
	s_and_saveexec_b32 s41, s10
; %bb.17625:                            ;   in Loop: Header=BB6_16763 Depth=2
	v_bfe_u32 v2, v0, 21, 1
	v_mov_b32_e32 v3, v55
	s_delay_alu instid0(VALU_DEP_1) | instskip(NEXT) | instid1(VALU_DEP_1)
	v_add_nc_u64_e32 v[2:3], v[0:1], v[2:3]
	v_add_nc_u64_e32 v[2:3], -1, v[2:3]
; %bb.17626:                            ;   in Loop: Header=BB6_16763 Depth=2
	s_or_b32 exec_lo, exec_lo, s41
	v_add_nc_u32_e32 v1, 0xffffff81, v6
	v_lshrrev_b32_e32 v3, 23, v0
	s_mov_b32 s10, exec_lo
	s_delay_alu instid0(VALU_DEP_2) | instskip(NEXT) | instid1(VALU_DEP_1)
	v_cndmask_b32_e64 v1, v1, 0xffffff82, vcc_lo
	v_add3_u32 v3, v7, v1, v3
	v_and_b32_e32 v1, 0x1fffff, v2
                                        ; implicit-def: $vgpr2
	s_delay_alu instid0(VALU_DEP_1) | instskip(SKIP_1) | instid1(VALU_DEP_2)
	v_dual_add_nc_u32 v6, 14, v3 :: v_dual_add_nc_u32 v0, v1, v0
	v_mov_b32_e32 v1, v55
	v_cmpx_ne_u32_e32 0, v6
	s_xor_b32 s10, exec_lo, s10
; %bb.17627:                            ;   in Loop: Header=BB6_16763 Depth=2
	s_delay_alu instid0(VALU_DEP_2) | instskip(SKIP_2) | instid1(VALU_DEP_2)
	v_cmp_lt_u64_e32 vcc_lo, 0xffffff, v[0:1]
	v_add_nc_u32_e32 v2, 15, v3
	v_cndmask_b32_e64 v3, 0, 1, vcc_lo
	v_cndmask_b32_e32 v2, v6, v2, vcc_lo
	s_delay_alu instid0(VALU_DEP_2)
	v_lshrrev_b64 v[0:1], v3, v[0:1]
; %bb.17628:                            ;   in Loop: Header=BB6_16763 Depth=2
	s_and_not1_saveexec_b32 s10, s10
; %bb.17629:                            ;   in Loop: Header=BB6_16763 Depth=2
	s_delay_alu instid0(VALU_DEP_1)
	v_bfe_u32 v2, v0, 23, 1
; %bb.17630:                            ;   in Loop: Header=BB6_16763 Depth=2
	s_or_b32 exec_lo, exec_lo, s10
	s_delay_alu instid0(VALU_DEP_2) | instskip(NEXT) | instid1(VALU_DEP_2)
	v_lshrrev_b64 v[0:1], 21, v[0:1]
	v_cmp_gt_i32_e32 vcc_lo, 32, v2
	v_min_i32_e32 v3, 31, v2
	v_cmp_eq_u32_e64 s10, 0, v2
	s_delay_alu instid0(VALU_DEP_2) | instskip(SKIP_1) | instid1(VALU_DEP_2)
	v_dual_cndmask_b32 v1, 0, v1, vcc_lo :: v_dual_lshlrev_b32 v3, 2, v3
	v_cndmask_b32_e32 v0, 3, v0, vcc_lo
	v_and_b32_e32 v3, 0xfc, v3
	s_delay_alu instid0(VALU_DEP_2) | instskip(NEXT) | instid1(VALU_DEP_2)
	v_cmp_eq_u64_e32 vcc_lo, 0, v[0:1]
	v_and_or_b32 v0, v0, 3, v3
	s_and_b32 s10, s10, vcc_lo
	s_delay_alu instid0(VALU_DEP_1) | instid1(SALU_CYCLE_1)
	v_cndmask_b32_e64 v0, v0, 0, s10
	s_delay_alu instid0(VALU_DEP_1)
	v_or_b32_e32 v0, v0, v5
	scratch_store_b32 off, v0, s33 offset:404 ; 4-byte Folded Spill
.LBB6_17631:                            ;   in Loop: Header=BB6_16763 Depth=2
	s_wait_xcnt 0x0
	s_or_b32 exec_lo, exec_lo, s40
                                        ; implicit-def: $vgpr5
.LBB6_17632:                            ;   in Loop: Header=BB6_16763 Depth=2
	s_and_not1_saveexec_b32 s10, s29
	s_cbranch_execz .LBB6_17634
; %bb.17633:                            ;   in Loop: Header=BB6_16763 Depth=2
	v_or_b32_e32 v0, 0x7b, v5
	scratch_store_b32 off, v0, s33 offset:404 ; 4-byte Folded Spill
.LBB6_17634:                            ;   in Loop: Header=BB6_16763 Depth=2
	s_wait_xcnt 0x0
	s_or_b32 exec_lo, exec_lo, s10
                                        ; implicit-def: $vgpr2
                                        ; implicit-def: $vgpr0_vgpr1
                                        ; implicit-def: $vgpr3
.LBB6_17635:                            ;   in Loop: Header=BB6_16763 Depth=2
	s_and_not1_saveexec_b32 s10, s28
	s_cbranch_execz .LBB6_17641
; %bb.17636:                            ;   in Loop: Header=BB6_16763 Depth=2
	v_cmp_ne_u64_e32 vcc_lo, 0, v[0:1]
                                        ; implicit-def: $vgpr0
                                        ; kill: killed $vgpr0
	s_and_saveexec_b32 s28, vcc_lo
	s_delay_alu instid0(SALU_CYCLE_1)
	s_xor_b32 s28, exec_lo, s28
	s_cbranch_execz .LBB6_17638
; %bb.17637:                            ;   in Loop: Header=BB6_16763 Depth=2
	v_or_b32_e32 v0, 0x7f, v3
                                        ; implicit-def: $vgpr2
	scratch_store_b32 off, v0, s33 offset:404 ; 4-byte Folded Spill
.LBB6_17638:                            ;   in Loop: Header=BB6_16763 Depth=2
	s_wait_xcnt 0x0
	s_and_not1_saveexec_b32 s28, s28
	s_cbranch_execz .LBB6_17640
; %bb.17639:                            ;   in Loop: Header=BB6_16763 Depth=2
	v_cmp_lt_i32_e32 vcc_lo, -1, v2
	v_cndmask_b32_e32 v0, 0xfc, v30, vcc_lo
	scratch_store_b32 off, v0, s33 offset:404 ; 4-byte Folded Spill
.LBB6_17640:                            ;   in Loop: Header=BB6_16763 Depth=2
	s_wait_xcnt 0x0
	s_or_b32 exec_lo, exec_lo, s28
.LBB6_17641:                            ;   in Loop: Header=BB6_16763 Depth=2
	s_delay_alu instid0(SALU_CYCLE_1) | instskip(SKIP_3) | instid1(VALU_DEP_2)
	s_or_b32 exec_lo, exec_lo, s10
	v_lshrrev_b16 v0, 8, v54
	v_mov_b32_e32 v2, 0
	s_mov_b32 s10, exec_lo
	v_cmpx_ne_u16_e32 0, v0
	s_cbranch_execz .LBB6_17651
; %bb.17642:                            ;   in Loop: Header=BB6_16763 Depth=2
	v_bfrev_b32_e32 v2, 1
	s_mov_b32 s28, exec_lo
	v_cmpx_ne_u16_e32 0x80, v0
	s_cbranch_execz .LBB6_17650
; %bb.17643:                            ;   in Loop: Header=BB6_16763 Depth=2
	v_and_b32_e32 v3, 0xffff, v0
	s_delay_alu instid0(VALU_DEP_1) | instskip(SKIP_1) | instid1(VALU_DEP_2)
	v_and_b32_e32 v2, 0x7c, v3
	v_and_b32_e32 v1, 3, v3
	v_cmp_ne_u32_e32 vcc_lo, 0x7c, v2
                                        ; implicit-def: $vgpr2
	s_and_saveexec_b32 s29, vcc_lo
	s_delay_alu instid0(SALU_CYCLE_1)
	s_xor_b32 s29, exec_lo, s29
	s_cbranch_execz .LBB6_17647
; %bb.17644:                            ;   in Loop: Header=BB6_16763 Depth=2
	v_bfe_u32 v2, v3, 2, 5
	s_mov_b32 s40, exec_lo
	s_delay_alu instid0(VALU_DEP_1)
	v_cmpx_eq_u32_e32 0, v2
	s_cbranch_execz .LBB6_17646
; %bb.17645:                            ;   in Loop: Header=BB6_16763 Depth=2
	v_clz_i32_u32_e32 v1, v1
	s_delay_alu instid0(VALU_DEP_1) | instskip(SKIP_1) | instid1(VALU_DEP_2)
	v_min_u32_e32 v2, 32, v1
	v_mov_b32_e32 v1, v55
	v_subrev_nc_u32_e32 v3, 29, v2
	v_sub_nc_u32_e32 v2, 30, v2
	s_delay_alu instid0(VALU_DEP_2) | instskip(NEXT) | instid1(VALU_DEP_1)
	v_lshlrev_b64_e32 v[0:1], v3, v[0:1]
	v_and_b32_e32 v1, 3, v0
.LBB6_17646:                            ;   in Loop: Header=BB6_16763 Depth=2
	s_or_b32 exec_lo, exec_lo, s40
	v_lshlrev_b32_e32 v0, 16, v54
	s_delay_alu instid0(VALU_DEP_1) | instskip(NEXT) | instid1(VALU_DEP_1)
	v_and_b32_e32 v0, 0x80000000, v0
	v_lshl_add_u32 v0, v2, 23, v0
	s_delay_alu instid0(VALU_DEP_1) | instskip(NEXT) | instid1(VALU_DEP_1)
	v_lshl_or_b32 v0, v1, 21, v0
                                        ; implicit-def: $vgpr1
	v_add_nc_u32_e32 v2, 0x38000000, v0
.LBB6_17647:                            ;   in Loop: Header=BB6_16763 Depth=2
	s_and_not1_saveexec_b32 s29, s29
; %bb.17648:                            ;   in Loop: Header=BB6_16763 Depth=2
	v_cmp_lt_i16_e32 vcc_lo, -1, v54
	v_cndmask_b32_e32 v0, 0xff800000, v29, vcc_lo
	v_cmp_eq_u32_e32 vcc_lo, 0, v1
	s_delay_alu instid0(VALU_DEP_2)
	v_cndmask_b32_e32 v2, 0x7f800001, v0, vcc_lo
; %bb.17649:                            ;   in Loop: Header=BB6_16763 Depth=2
	s_or_b32 exec_lo, exec_lo, s29
.LBB6_17650:                            ;   in Loop: Header=BB6_16763 Depth=2
	s_delay_alu instid0(SALU_CYCLE_1)
	s_or_b32 exec_lo, exec_lo, s28
.LBB6_17651:                            ;   in Loop: Header=BB6_16763 Depth=2
	s_delay_alu instid0(SALU_CYCLE_1) | instskip(NEXT) | instid1(VALU_DEP_1)
	s_or_b32 exec_lo, exec_lo, s10
	v_dual_mul_f32 v0, s27, v2 :: v_dual_mov_b32 v3, v55
                                        ; implicit-def: $vgpr42
	s_mov_b32 s10, exec_lo
	s_delay_alu instid0(VALU_DEP_1) | instskip(SKIP_2) | instid1(VALU_DEP_3)
	v_and_b32_e32 v2, 0x7f800000, v0
	v_and_b32_e32 v54, 0x7fffff, v0
	v_lshrrev_b32_e32 v1, 24, v0
	v_cmpx_ne_u64_e32 0x7f800000, v[2:3]
	s_xor_b32 s28, exec_lo, s10
	s_cbranch_execz .LBB6_17665
; %bb.17652:                            ;   in Loop: Header=BB6_16763 Depth=2
	v_and_b32_e32 v2, 0x7fffffff, v0
	v_mov_b32_e32 v3, v55
	v_and_b32_e32 v5, 0x80, v1
                                        ; implicit-def: $vgpr42
	s_mov_b32 s10, exec_lo
	s_delay_alu instid0(VALU_DEP_2)
	v_cmpx_gt_u64_e32 0x47600001, v[2:3]
	s_xor_b32 s29, exec_lo, s10
	s_cbranch_execz .LBB6_17662
; %bb.17653:                            ;   in Loop: Header=BB6_16763 Depth=2
	v_mov_b32_e32 v42, 0
	s_mov_b32 s40, exec_lo
	v_cmpx_ne_u32_e32 0, v0
	s_cbranch_execz .LBB6_17661
; %bb.17654:                            ;   in Loop: Header=BB6_16763 Depth=2
	v_bfe_u32 v6, v0, 23, 8
	v_or_b32_e32 v2, 0x800000, v54
	s_mov_b32 s41, exec_lo
	s_delay_alu instid0(VALU_DEP_2) | instskip(SKIP_1) | instid1(VALU_DEP_2)
	v_dual_mov_b32 v3, v55 :: v_dual_sub_nc_u32 v0, 0x71, v6
	v_cmp_gt_u32_e32 vcc_lo, 0x72, v6
	v_cndmask_b32_e32 v0, 0, v0, vcc_lo
	v_cmp_eq_u32_e32 vcc_lo, 0, v6
	s_delay_alu instid0(VALU_DEP_2) | instskip(NEXT) | instid1(VALU_DEP_1)
	v_cndmask_b32_e64 v7, v0, 0x70, vcc_lo
	v_dual_cndmask_b32 v2, v2, v54, vcc_lo :: v_dual_add_nc_u32 v0, 21, v7
	v_add_nc_u32_e32 v8, 20, v7
	s_delay_alu instid0(VALU_DEP_2) | instskip(NEXT) | instid1(VALU_DEP_2)
	v_lshlrev_b64_e64 v[0:1], v0, -1
	v_lshlrev_b64_e64 v[8:9], v8, 1
	s_delay_alu instid0(VALU_DEP_2) | instskip(NEXT) | instid1(VALU_DEP_3)
	v_bfi_b32 v11, v1, 0, 0
	v_bfi_b32 v10, v0, 0, v2
	v_lshrrev_b64 v[0:1], v7, v[2:3]
	s_delay_alu instid0(VALU_DEP_1) | instskip(NEXT) | instid1(VALU_DEP_3)
	v_mov_b64_e32 v[2:3], v[0:1]
	v_cmpx_eq_u64_e64 v[10:11], v[8:9]
; %bb.17655:                            ;   in Loop: Header=BB6_16763 Depth=2
	v_bfe_u32 v2, v0, 21, 1
	v_mov_b32_e32 v3, v55
	s_delay_alu instid0(VALU_DEP_1) | instskip(NEXT) | instid1(VALU_DEP_1)
	v_add_nc_u64_e32 v[2:3], v[0:1], v[2:3]
	v_add_nc_u64_e32 v[2:3], -1, v[2:3]
; %bb.17656:                            ;   in Loop: Header=BB6_16763 Depth=2
	s_or_b32 exec_lo, exec_lo, s41
	v_add_nc_u32_e32 v1, 0xffffff81, v6
	v_lshrrev_b32_e32 v3, 23, v0
	s_mov_b32 s10, exec_lo
	s_delay_alu instid0(VALU_DEP_2) | instskip(NEXT) | instid1(VALU_DEP_1)
	v_cndmask_b32_e64 v1, v1, 0xffffff82, vcc_lo
	v_add3_u32 v3, v7, v1, v3
	v_and_b32_e32 v1, 0x1fffff, v2
                                        ; implicit-def: $vgpr2
	s_delay_alu instid0(VALU_DEP_1) | instskip(NEXT) | instid1(VALU_DEP_1)
	v_dual_add_nc_u32 v6, 14, v3 :: v_dual_add_nc_u32 v54, v1, v0
                                        ; implicit-def: $vgpr0_vgpr1
	v_cmpx_ne_u32_e32 0, v6
	s_xor_b32 s10, exec_lo, s10
; %bb.17657:                            ;   in Loop: Header=BB6_16763 Depth=2
	s_delay_alu instid0(VALU_DEP_2) | instskip(SKIP_1) | instid1(VALU_DEP_1)
	v_cmp_lt_u64_e32 vcc_lo, 0xffffff, v[54:55]
	v_add_nc_u32_e32 v0, 15, v3
	v_cndmask_b32_e32 v2, v6, v0, vcc_lo
	v_cndmask_b32_e64 v0, 0, 1, vcc_lo
	s_delay_alu instid0(VALU_DEP_1)
	v_lshrrev_b64 v[0:1], v0, v[54:55]
; %bb.17658:                            ;   in Loop: Header=BB6_16763 Depth=2
	s_and_not1_saveexec_b32 s10, s10
; %bb.17659:                            ;   in Loop: Header=BB6_16763 Depth=2
	v_mov_b64_e32 v[0:1], v[54:55]
	v_bfe_u32 v2, v54, 23, 1
; %bb.17660:                            ;   in Loop: Header=BB6_16763 Depth=2
	s_or_b32 exec_lo, exec_lo, s10
	s_delay_alu instid0(VALU_DEP_2) | instskip(NEXT) | instid1(VALU_DEP_2)
	v_lshrrev_b64 v[0:1], 21, v[0:1]
	v_cmp_gt_i32_e32 vcc_lo, 32, v2
	v_min_i32_e32 v3, 31, v2
	v_cmp_eq_u32_e64 s10, 0, v2
	s_delay_alu instid0(VALU_DEP_2) | instskip(SKIP_1) | instid1(VALU_DEP_2)
	v_dual_cndmask_b32 v1, 0, v1, vcc_lo :: v_dual_lshlrev_b32 v3, 2, v3
	v_cndmask_b32_e32 v0, 3, v0, vcc_lo
	v_and_b32_e32 v3, 0xfc, v3
	s_delay_alu instid0(VALU_DEP_2) | instskip(NEXT) | instid1(VALU_DEP_2)
	v_cmp_eq_u64_e32 vcc_lo, 0, v[0:1]
	v_and_or_b32 v0, v0, 3, v3
	s_and_b32 s10, s10, vcc_lo
	s_delay_alu instid0(VALU_DEP_1) | instid1(SALU_CYCLE_1)
	v_cndmask_b32_e64 v0, v0, 0, s10
	s_delay_alu instid0(VALU_DEP_1)
	v_or_b32_e32 v42, v0, v5
.LBB6_17661:                            ;   in Loop: Header=BB6_16763 Depth=2
	s_or_b32 exec_lo, exec_lo, s40
                                        ; implicit-def: $vgpr5
.LBB6_17662:                            ;   in Loop: Header=BB6_16763 Depth=2
	s_and_not1_saveexec_b32 s10, s29
; %bb.17663:                            ;   in Loop: Header=BB6_16763 Depth=2
	v_or_b32_e32 v42, 0x7b, v5
; %bb.17664:                            ;   in Loop: Header=BB6_16763 Depth=2
	s_or_b32 exec_lo, exec_lo, s10
                                        ; implicit-def: $vgpr0
                                        ; implicit-def: $vgpr1
.LBB6_17665:                            ;   in Loop: Header=BB6_16763 Depth=2
	s_and_not1_saveexec_b32 s10, s28
	s_cbranch_execz .LBB6_17671
; %bb.17666:                            ;   in Loop: Header=BB6_16763 Depth=2
	s_mov_b32 s28, exec_lo
                                        ; implicit-def: $vgpr42
	v_cmpx_ne_u64_e32 0, v[54:55]
	s_xor_b32 s28, exec_lo, s28
; %bb.17667:                            ;   in Loop: Header=BB6_16763 Depth=2
	v_or_b32_e32 v42, 0x7f, v1
                                        ; implicit-def: $vgpr0
; %bb.17668:                            ;   in Loop: Header=BB6_16763 Depth=2
	s_and_not1_saveexec_b32 s28, s28
; %bb.17669:                            ;   in Loop: Header=BB6_16763 Depth=2
	v_cmp_lt_i32_e32 vcc_lo, -1, v0
	v_cndmask_b32_e32 v42, 0xfc, v30, vcc_lo
; %bb.17670:                            ;   in Loop: Header=BB6_16763 Depth=2
	s_or_b32 exec_lo, exec_lo, s28
.LBB6_17671:                            ;   in Loop: Header=BB6_16763 Depth=2
	s_delay_alu instid0(SALU_CYCLE_1) | instskip(SKIP_2) | instid1(VALU_DEP_1)
	s_or_b32 exec_lo, exec_lo, s10
	v_dual_lshrrev_b32 v0, 16, v13 :: v_dual_mov_b32 v2, 0
	s_mov_b32 s10, exec_lo
	v_and_b32_e32 v1, 0xff, v0
	s_delay_alu instid0(VALU_DEP_1)
	v_cmpx_ne_u16_e32 0, v1
	s_cbranch_execz .LBB6_17681
; %bb.17672:                            ;   in Loop: Header=BB6_16763 Depth=2
	v_bfrev_b32_e32 v2, 1
	s_mov_b32 s28, exec_lo
	v_cmpx_ne_u16_e32 0x80, v1
	s_cbranch_execz .LBB6_17680
; %bb.17673:                            ;   in Loop: Header=BB6_16763 Depth=2
	v_and_b32_e32 v2, 0x7c0000, v13
	v_bfe_u32 v1, v13, 16, 2
	s_delay_alu instid0(VALU_DEP_2) | instskip(SKIP_1) | instid1(SALU_CYCLE_1)
	v_cmp_ne_u32_e32 vcc_lo, 0x7c0000, v2
                                        ; implicit-def: $vgpr2
	s_and_saveexec_b32 s29, vcc_lo
	s_xor_b32 s29, exec_lo, s29
	s_cbranch_execz .LBB6_17677
; %bb.17674:                            ;   in Loop: Header=BB6_16763 Depth=2
	v_bfe_u32 v2, v13, 18, 5
	s_mov_b32 s40, exec_lo
	s_delay_alu instid0(VALU_DEP_1)
	v_cmpx_eq_u32_e32 0, v2
; %bb.17675:                            ;   in Loop: Header=BB6_16763 Depth=2
	v_clz_i32_u32_e32 v1, v1
	s_delay_alu instid0(VALU_DEP_1) | instskip(NEXT) | instid1(VALU_DEP_1)
	v_min_u32_e32 v1, 32, v1
	v_subrev_nc_u32_e32 v2, 29, v1
	s_delay_alu instid0(VALU_DEP_1) | instskip(NEXT) | instid1(VALU_DEP_1)
	v_lshlrev_b64_e32 v[6:7], v2, v[0:1]
	v_dual_sub_nc_u32 v2, 30, v1 :: v_dual_bitop2_b32 v1, 3, v6 bitop3:0x40
; %bb.17676:                            ;   in Loop: Header=BB6_16763 Depth=2
	s_or_b32 exec_lo, exec_lo, s40
	v_lshlrev_b32_e32 v0, 24, v0
	s_delay_alu instid0(VALU_DEP_1) | instskip(NEXT) | instid1(VALU_DEP_1)
	v_and_b32_e32 v0, 0x80000000, v0
	v_lshl_add_u32 v0, v2, 23, v0
	s_delay_alu instid0(VALU_DEP_1) | instskip(NEXT) | instid1(VALU_DEP_1)
	v_lshl_or_b32 v0, v1, 21, v0
                                        ; implicit-def: $vgpr1
	v_add_nc_u32_e32 v2, 0x38000000, v0
                                        ; implicit-def: $vgpr0
.LBB6_17677:                            ;   in Loop: Header=BB6_16763 Depth=2
	s_and_not1_saveexec_b32 s29, s29
; %bb.17678:                            ;   in Loop: Header=BB6_16763 Depth=2
	v_bfe_i32 v0, v0, 0, 8
	s_delay_alu instid0(VALU_DEP_1) | instskip(SKIP_2) | instid1(VALU_DEP_2)
	v_cmp_lt_i16_e32 vcc_lo, -1, v0
	v_cndmask_b32_e32 v0, 0xff800000, v29, vcc_lo
	v_cmp_eq_u32_e32 vcc_lo, 0, v1
	v_cndmask_b32_e32 v2, 0x7f800001, v0, vcc_lo
; %bb.17679:                            ;   in Loop: Header=BB6_16763 Depth=2
	s_or_b32 exec_lo, exec_lo, s29
.LBB6_17680:                            ;   in Loop: Header=BB6_16763 Depth=2
	s_delay_alu instid0(SALU_CYCLE_1)
	s_or_b32 exec_lo, exec_lo, s28
.LBB6_17681:                            ;   in Loop: Header=BB6_16763 Depth=2
	s_delay_alu instid0(SALU_CYCLE_1) | instskip(NEXT) | instid1(VALU_DEP_1)
	s_or_b32 exec_lo, exec_lo, s10
	v_dual_mul_f32 v0, s27, v2 :: v_dual_mov_b32 v3, v55
                                        ; implicit-def: $vgpr43
	s_mov_b32 s10, exec_lo
	s_delay_alu instid0(VALU_DEP_1) | instskip(SKIP_2) | instid1(VALU_DEP_3)
	v_and_b32_e32 v2, 0x7f800000, v0
	v_and_b32_e32 v54, 0x7fffff, v0
	v_lshrrev_b32_e32 v1, 24, v0
	v_cmpx_ne_u64_e32 0x7f800000, v[2:3]
	s_xor_b32 s28, exec_lo, s10
	s_cbranch_execz .LBB6_17695
; %bb.17682:                            ;   in Loop: Header=BB6_16763 Depth=2
	v_and_b32_e32 v2, 0x7fffffff, v0
	v_mov_b32_e32 v3, v55
	v_and_b32_e32 v5, 0x80, v1
                                        ; implicit-def: $vgpr43
	s_mov_b32 s10, exec_lo
	s_delay_alu instid0(VALU_DEP_2)
	v_cmpx_gt_u64_e32 0x47600001, v[2:3]
	s_xor_b32 s29, exec_lo, s10
	s_cbranch_execz .LBB6_17692
; %bb.17683:                            ;   in Loop: Header=BB6_16763 Depth=2
	v_mov_b32_e32 v43, 0
	s_mov_b32 s40, exec_lo
	v_cmpx_ne_u32_e32 0, v0
	s_cbranch_execz .LBB6_17691
; %bb.17684:                            ;   in Loop: Header=BB6_16763 Depth=2
	v_bfe_u32 v6, v0, 23, 8
	v_or_b32_e32 v2, 0x800000, v54
	s_mov_b32 s41, exec_lo
	s_delay_alu instid0(VALU_DEP_2) | instskip(SKIP_1) | instid1(VALU_DEP_2)
	v_dual_mov_b32 v3, v55 :: v_dual_sub_nc_u32 v0, 0x71, v6
	v_cmp_gt_u32_e32 vcc_lo, 0x72, v6
	v_cndmask_b32_e32 v0, 0, v0, vcc_lo
	v_cmp_eq_u32_e32 vcc_lo, 0, v6
	s_delay_alu instid0(VALU_DEP_2) | instskip(NEXT) | instid1(VALU_DEP_1)
	v_cndmask_b32_e64 v7, v0, 0x70, vcc_lo
	v_dual_cndmask_b32 v2, v2, v54, vcc_lo :: v_dual_add_nc_u32 v0, 21, v7
	v_add_nc_u32_e32 v8, 20, v7
	s_delay_alu instid0(VALU_DEP_2) | instskip(NEXT) | instid1(VALU_DEP_2)
	v_lshlrev_b64_e64 v[0:1], v0, -1
	v_lshlrev_b64_e64 v[8:9], v8, 1
	s_delay_alu instid0(VALU_DEP_2) | instskip(NEXT) | instid1(VALU_DEP_3)
	v_bfi_b32 v11, v1, 0, 0
	v_bfi_b32 v10, v0, 0, v2
	v_lshrrev_b64 v[0:1], v7, v[2:3]
	s_delay_alu instid0(VALU_DEP_1) | instskip(NEXT) | instid1(VALU_DEP_3)
	v_mov_b64_e32 v[2:3], v[0:1]
	v_cmpx_eq_u64_e64 v[10:11], v[8:9]
; %bb.17685:                            ;   in Loop: Header=BB6_16763 Depth=2
	v_bfe_u32 v2, v0, 21, 1
	v_mov_b32_e32 v3, v55
	s_delay_alu instid0(VALU_DEP_1) | instskip(NEXT) | instid1(VALU_DEP_1)
	v_add_nc_u64_e32 v[2:3], v[0:1], v[2:3]
	v_add_nc_u64_e32 v[2:3], -1, v[2:3]
; %bb.17686:                            ;   in Loop: Header=BB6_16763 Depth=2
	s_or_b32 exec_lo, exec_lo, s41
	v_add_nc_u32_e32 v1, 0xffffff81, v6
	v_lshrrev_b32_e32 v3, 23, v0
	s_mov_b32 s10, exec_lo
	s_delay_alu instid0(VALU_DEP_2) | instskip(NEXT) | instid1(VALU_DEP_1)
	v_cndmask_b32_e64 v1, v1, 0xffffff82, vcc_lo
	v_add3_u32 v3, v7, v1, v3
	v_and_b32_e32 v1, 0x1fffff, v2
                                        ; implicit-def: $vgpr2
	s_delay_alu instid0(VALU_DEP_1) | instskip(NEXT) | instid1(VALU_DEP_1)
	v_dual_add_nc_u32 v6, 14, v3 :: v_dual_add_nc_u32 v54, v1, v0
                                        ; implicit-def: $vgpr0_vgpr1
	v_cmpx_ne_u32_e32 0, v6
	s_xor_b32 s10, exec_lo, s10
; %bb.17687:                            ;   in Loop: Header=BB6_16763 Depth=2
	s_delay_alu instid0(VALU_DEP_2) | instskip(SKIP_1) | instid1(VALU_DEP_1)
	v_cmp_lt_u64_e32 vcc_lo, 0xffffff, v[54:55]
	v_add_nc_u32_e32 v0, 15, v3
	v_cndmask_b32_e32 v2, v6, v0, vcc_lo
	v_cndmask_b32_e64 v0, 0, 1, vcc_lo
	s_delay_alu instid0(VALU_DEP_1)
	v_lshrrev_b64 v[0:1], v0, v[54:55]
; %bb.17688:                            ;   in Loop: Header=BB6_16763 Depth=2
	s_and_not1_saveexec_b32 s10, s10
; %bb.17689:                            ;   in Loop: Header=BB6_16763 Depth=2
	v_mov_b64_e32 v[0:1], v[54:55]
	v_bfe_u32 v2, v54, 23, 1
; %bb.17690:                            ;   in Loop: Header=BB6_16763 Depth=2
	s_or_b32 exec_lo, exec_lo, s10
	s_delay_alu instid0(VALU_DEP_2) | instskip(NEXT) | instid1(VALU_DEP_2)
	v_lshrrev_b64 v[0:1], 21, v[0:1]
	v_cmp_gt_i32_e32 vcc_lo, 32, v2
	v_min_i32_e32 v3, 31, v2
	v_cmp_eq_u32_e64 s10, 0, v2
	s_delay_alu instid0(VALU_DEP_2) | instskip(SKIP_1) | instid1(VALU_DEP_2)
	v_dual_cndmask_b32 v1, 0, v1, vcc_lo :: v_dual_lshlrev_b32 v3, 2, v3
	v_cndmask_b32_e32 v0, 3, v0, vcc_lo
	v_and_b32_e32 v3, 0xfc, v3
	s_delay_alu instid0(VALU_DEP_2) | instskip(NEXT) | instid1(VALU_DEP_2)
	v_cmp_eq_u64_e32 vcc_lo, 0, v[0:1]
	v_and_or_b32 v0, v0, 3, v3
	s_and_b32 s10, s10, vcc_lo
	s_delay_alu instid0(VALU_DEP_1) | instid1(SALU_CYCLE_1)
	v_cndmask_b32_e64 v0, v0, 0, s10
	s_delay_alu instid0(VALU_DEP_1)
	v_or_b32_e32 v43, v0, v5
.LBB6_17691:                            ;   in Loop: Header=BB6_16763 Depth=2
	s_or_b32 exec_lo, exec_lo, s40
                                        ; implicit-def: $vgpr5
.LBB6_17692:                            ;   in Loop: Header=BB6_16763 Depth=2
	s_and_not1_saveexec_b32 s10, s29
; %bb.17693:                            ;   in Loop: Header=BB6_16763 Depth=2
	v_or_b32_e32 v43, 0x7b, v5
; %bb.17694:                            ;   in Loop: Header=BB6_16763 Depth=2
	s_or_b32 exec_lo, exec_lo, s10
                                        ; implicit-def: $vgpr0
                                        ; implicit-def: $vgpr1
.LBB6_17695:                            ;   in Loop: Header=BB6_16763 Depth=2
	s_and_not1_saveexec_b32 s10, s28
	s_cbranch_execz .LBB6_17701
; %bb.17696:                            ;   in Loop: Header=BB6_16763 Depth=2
	s_mov_b32 s28, exec_lo
                                        ; implicit-def: $vgpr43
	v_cmpx_ne_u64_e32 0, v[54:55]
	s_xor_b32 s28, exec_lo, s28
; %bb.17697:                            ;   in Loop: Header=BB6_16763 Depth=2
	v_or_b32_e32 v43, 0x7f, v1
                                        ; implicit-def: $vgpr0
; %bb.17698:                            ;   in Loop: Header=BB6_16763 Depth=2
	s_and_not1_saveexec_b32 s28, s28
; %bb.17699:                            ;   in Loop: Header=BB6_16763 Depth=2
	v_cmp_lt_i32_e32 vcc_lo, -1, v0
	v_cndmask_b32_e32 v43, 0xfc, v30, vcc_lo
; %bb.17700:                            ;   in Loop: Header=BB6_16763 Depth=2
	s_or_b32 exec_lo, exec_lo, s28
.LBB6_17701:                            ;   in Loop: Header=BB6_16763 Depth=2
	s_delay_alu instid0(SALU_CYCLE_1)
	s_or_b32 exec_lo, exec_lo, s10
	v_mov_b32_e32 v1, 0
	s_mov_b32 s10, exec_lo
	v_cmpx_lt_u64_e64 s[12:13], v[12:13]
	s_cbranch_execz .LBB6_17711
; %bb.17702:                            ;   in Loop: Header=BB6_16763 Depth=2
	v_lshrrev_b32_e32 v0, 24, v13
	v_bfrev_b32_e32 v1, 1
	s_mov_b32 s28, exec_lo
	s_delay_alu instid0(VALU_DEP_2)
	v_cmpx_ne_u32_e32 0x80, v0
	s_cbranch_execz .LBB6_17710
; %bb.17703:                            ;   in Loop: Header=BB6_16763 Depth=2
	v_and_b32_e32 v1, 0x7c000000, v13
	v_bfe_u32 v2, v13, 24, 2
	s_delay_alu instid0(VALU_DEP_2) | instskip(SKIP_1) | instid1(SALU_CYCLE_1)
	v_cmp_ne_u32_e32 vcc_lo, 0x7c000000, v1
                                        ; implicit-def: $vgpr1
	s_and_saveexec_b32 s29, vcc_lo
	s_xor_b32 s29, exec_lo, s29
	s_cbranch_execz .LBB6_17707
; %bb.17704:                            ;   in Loop: Header=BB6_16763 Depth=2
	v_bfe_u32 v1, v13, 26, 5
	s_mov_b32 s40, exec_lo
	s_delay_alu instid0(VALU_DEP_1)
	v_cmpx_eq_u32_e32 0, v1
; %bb.17705:                            ;   in Loop: Header=BB6_16763 Depth=2
	v_clz_i32_u32_e32 v1, v2
	s_delay_alu instid0(VALU_DEP_1) | instskip(NEXT) | instid1(VALU_DEP_1)
	v_min_u32_e32 v2, 32, v1
	v_subrev_nc_u32_e32 v1, 29, v2
	s_delay_alu instid0(VALU_DEP_1) | instskip(NEXT) | instid1(VALU_DEP_1)
	v_lshlrev_b64_e32 v[0:1], v1, v[0:1]
	v_dual_sub_nc_u32 v1, 30, v2 :: v_dual_bitop2_b32 v2, 3, v0 bitop3:0x40
; %bb.17706:                            ;   in Loop: Header=BB6_16763 Depth=2
	s_or_b32 exec_lo, exec_lo, s40
	v_and_b32_e32 v0, 0x80000000, v13
                                        ; implicit-def: $vgpr12_vgpr13
	s_delay_alu instid0(VALU_DEP_1) | instskip(NEXT) | instid1(VALU_DEP_1)
	v_lshl_add_u32 v0, v1, 23, v0
	v_lshl_or_b32 v0, v2, 21, v0
                                        ; implicit-def: $vgpr2
	s_delay_alu instid0(VALU_DEP_1)
	v_add_nc_u32_e32 v1, 0x38000000, v0
.LBB6_17707:                            ;   in Loop: Header=BB6_16763 Depth=2
	s_and_not1_saveexec_b32 s29, s29
; %bb.17708:                            ;   in Loop: Header=BB6_16763 Depth=2
	v_cmp_lt_i64_e32 vcc_lo, -1, v[12:13]
	v_cndmask_b32_e32 v0, 0xff800000, v29, vcc_lo
	v_cmp_eq_u32_e32 vcc_lo, 0, v2
	s_delay_alu instid0(VALU_DEP_2)
	v_cndmask_b32_e32 v1, 0x7f800001, v0, vcc_lo
; %bb.17709:                            ;   in Loop: Header=BB6_16763 Depth=2
	s_or_b32 exec_lo, exec_lo, s29
.LBB6_17710:                            ;   in Loop: Header=BB6_16763 Depth=2
	s_delay_alu instid0(SALU_CYCLE_1)
	s_or_b32 exec_lo, exec_lo, s28
.LBB6_17711:                            ;   in Loop: Header=BB6_16763 Depth=2
	s_delay_alu instid0(SALU_CYCLE_1) | instskip(NEXT) | instid1(VALU_DEP_1)
	s_or_b32 exec_lo, exec_lo, s10
	v_dual_mul_f32 v0, s27, v1 :: v_dual_mov_b32 v3, v55
                                        ; implicit-def: $vgpr44
	s_mov_b32 s10, exec_lo
	s_delay_alu instid0(VALU_DEP_1) | instskip(SKIP_2) | instid1(VALU_DEP_3)
	v_and_b32_e32 v2, 0x7f800000, v0
	v_and_b32_e32 v54, 0x7fffff, v0
	v_lshrrev_b32_e32 v1, 24, v0
	v_cmpx_ne_u64_e32 0x7f800000, v[2:3]
	s_xor_b32 s28, exec_lo, s10
	s_cbranch_execz .LBB6_17725
; %bb.17712:                            ;   in Loop: Header=BB6_16763 Depth=2
	v_and_b32_e32 v2, 0x7fffffff, v0
	v_mov_b32_e32 v3, v55
	v_and_b32_e32 v5, 0x80, v1
                                        ; implicit-def: $vgpr44
	s_mov_b32 s10, exec_lo
	s_delay_alu instid0(VALU_DEP_2)
	v_cmpx_gt_u64_e32 0x47600001, v[2:3]
	s_xor_b32 s29, exec_lo, s10
	s_cbranch_execz .LBB6_17722
; %bb.17713:                            ;   in Loop: Header=BB6_16763 Depth=2
	v_mov_b32_e32 v44, 0
	s_mov_b32 s40, exec_lo
	v_cmpx_ne_u32_e32 0, v0
	s_cbranch_execz .LBB6_17721
; %bb.17714:                            ;   in Loop: Header=BB6_16763 Depth=2
	v_bfe_u32 v6, v0, 23, 8
	v_or_b32_e32 v2, 0x800000, v54
	s_mov_b32 s41, exec_lo
	s_delay_alu instid0(VALU_DEP_2) | instskip(SKIP_1) | instid1(VALU_DEP_2)
	v_dual_mov_b32 v3, v55 :: v_dual_sub_nc_u32 v0, 0x71, v6
	v_cmp_gt_u32_e32 vcc_lo, 0x72, v6
	v_cndmask_b32_e32 v0, 0, v0, vcc_lo
	v_cmp_eq_u32_e32 vcc_lo, 0, v6
	s_delay_alu instid0(VALU_DEP_2) | instskip(NEXT) | instid1(VALU_DEP_1)
	v_cndmask_b32_e64 v7, v0, 0x70, vcc_lo
	v_dual_cndmask_b32 v2, v2, v54, vcc_lo :: v_dual_add_nc_u32 v0, 21, v7
	v_add_nc_u32_e32 v8, 20, v7
	s_delay_alu instid0(VALU_DEP_2) | instskip(NEXT) | instid1(VALU_DEP_2)
	v_lshlrev_b64_e64 v[0:1], v0, -1
	v_lshlrev_b64_e64 v[8:9], v8, 1
	s_delay_alu instid0(VALU_DEP_2) | instskip(NEXT) | instid1(VALU_DEP_3)
	v_bfi_b32 v11, v1, 0, 0
	v_bfi_b32 v10, v0, 0, v2
	v_lshrrev_b64 v[0:1], v7, v[2:3]
	s_delay_alu instid0(VALU_DEP_1) | instskip(NEXT) | instid1(VALU_DEP_3)
	v_mov_b64_e32 v[2:3], v[0:1]
	v_cmpx_eq_u64_e64 v[10:11], v[8:9]
; %bb.17715:                            ;   in Loop: Header=BB6_16763 Depth=2
	v_bfe_u32 v2, v0, 21, 1
	v_mov_b32_e32 v3, v55
	s_delay_alu instid0(VALU_DEP_1) | instskip(NEXT) | instid1(VALU_DEP_1)
	v_add_nc_u64_e32 v[2:3], v[0:1], v[2:3]
	v_add_nc_u64_e32 v[2:3], -1, v[2:3]
; %bb.17716:                            ;   in Loop: Header=BB6_16763 Depth=2
	s_or_b32 exec_lo, exec_lo, s41
	v_add_nc_u32_e32 v1, 0xffffff81, v6
	v_lshrrev_b32_e32 v3, 23, v0
	s_mov_b32 s10, exec_lo
	s_delay_alu instid0(VALU_DEP_2) | instskip(NEXT) | instid1(VALU_DEP_1)
	v_cndmask_b32_e64 v1, v1, 0xffffff82, vcc_lo
	v_add3_u32 v3, v7, v1, v3
	v_and_b32_e32 v1, 0x1fffff, v2
                                        ; implicit-def: $vgpr2
	s_delay_alu instid0(VALU_DEP_1) | instskip(NEXT) | instid1(VALU_DEP_1)
	v_dual_add_nc_u32 v6, 14, v3 :: v_dual_add_nc_u32 v54, v1, v0
                                        ; implicit-def: $vgpr0_vgpr1
	v_cmpx_ne_u32_e32 0, v6
	s_xor_b32 s10, exec_lo, s10
; %bb.17717:                            ;   in Loop: Header=BB6_16763 Depth=2
	s_delay_alu instid0(VALU_DEP_2) | instskip(SKIP_1) | instid1(VALU_DEP_1)
	v_cmp_lt_u64_e32 vcc_lo, 0xffffff, v[54:55]
	v_add_nc_u32_e32 v0, 15, v3
	v_cndmask_b32_e32 v2, v6, v0, vcc_lo
	v_cndmask_b32_e64 v0, 0, 1, vcc_lo
	s_delay_alu instid0(VALU_DEP_1)
	v_lshrrev_b64 v[0:1], v0, v[54:55]
; %bb.17718:                            ;   in Loop: Header=BB6_16763 Depth=2
	s_and_not1_saveexec_b32 s10, s10
; %bb.17719:                            ;   in Loop: Header=BB6_16763 Depth=2
	v_mov_b64_e32 v[0:1], v[54:55]
	v_bfe_u32 v2, v54, 23, 1
; %bb.17720:                            ;   in Loop: Header=BB6_16763 Depth=2
	s_or_b32 exec_lo, exec_lo, s10
	s_delay_alu instid0(VALU_DEP_2) | instskip(NEXT) | instid1(VALU_DEP_2)
	v_lshrrev_b64 v[0:1], 21, v[0:1]
	v_cmp_gt_i32_e32 vcc_lo, 32, v2
	v_min_i32_e32 v3, 31, v2
	v_cmp_eq_u32_e64 s10, 0, v2
	s_delay_alu instid0(VALU_DEP_2) | instskip(SKIP_1) | instid1(VALU_DEP_2)
	v_dual_cndmask_b32 v1, 0, v1, vcc_lo :: v_dual_lshlrev_b32 v3, 2, v3
	v_cndmask_b32_e32 v0, 3, v0, vcc_lo
	v_and_b32_e32 v3, 0xfc, v3
	s_delay_alu instid0(VALU_DEP_2) | instskip(NEXT) | instid1(VALU_DEP_2)
	v_cmp_eq_u64_e32 vcc_lo, 0, v[0:1]
	v_and_or_b32 v0, v0, 3, v3
	s_and_b32 s10, s10, vcc_lo
	s_delay_alu instid0(VALU_DEP_1) | instid1(SALU_CYCLE_1)
	v_cndmask_b32_e64 v0, v0, 0, s10
	s_delay_alu instid0(VALU_DEP_1)
	v_or_b32_e32 v44, v0, v5
.LBB6_17721:                            ;   in Loop: Header=BB6_16763 Depth=2
	s_or_b32 exec_lo, exec_lo, s40
                                        ; implicit-def: $vgpr5
.LBB6_17722:                            ;   in Loop: Header=BB6_16763 Depth=2
	s_and_not1_saveexec_b32 s10, s29
; %bb.17723:                            ;   in Loop: Header=BB6_16763 Depth=2
	v_or_b32_e32 v44, 0x7b, v5
; %bb.17724:                            ;   in Loop: Header=BB6_16763 Depth=2
	s_or_b32 exec_lo, exec_lo, s10
                                        ; implicit-def: $vgpr0
                                        ; implicit-def: $vgpr1
.LBB6_17725:                            ;   in Loop: Header=BB6_16763 Depth=2
	s_and_not1_saveexec_b32 s10, s28
	s_cbranch_execz .LBB6_17731
; %bb.17726:                            ;   in Loop: Header=BB6_16763 Depth=2
	s_mov_b32 s28, exec_lo
                                        ; implicit-def: $vgpr44
	v_cmpx_ne_u64_e32 0, v[54:55]
	s_xor_b32 s28, exec_lo, s28
; %bb.17727:                            ;   in Loop: Header=BB6_16763 Depth=2
	v_or_b32_e32 v44, 0x7f, v1
                                        ; implicit-def: $vgpr0
; %bb.17728:                            ;   in Loop: Header=BB6_16763 Depth=2
	s_and_not1_saveexec_b32 s28, s28
; %bb.17729:                            ;   in Loop: Header=BB6_16763 Depth=2
	v_cmp_lt_i32_e32 vcc_lo, -1, v0
	v_cndmask_b32_e32 v44, 0xfc, v30, vcc_lo
; %bb.17730:                            ;   in Loop: Header=BB6_16763 Depth=2
	s_or_b32 exec_lo, exec_lo, s28
.LBB6_17731:                            ;   in Loop: Header=BB6_16763 Depth=2
	s_delay_alu instid0(SALU_CYCLE_1) | instskip(SKIP_3) | instid1(VALU_DEP_1)
	s_or_b32 exec_lo, exec_lo, s10
	global_load_b128 v[10:13], v[14:15], off offset:1024 th:TH_LOAD_NT
	s_wait_loadcnt 0x0
	v_and_b32_e32 v0, 0xff, v10
	v_cmp_ne_u16_e32 vcc_lo, 0, v0
	v_mov_b32_e32 v0, 0
	s_wait_xcnt 0x0
	s_and_saveexec_b32 s10, vcc_lo
	s_cbranch_execz .LBB6_17741
; %bb.17732:                            ;   in Loop: Header=BB6_16763 Depth=2
	v_bfe_i32 v2, v10, 0, 8
	v_bfrev_b32_e32 v0, 1
	s_mov_b32 s28, exec_lo
	s_delay_alu instid0(VALU_DEP_2)
	v_cmpx_ne_u16_e32 0xff80, v2
	s_cbranch_execz .LBB6_17740
; %bb.17733:                            ;   in Loop: Header=BB6_16763 Depth=2
	v_and_b32_e32 v0, 0x7c, v10
	v_and_b32_e32 v1, 3, v10
	s_delay_alu instid0(VALU_DEP_2) | instskip(SKIP_1) | instid1(SALU_CYCLE_1)
	v_cmp_ne_u32_e32 vcc_lo, 0x7c, v0
                                        ; implicit-def: $vgpr0
	s_and_saveexec_b32 s29, vcc_lo
	s_xor_b32 s29, exec_lo, s29
	s_cbranch_execz .LBB6_17737
; %bb.17734:                            ;   in Loop: Header=BB6_16763 Depth=2
	v_bfe_u32 v0, v10, 2, 5
	s_mov_b32 s40, exec_lo
	s_delay_alu instid0(VALU_DEP_1)
	v_cmpx_eq_u32_e32 0, v0
; %bb.17735:                            ;   in Loop: Header=BB6_16763 Depth=2
	v_clz_i32_u32_e32 v0, v1
	s_delay_alu instid0(VALU_DEP_1) | instskip(NEXT) | instid1(VALU_DEP_1)
	v_min_u32_e32 v0, 32, v0
	v_subrev_nc_u32_e32 v1, 29, v0
	s_delay_alu instid0(VALU_DEP_1) | instskip(NEXT) | instid1(VALU_DEP_1)
	v_lshlrev_b64_e32 v[2:3], v1, v[10:11]
	v_dual_sub_nc_u32 v0, 30, v0 :: v_dual_bitop2_b32 v1, 3, v2 bitop3:0x40
; %bb.17736:                            ;   in Loop: Header=BB6_16763 Depth=2
	s_or_b32 exec_lo, exec_lo, s40
	v_lshlrev_b32_e32 v2, 24, v10
	s_delay_alu instid0(VALU_DEP_1) | instskip(NEXT) | instid1(VALU_DEP_1)
	v_and_b32_e32 v2, 0x80000000, v2
	v_lshl_add_u32 v0, v0, 23, v2
                                        ; implicit-def: $vgpr2
	s_delay_alu instid0(VALU_DEP_1) | instskip(NEXT) | instid1(VALU_DEP_1)
	v_lshl_or_b32 v0, v1, 21, v0
                                        ; implicit-def: $vgpr1
	v_add_nc_u32_e32 v0, 0x38000000, v0
.LBB6_17737:                            ;   in Loop: Header=BB6_16763 Depth=2
	s_and_not1_saveexec_b32 s29, s29
; %bb.17738:                            ;   in Loop: Header=BB6_16763 Depth=2
	v_cmp_lt_i16_e32 vcc_lo, -1, v2
	v_cndmask_b32_e32 v0, 0xff800000, v29, vcc_lo
	v_cmp_eq_u32_e32 vcc_lo, 0, v1
	s_delay_alu instid0(VALU_DEP_2)
	v_cndmask_b32_e32 v0, 0x7f800001, v0, vcc_lo
; %bb.17739:                            ;   in Loop: Header=BB6_16763 Depth=2
	s_or_b32 exec_lo, exec_lo, s29
.LBB6_17740:                            ;   in Loop: Header=BB6_16763 Depth=2
	s_delay_alu instid0(SALU_CYCLE_1)
	s_or_b32 exec_lo, exec_lo, s28
.LBB6_17741:                            ;   in Loop: Header=BB6_16763 Depth=2
	s_delay_alu instid0(SALU_CYCLE_1) | instskip(NEXT) | instid1(VALU_DEP_1)
	s_or_b32 exec_lo, exec_lo, s10
	v_dual_mul_f32 v0, s27, v0 :: v_dual_mov_b32 v3, v55
                                        ; implicit-def: $vgpr45
	s_mov_b32 s10, exec_lo
	s_delay_alu instid0(VALU_DEP_1) | instskip(SKIP_2) | instid1(VALU_DEP_3)
	v_and_b32_e32 v2, 0x7f800000, v0
	v_and_b32_e32 v54, 0x7fffff, v0
	v_lshrrev_b32_e32 v1, 24, v0
	v_cmpx_ne_u64_e32 0x7f800000, v[2:3]
	s_xor_b32 s28, exec_lo, s10
	s_cbranch_execz .LBB6_17755
; %bb.17742:                            ;   in Loop: Header=BB6_16763 Depth=2
	v_and_b32_e32 v2, 0x7fffffff, v0
	v_mov_b32_e32 v3, v55
	v_and_b32_e32 v5, 0x80, v1
                                        ; implicit-def: $vgpr45
	s_mov_b32 s10, exec_lo
	s_delay_alu instid0(VALU_DEP_2)
	v_cmpx_gt_u64_e32 0x47600001, v[2:3]
	s_xor_b32 s29, exec_lo, s10
	s_cbranch_execz .LBB6_17752
; %bb.17743:                            ;   in Loop: Header=BB6_16763 Depth=2
	v_mov_b32_e32 v45, 0
	s_mov_b32 s40, exec_lo
	v_cmpx_ne_u32_e32 0, v0
	s_cbranch_execz .LBB6_17751
; %bb.17744:                            ;   in Loop: Header=BB6_16763 Depth=2
	v_bfe_u32 v6, v0, 23, 8
	v_or_b32_e32 v2, 0x800000, v54
	s_mov_b32 s41, exec_lo
	s_delay_alu instid0(VALU_DEP_2) | instskip(SKIP_1) | instid1(VALU_DEP_2)
	v_dual_mov_b32 v3, v55 :: v_dual_sub_nc_u32 v0, 0x71, v6
	v_cmp_gt_u32_e32 vcc_lo, 0x72, v6
	v_cndmask_b32_e32 v0, 0, v0, vcc_lo
	v_cmp_eq_u32_e32 vcc_lo, 0, v6
	s_delay_alu instid0(VALU_DEP_2) | instskip(NEXT) | instid1(VALU_DEP_1)
	v_cndmask_b32_e64 v7, v0, 0x70, vcc_lo
	v_dual_cndmask_b32 v2, v2, v54, vcc_lo :: v_dual_add_nc_u32 v0, 21, v7
	v_add_nc_u32_e32 v8, 20, v7
	s_delay_alu instid0(VALU_DEP_2) | instskip(NEXT) | instid1(VALU_DEP_2)
	v_lshlrev_b64_e64 v[0:1], v0, -1
	v_lshlrev_b64_e64 v[8:9], v8, 1
	s_delay_alu instid0(VALU_DEP_2) | instskip(NEXT) | instid1(VALU_DEP_3)
	v_bfi_b32 v17, v1, 0, 0
	v_bfi_b32 v16, v0, 0, v2
	v_lshrrev_b64 v[0:1], v7, v[2:3]
	s_delay_alu instid0(VALU_DEP_1) | instskip(NEXT) | instid1(VALU_DEP_3)
	v_mov_b64_e32 v[2:3], v[0:1]
	v_cmpx_eq_u64_e64 v[16:17], v[8:9]
; %bb.17745:                            ;   in Loop: Header=BB6_16763 Depth=2
	v_bfe_u32 v2, v0, 21, 1
	v_mov_b32_e32 v3, v55
	s_delay_alu instid0(VALU_DEP_1) | instskip(NEXT) | instid1(VALU_DEP_1)
	v_add_nc_u64_e32 v[2:3], v[0:1], v[2:3]
	v_add_nc_u64_e32 v[2:3], -1, v[2:3]
; %bb.17746:                            ;   in Loop: Header=BB6_16763 Depth=2
	s_or_b32 exec_lo, exec_lo, s41
	v_add_nc_u32_e32 v1, 0xffffff81, v6
	v_lshrrev_b32_e32 v3, 23, v0
	s_mov_b32 s10, exec_lo
	s_delay_alu instid0(VALU_DEP_2) | instskip(NEXT) | instid1(VALU_DEP_1)
	v_cndmask_b32_e64 v1, v1, 0xffffff82, vcc_lo
	v_add3_u32 v3, v7, v1, v3
	v_and_b32_e32 v1, 0x1fffff, v2
                                        ; implicit-def: $vgpr2
	s_delay_alu instid0(VALU_DEP_1) | instskip(NEXT) | instid1(VALU_DEP_1)
	v_dual_add_nc_u32 v6, 14, v3 :: v_dual_add_nc_u32 v54, v1, v0
                                        ; implicit-def: $vgpr0_vgpr1
	v_cmpx_ne_u32_e32 0, v6
	s_xor_b32 s10, exec_lo, s10
; %bb.17747:                            ;   in Loop: Header=BB6_16763 Depth=2
	s_delay_alu instid0(VALU_DEP_2) | instskip(SKIP_1) | instid1(VALU_DEP_1)
	v_cmp_lt_u64_e32 vcc_lo, 0xffffff, v[54:55]
	v_add_nc_u32_e32 v0, 15, v3
	v_cndmask_b32_e32 v2, v6, v0, vcc_lo
	v_cndmask_b32_e64 v0, 0, 1, vcc_lo
	s_delay_alu instid0(VALU_DEP_1)
	v_lshrrev_b64 v[0:1], v0, v[54:55]
; %bb.17748:                            ;   in Loop: Header=BB6_16763 Depth=2
	s_and_not1_saveexec_b32 s10, s10
; %bb.17749:                            ;   in Loop: Header=BB6_16763 Depth=2
	v_mov_b64_e32 v[0:1], v[54:55]
	v_bfe_u32 v2, v54, 23, 1
; %bb.17750:                            ;   in Loop: Header=BB6_16763 Depth=2
	s_or_b32 exec_lo, exec_lo, s10
	s_delay_alu instid0(VALU_DEP_2) | instskip(NEXT) | instid1(VALU_DEP_2)
	v_lshrrev_b64 v[0:1], 21, v[0:1]
	v_cmp_gt_i32_e32 vcc_lo, 32, v2
	v_min_i32_e32 v3, 31, v2
	v_cmp_eq_u32_e64 s10, 0, v2
	s_delay_alu instid0(VALU_DEP_2) | instskip(SKIP_1) | instid1(VALU_DEP_2)
	v_dual_cndmask_b32 v1, 0, v1, vcc_lo :: v_dual_lshlrev_b32 v3, 2, v3
	v_cndmask_b32_e32 v0, 3, v0, vcc_lo
	v_and_b32_e32 v3, 0xfc, v3
	s_delay_alu instid0(VALU_DEP_2) | instskip(NEXT) | instid1(VALU_DEP_2)
	v_cmp_eq_u64_e32 vcc_lo, 0, v[0:1]
	v_and_or_b32 v0, v0, 3, v3
	s_and_b32 s10, s10, vcc_lo
	s_delay_alu instid0(VALU_DEP_1) | instid1(SALU_CYCLE_1)
	v_cndmask_b32_e64 v0, v0, 0, s10
	s_delay_alu instid0(VALU_DEP_1)
	v_or_b32_e32 v45, v0, v5
.LBB6_17751:                            ;   in Loop: Header=BB6_16763 Depth=2
	s_or_b32 exec_lo, exec_lo, s40
                                        ; implicit-def: $vgpr5
.LBB6_17752:                            ;   in Loop: Header=BB6_16763 Depth=2
	s_and_not1_saveexec_b32 s10, s29
; %bb.17753:                            ;   in Loop: Header=BB6_16763 Depth=2
	v_or_b32_e32 v45, 0x7b, v5
; %bb.17754:                            ;   in Loop: Header=BB6_16763 Depth=2
	s_or_b32 exec_lo, exec_lo, s10
                                        ; implicit-def: $vgpr0
                                        ; implicit-def: $vgpr1
.LBB6_17755:                            ;   in Loop: Header=BB6_16763 Depth=2
	s_and_not1_saveexec_b32 s10, s28
	s_cbranch_execz .LBB6_17761
; %bb.17756:                            ;   in Loop: Header=BB6_16763 Depth=2
	s_mov_b32 s28, exec_lo
                                        ; implicit-def: $vgpr45
	v_cmpx_ne_u64_e32 0, v[54:55]
	s_xor_b32 s28, exec_lo, s28
; %bb.17757:                            ;   in Loop: Header=BB6_16763 Depth=2
	v_or_b32_e32 v45, 0x7f, v1
                                        ; implicit-def: $vgpr0
; %bb.17758:                            ;   in Loop: Header=BB6_16763 Depth=2
	s_and_not1_saveexec_b32 s28, s28
; %bb.17759:                            ;   in Loop: Header=BB6_16763 Depth=2
	v_cmp_lt_i32_e32 vcc_lo, -1, v0
	v_cndmask_b32_e32 v45, 0xfc, v30, vcc_lo
; %bb.17760:                            ;   in Loop: Header=BB6_16763 Depth=2
	s_or_b32 exec_lo, exec_lo, s28
.LBB6_17761:                            ;   in Loop: Header=BB6_16763 Depth=2
	s_delay_alu instid0(SALU_CYCLE_1) | instskip(SKIP_3) | instid1(VALU_DEP_2)
	s_or_b32 exec_lo, exec_lo, s10
	v_lshrrev_b16 v0, 8, v10
	v_mov_b32_e32 v2, 0
	s_mov_b32 s10, exec_lo
	v_cmpx_ne_u16_e32 0, v0
	s_cbranch_execz .LBB6_17771
; %bb.17762:                            ;   in Loop: Header=BB6_16763 Depth=2
	v_bfrev_b32_e32 v2, 1
	s_mov_b32 s28, exec_lo
	v_cmpx_ne_u16_e32 0x80, v0
	s_cbranch_execz .LBB6_17770
; %bb.17763:                            ;   in Loop: Header=BB6_16763 Depth=2
	v_and_b32_e32 v3, 0xffff, v0
	s_delay_alu instid0(VALU_DEP_1) | instskip(SKIP_1) | instid1(VALU_DEP_2)
	v_and_b32_e32 v2, 0x7c, v3
	v_and_b32_e32 v1, 3, v3
	v_cmp_ne_u32_e32 vcc_lo, 0x7c, v2
                                        ; implicit-def: $vgpr2
	s_and_saveexec_b32 s29, vcc_lo
	s_delay_alu instid0(SALU_CYCLE_1)
	s_xor_b32 s29, exec_lo, s29
	s_cbranch_execz .LBB6_17767
; %bb.17764:                            ;   in Loop: Header=BB6_16763 Depth=2
	v_bfe_u32 v2, v3, 2, 5
	s_mov_b32 s40, exec_lo
	s_delay_alu instid0(VALU_DEP_1)
	v_cmpx_eq_u32_e32 0, v2
	s_cbranch_execz .LBB6_17766
; %bb.17765:                            ;   in Loop: Header=BB6_16763 Depth=2
	v_clz_i32_u32_e32 v1, v1
	s_delay_alu instid0(VALU_DEP_1) | instskip(SKIP_1) | instid1(VALU_DEP_2)
	v_min_u32_e32 v2, 32, v1
	v_mov_b32_e32 v1, v55
	v_subrev_nc_u32_e32 v3, 29, v2
	v_sub_nc_u32_e32 v2, 30, v2
	s_delay_alu instid0(VALU_DEP_2) | instskip(NEXT) | instid1(VALU_DEP_1)
	v_lshlrev_b64_e32 v[0:1], v3, v[0:1]
	v_and_b32_e32 v1, 3, v0
.LBB6_17766:                            ;   in Loop: Header=BB6_16763 Depth=2
	s_or_b32 exec_lo, exec_lo, s40
	v_lshlrev_b32_e32 v0, 16, v10
	s_delay_alu instid0(VALU_DEP_1) | instskip(NEXT) | instid1(VALU_DEP_1)
	v_and_b32_e32 v0, 0x80000000, v0
	v_lshl_add_u32 v0, v2, 23, v0
	s_delay_alu instid0(VALU_DEP_1) | instskip(NEXT) | instid1(VALU_DEP_1)
	v_lshl_or_b32 v0, v1, 21, v0
                                        ; implicit-def: $vgpr1
	v_add_nc_u32_e32 v2, 0x38000000, v0
.LBB6_17767:                            ;   in Loop: Header=BB6_16763 Depth=2
	s_and_not1_saveexec_b32 s29, s29
; %bb.17768:                            ;   in Loop: Header=BB6_16763 Depth=2
	v_cmp_lt_i16_e32 vcc_lo, -1, v10
	v_cndmask_b32_e32 v0, 0xff800000, v29, vcc_lo
	v_cmp_eq_u32_e32 vcc_lo, 0, v1
	s_delay_alu instid0(VALU_DEP_2)
	v_cndmask_b32_e32 v2, 0x7f800001, v0, vcc_lo
; %bb.17769:                            ;   in Loop: Header=BB6_16763 Depth=2
	s_or_b32 exec_lo, exec_lo, s29
.LBB6_17770:                            ;   in Loop: Header=BB6_16763 Depth=2
	s_delay_alu instid0(SALU_CYCLE_1)
	s_or_b32 exec_lo, exec_lo, s28
.LBB6_17771:                            ;   in Loop: Header=BB6_16763 Depth=2
	s_delay_alu instid0(SALU_CYCLE_1) | instskip(NEXT) | instid1(VALU_DEP_1)
	s_or_b32 exec_lo, exec_lo, s10
	v_dual_mul_f32 v0, s27, v2 :: v_dual_mov_b32 v3, v55
                                        ; implicit-def: $vgpr46
	s_mov_b32 s10, exec_lo
	s_delay_alu instid0(VALU_DEP_1) | instskip(SKIP_2) | instid1(VALU_DEP_3)
	v_and_b32_e32 v2, 0x7f800000, v0
	v_and_b32_e32 v54, 0x7fffff, v0
	v_lshrrev_b32_e32 v1, 24, v0
	v_cmpx_ne_u64_e32 0x7f800000, v[2:3]
	s_xor_b32 s28, exec_lo, s10
	s_cbranch_execz .LBB6_17785
; %bb.17772:                            ;   in Loop: Header=BB6_16763 Depth=2
	v_and_b32_e32 v2, 0x7fffffff, v0
	v_mov_b32_e32 v3, v55
	v_and_b32_e32 v5, 0x80, v1
                                        ; implicit-def: $vgpr46
	s_mov_b32 s10, exec_lo
	s_delay_alu instid0(VALU_DEP_2)
	v_cmpx_gt_u64_e32 0x47600001, v[2:3]
	s_xor_b32 s29, exec_lo, s10
	s_cbranch_execz .LBB6_17782
; %bb.17773:                            ;   in Loop: Header=BB6_16763 Depth=2
	v_mov_b32_e32 v46, 0
	s_mov_b32 s40, exec_lo
	v_cmpx_ne_u32_e32 0, v0
	s_cbranch_execz .LBB6_17781
; %bb.17774:                            ;   in Loop: Header=BB6_16763 Depth=2
	v_bfe_u32 v6, v0, 23, 8
	v_or_b32_e32 v2, 0x800000, v54
	s_mov_b32 s41, exec_lo
	s_delay_alu instid0(VALU_DEP_2) | instskip(SKIP_1) | instid1(VALU_DEP_2)
	v_dual_mov_b32 v3, v55 :: v_dual_sub_nc_u32 v0, 0x71, v6
	v_cmp_gt_u32_e32 vcc_lo, 0x72, v6
	v_cndmask_b32_e32 v0, 0, v0, vcc_lo
	v_cmp_eq_u32_e32 vcc_lo, 0, v6
	s_delay_alu instid0(VALU_DEP_2) | instskip(NEXT) | instid1(VALU_DEP_1)
	v_cndmask_b32_e64 v7, v0, 0x70, vcc_lo
	v_dual_cndmask_b32 v2, v2, v54, vcc_lo :: v_dual_add_nc_u32 v0, 21, v7
	v_add_nc_u32_e32 v8, 20, v7
	s_delay_alu instid0(VALU_DEP_2) | instskip(NEXT) | instid1(VALU_DEP_2)
	v_lshlrev_b64_e64 v[0:1], v0, -1
	v_lshlrev_b64_e64 v[8:9], v8, 1
	s_delay_alu instid0(VALU_DEP_2) | instskip(NEXT) | instid1(VALU_DEP_3)
	v_bfi_b32 v17, v1, 0, 0
	v_bfi_b32 v16, v0, 0, v2
	v_lshrrev_b64 v[0:1], v7, v[2:3]
	s_delay_alu instid0(VALU_DEP_1) | instskip(NEXT) | instid1(VALU_DEP_3)
	v_mov_b64_e32 v[2:3], v[0:1]
	v_cmpx_eq_u64_e64 v[16:17], v[8:9]
; %bb.17775:                            ;   in Loop: Header=BB6_16763 Depth=2
	v_bfe_u32 v2, v0, 21, 1
	v_mov_b32_e32 v3, v55
	s_delay_alu instid0(VALU_DEP_1) | instskip(NEXT) | instid1(VALU_DEP_1)
	v_add_nc_u64_e32 v[2:3], v[0:1], v[2:3]
	v_add_nc_u64_e32 v[2:3], -1, v[2:3]
; %bb.17776:                            ;   in Loop: Header=BB6_16763 Depth=2
	s_or_b32 exec_lo, exec_lo, s41
	v_add_nc_u32_e32 v1, 0xffffff81, v6
	v_lshrrev_b32_e32 v3, 23, v0
	s_mov_b32 s10, exec_lo
	s_delay_alu instid0(VALU_DEP_2) | instskip(NEXT) | instid1(VALU_DEP_1)
	v_cndmask_b32_e64 v1, v1, 0xffffff82, vcc_lo
	v_add3_u32 v3, v7, v1, v3
	v_and_b32_e32 v1, 0x1fffff, v2
                                        ; implicit-def: $vgpr2
	s_delay_alu instid0(VALU_DEP_1) | instskip(NEXT) | instid1(VALU_DEP_1)
	v_dual_add_nc_u32 v6, 14, v3 :: v_dual_add_nc_u32 v54, v1, v0
                                        ; implicit-def: $vgpr0_vgpr1
	v_cmpx_ne_u32_e32 0, v6
	s_xor_b32 s10, exec_lo, s10
; %bb.17777:                            ;   in Loop: Header=BB6_16763 Depth=2
	s_delay_alu instid0(VALU_DEP_2) | instskip(SKIP_1) | instid1(VALU_DEP_1)
	v_cmp_lt_u64_e32 vcc_lo, 0xffffff, v[54:55]
	v_add_nc_u32_e32 v0, 15, v3
	v_cndmask_b32_e32 v2, v6, v0, vcc_lo
	v_cndmask_b32_e64 v0, 0, 1, vcc_lo
	s_delay_alu instid0(VALU_DEP_1)
	v_lshrrev_b64 v[0:1], v0, v[54:55]
; %bb.17778:                            ;   in Loop: Header=BB6_16763 Depth=2
	s_and_not1_saveexec_b32 s10, s10
; %bb.17779:                            ;   in Loop: Header=BB6_16763 Depth=2
	v_mov_b64_e32 v[0:1], v[54:55]
	v_bfe_u32 v2, v54, 23, 1
; %bb.17780:                            ;   in Loop: Header=BB6_16763 Depth=2
	s_or_b32 exec_lo, exec_lo, s10
	s_delay_alu instid0(VALU_DEP_2) | instskip(NEXT) | instid1(VALU_DEP_2)
	v_lshrrev_b64 v[0:1], 21, v[0:1]
	v_cmp_gt_i32_e32 vcc_lo, 32, v2
	v_min_i32_e32 v3, 31, v2
	v_cmp_eq_u32_e64 s10, 0, v2
	s_delay_alu instid0(VALU_DEP_2) | instskip(SKIP_1) | instid1(VALU_DEP_2)
	v_dual_cndmask_b32 v1, 0, v1, vcc_lo :: v_dual_lshlrev_b32 v3, 2, v3
	v_cndmask_b32_e32 v0, 3, v0, vcc_lo
	v_and_b32_e32 v3, 0xfc, v3
	s_delay_alu instid0(VALU_DEP_2) | instskip(NEXT) | instid1(VALU_DEP_2)
	v_cmp_eq_u64_e32 vcc_lo, 0, v[0:1]
	v_and_or_b32 v0, v0, 3, v3
	s_and_b32 s10, s10, vcc_lo
	s_delay_alu instid0(VALU_DEP_1) | instid1(SALU_CYCLE_1)
	v_cndmask_b32_e64 v0, v0, 0, s10
	s_delay_alu instid0(VALU_DEP_1)
	v_or_b32_e32 v46, v0, v5
.LBB6_17781:                            ;   in Loop: Header=BB6_16763 Depth=2
	s_or_b32 exec_lo, exec_lo, s40
                                        ; implicit-def: $vgpr5
.LBB6_17782:                            ;   in Loop: Header=BB6_16763 Depth=2
	s_and_not1_saveexec_b32 s10, s29
; %bb.17783:                            ;   in Loop: Header=BB6_16763 Depth=2
	v_or_b32_e32 v46, 0x7b, v5
; %bb.17784:                            ;   in Loop: Header=BB6_16763 Depth=2
	s_or_b32 exec_lo, exec_lo, s10
                                        ; implicit-def: $vgpr0
                                        ; implicit-def: $vgpr1
.LBB6_17785:                            ;   in Loop: Header=BB6_16763 Depth=2
	s_and_not1_saveexec_b32 s10, s28
	s_cbranch_execz .LBB6_17791
; %bb.17786:                            ;   in Loop: Header=BB6_16763 Depth=2
	s_mov_b32 s28, exec_lo
                                        ; implicit-def: $vgpr46
	v_cmpx_ne_u64_e32 0, v[54:55]
	s_xor_b32 s28, exec_lo, s28
; %bb.17787:                            ;   in Loop: Header=BB6_16763 Depth=2
	v_or_b32_e32 v46, 0x7f, v1
                                        ; implicit-def: $vgpr0
; %bb.17788:                            ;   in Loop: Header=BB6_16763 Depth=2
	s_and_not1_saveexec_b32 s28, s28
; %bb.17789:                            ;   in Loop: Header=BB6_16763 Depth=2
	v_cmp_lt_i32_e32 vcc_lo, -1, v0
	v_cndmask_b32_e32 v46, 0xfc, v30, vcc_lo
; %bb.17790:                            ;   in Loop: Header=BB6_16763 Depth=2
	s_or_b32 exec_lo, exec_lo, s28
.LBB6_17791:                            ;   in Loop: Header=BB6_16763 Depth=2
	s_delay_alu instid0(SALU_CYCLE_1) | instskip(SKIP_2) | instid1(VALU_DEP_1)
	s_or_b32 exec_lo, exec_lo, s10
	v_dual_lshrrev_b32 v0, 16, v10 :: v_dual_mov_b32 v2, 0
	s_mov_b32 s10, exec_lo
	v_and_b32_e32 v1, 0xff, v0
	s_delay_alu instid0(VALU_DEP_1)
	v_cmpx_ne_u16_e32 0, v1
	s_cbranch_execz .LBB6_17801
; %bb.17792:                            ;   in Loop: Header=BB6_16763 Depth=2
	v_bfrev_b32_e32 v2, 1
	s_mov_b32 s28, exec_lo
	v_cmpx_ne_u16_e32 0x80, v1
	s_cbranch_execz .LBB6_17800
; %bb.17793:                            ;   in Loop: Header=BB6_16763 Depth=2
	v_and_b32_e32 v2, 0x7c0000, v10
	v_bfe_u32 v1, v10, 16, 2
	s_delay_alu instid0(VALU_DEP_2) | instskip(SKIP_1) | instid1(SALU_CYCLE_1)
	v_cmp_ne_u32_e32 vcc_lo, 0x7c0000, v2
                                        ; implicit-def: $vgpr2
	s_and_saveexec_b32 s29, vcc_lo
	s_xor_b32 s29, exec_lo, s29
	s_cbranch_execz .LBB6_17797
; %bb.17794:                            ;   in Loop: Header=BB6_16763 Depth=2
	v_bfe_u32 v2, v10, 18, 5
	s_mov_b32 s40, exec_lo
	s_delay_alu instid0(VALU_DEP_1)
	v_cmpx_eq_u32_e32 0, v2
; %bb.17795:                            ;   in Loop: Header=BB6_16763 Depth=2
	v_clz_i32_u32_e32 v1, v1
	s_delay_alu instid0(VALU_DEP_1) | instskip(NEXT) | instid1(VALU_DEP_1)
	v_min_u32_e32 v1, 32, v1
	v_subrev_nc_u32_e32 v2, 29, v1
	s_delay_alu instid0(VALU_DEP_1) | instskip(NEXT) | instid1(VALU_DEP_1)
	v_lshlrev_b64_e32 v[6:7], v2, v[0:1]
	v_dual_sub_nc_u32 v2, 30, v1 :: v_dual_bitop2_b32 v1, 3, v6 bitop3:0x40
; %bb.17796:                            ;   in Loop: Header=BB6_16763 Depth=2
	s_or_b32 exec_lo, exec_lo, s40
	v_lshlrev_b32_e32 v0, 24, v0
	s_delay_alu instid0(VALU_DEP_1) | instskip(NEXT) | instid1(VALU_DEP_1)
	v_and_b32_e32 v0, 0x80000000, v0
	v_lshl_add_u32 v0, v2, 23, v0
	s_delay_alu instid0(VALU_DEP_1) | instskip(NEXT) | instid1(VALU_DEP_1)
	v_lshl_or_b32 v0, v1, 21, v0
                                        ; implicit-def: $vgpr1
	v_add_nc_u32_e32 v2, 0x38000000, v0
                                        ; implicit-def: $vgpr0
.LBB6_17797:                            ;   in Loop: Header=BB6_16763 Depth=2
	s_and_not1_saveexec_b32 s29, s29
; %bb.17798:                            ;   in Loop: Header=BB6_16763 Depth=2
	v_bfe_i32 v0, v0, 0, 8
	s_delay_alu instid0(VALU_DEP_1) | instskip(SKIP_2) | instid1(VALU_DEP_2)
	v_cmp_lt_i16_e32 vcc_lo, -1, v0
	v_cndmask_b32_e32 v0, 0xff800000, v29, vcc_lo
	v_cmp_eq_u32_e32 vcc_lo, 0, v1
	v_cndmask_b32_e32 v2, 0x7f800001, v0, vcc_lo
; %bb.17799:                            ;   in Loop: Header=BB6_16763 Depth=2
	s_or_b32 exec_lo, exec_lo, s29
.LBB6_17800:                            ;   in Loop: Header=BB6_16763 Depth=2
	s_delay_alu instid0(SALU_CYCLE_1)
	s_or_b32 exec_lo, exec_lo, s28
.LBB6_17801:                            ;   in Loop: Header=BB6_16763 Depth=2
	s_delay_alu instid0(SALU_CYCLE_1) | instskip(NEXT) | instid1(VALU_DEP_1)
	s_or_b32 exec_lo, exec_lo, s10
	v_dual_mul_f32 v0, s27, v2 :: v_dual_mov_b32 v3, v55
                                        ; implicit-def: $vgpr47
	s_mov_b32 s10, exec_lo
	s_delay_alu instid0(VALU_DEP_1) | instskip(SKIP_2) | instid1(VALU_DEP_3)
	v_and_b32_e32 v2, 0x7f800000, v0
	v_and_b32_e32 v54, 0x7fffff, v0
	v_lshrrev_b32_e32 v1, 24, v0
	v_cmpx_ne_u64_e32 0x7f800000, v[2:3]
	s_xor_b32 s28, exec_lo, s10
	s_cbranch_execz .LBB6_17815
; %bb.17802:                            ;   in Loop: Header=BB6_16763 Depth=2
	v_and_b32_e32 v2, 0x7fffffff, v0
	v_mov_b32_e32 v3, v55
	v_and_b32_e32 v5, 0x80, v1
                                        ; implicit-def: $vgpr47
	s_mov_b32 s10, exec_lo
	s_delay_alu instid0(VALU_DEP_2)
	v_cmpx_gt_u64_e32 0x47600001, v[2:3]
	s_xor_b32 s29, exec_lo, s10
	s_cbranch_execz .LBB6_17812
; %bb.17803:                            ;   in Loop: Header=BB6_16763 Depth=2
	v_mov_b32_e32 v47, 0
	s_mov_b32 s40, exec_lo
	v_cmpx_ne_u32_e32 0, v0
	s_cbranch_execz .LBB6_17811
; %bb.17804:                            ;   in Loop: Header=BB6_16763 Depth=2
	v_bfe_u32 v6, v0, 23, 8
	v_or_b32_e32 v2, 0x800000, v54
	s_mov_b32 s41, exec_lo
	s_delay_alu instid0(VALU_DEP_2) | instskip(SKIP_1) | instid1(VALU_DEP_2)
	v_dual_mov_b32 v3, v55 :: v_dual_sub_nc_u32 v0, 0x71, v6
	v_cmp_gt_u32_e32 vcc_lo, 0x72, v6
	v_cndmask_b32_e32 v0, 0, v0, vcc_lo
	v_cmp_eq_u32_e32 vcc_lo, 0, v6
	s_delay_alu instid0(VALU_DEP_2) | instskip(NEXT) | instid1(VALU_DEP_1)
	v_cndmask_b32_e64 v7, v0, 0x70, vcc_lo
	v_dual_cndmask_b32 v2, v2, v54, vcc_lo :: v_dual_add_nc_u32 v0, 21, v7
	v_add_nc_u32_e32 v8, 20, v7
	s_delay_alu instid0(VALU_DEP_2) | instskip(NEXT) | instid1(VALU_DEP_2)
	v_lshlrev_b64_e64 v[0:1], v0, -1
	v_lshlrev_b64_e64 v[8:9], v8, 1
	s_delay_alu instid0(VALU_DEP_2) | instskip(NEXT) | instid1(VALU_DEP_3)
	v_bfi_b32 v17, v1, 0, 0
	v_bfi_b32 v16, v0, 0, v2
	v_lshrrev_b64 v[0:1], v7, v[2:3]
	s_delay_alu instid0(VALU_DEP_1) | instskip(NEXT) | instid1(VALU_DEP_3)
	v_mov_b64_e32 v[2:3], v[0:1]
	v_cmpx_eq_u64_e64 v[16:17], v[8:9]
; %bb.17805:                            ;   in Loop: Header=BB6_16763 Depth=2
	v_bfe_u32 v2, v0, 21, 1
	v_mov_b32_e32 v3, v55
	s_delay_alu instid0(VALU_DEP_1) | instskip(NEXT) | instid1(VALU_DEP_1)
	v_add_nc_u64_e32 v[2:3], v[0:1], v[2:3]
	v_add_nc_u64_e32 v[2:3], -1, v[2:3]
; %bb.17806:                            ;   in Loop: Header=BB6_16763 Depth=2
	s_or_b32 exec_lo, exec_lo, s41
	v_add_nc_u32_e32 v1, 0xffffff81, v6
	v_lshrrev_b32_e32 v3, 23, v0
	s_mov_b32 s10, exec_lo
	s_delay_alu instid0(VALU_DEP_2) | instskip(NEXT) | instid1(VALU_DEP_1)
	v_cndmask_b32_e64 v1, v1, 0xffffff82, vcc_lo
	v_add3_u32 v3, v7, v1, v3
	v_and_b32_e32 v1, 0x1fffff, v2
                                        ; implicit-def: $vgpr2
	s_delay_alu instid0(VALU_DEP_1) | instskip(NEXT) | instid1(VALU_DEP_1)
	v_dual_add_nc_u32 v6, 14, v3 :: v_dual_add_nc_u32 v54, v1, v0
                                        ; implicit-def: $vgpr0_vgpr1
	v_cmpx_ne_u32_e32 0, v6
	s_xor_b32 s10, exec_lo, s10
; %bb.17807:                            ;   in Loop: Header=BB6_16763 Depth=2
	s_delay_alu instid0(VALU_DEP_2) | instskip(SKIP_1) | instid1(VALU_DEP_1)
	v_cmp_lt_u64_e32 vcc_lo, 0xffffff, v[54:55]
	v_add_nc_u32_e32 v0, 15, v3
	v_cndmask_b32_e32 v2, v6, v0, vcc_lo
	v_cndmask_b32_e64 v0, 0, 1, vcc_lo
	s_delay_alu instid0(VALU_DEP_1)
	v_lshrrev_b64 v[0:1], v0, v[54:55]
; %bb.17808:                            ;   in Loop: Header=BB6_16763 Depth=2
	s_and_not1_saveexec_b32 s10, s10
; %bb.17809:                            ;   in Loop: Header=BB6_16763 Depth=2
	v_mov_b64_e32 v[0:1], v[54:55]
	v_bfe_u32 v2, v54, 23, 1
; %bb.17810:                            ;   in Loop: Header=BB6_16763 Depth=2
	s_or_b32 exec_lo, exec_lo, s10
	s_delay_alu instid0(VALU_DEP_2) | instskip(NEXT) | instid1(VALU_DEP_2)
	v_lshrrev_b64 v[0:1], 21, v[0:1]
	v_cmp_gt_i32_e32 vcc_lo, 32, v2
	v_min_i32_e32 v3, 31, v2
	v_cmp_eq_u32_e64 s10, 0, v2
	s_delay_alu instid0(VALU_DEP_2) | instskip(SKIP_1) | instid1(VALU_DEP_2)
	v_dual_cndmask_b32 v1, 0, v1, vcc_lo :: v_dual_lshlrev_b32 v3, 2, v3
	v_cndmask_b32_e32 v0, 3, v0, vcc_lo
	v_and_b32_e32 v3, 0xfc, v3
	s_delay_alu instid0(VALU_DEP_2) | instskip(NEXT) | instid1(VALU_DEP_2)
	v_cmp_eq_u64_e32 vcc_lo, 0, v[0:1]
	v_and_or_b32 v0, v0, 3, v3
	s_and_b32 s10, s10, vcc_lo
	s_delay_alu instid0(VALU_DEP_1) | instid1(SALU_CYCLE_1)
	v_cndmask_b32_e64 v0, v0, 0, s10
	s_delay_alu instid0(VALU_DEP_1)
	v_or_b32_e32 v47, v0, v5
.LBB6_17811:                            ;   in Loop: Header=BB6_16763 Depth=2
	s_or_b32 exec_lo, exec_lo, s40
                                        ; implicit-def: $vgpr5
.LBB6_17812:                            ;   in Loop: Header=BB6_16763 Depth=2
	s_and_not1_saveexec_b32 s10, s29
; %bb.17813:                            ;   in Loop: Header=BB6_16763 Depth=2
	v_or_b32_e32 v47, 0x7b, v5
; %bb.17814:                            ;   in Loop: Header=BB6_16763 Depth=2
	s_or_b32 exec_lo, exec_lo, s10
                                        ; implicit-def: $vgpr0
                                        ; implicit-def: $vgpr1
.LBB6_17815:                            ;   in Loop: Header=BB6_16763 Depth=2
	s_and_not1_saveexec_b32 s10, s28
	s_cbranch_execz .LBB6_17821
; %bb.17816:                            ;   in Loop: Header=BB6_16763 Depth=2
	s_mov_b32 s28, exec_lo
                                        ; implicit-def: $vgpr47
	v_cmpx_ne_u64_e32 0, v[54:55]
	s_xor_b32 s28, exec_lo, s28
; %bb.17817:                            ;   in Loop: Header=BB6_16763 Depth=2
	v_or_b32_e32 v47, 0x7f, v1
                                        ; implicit-def: $vgpr0
; %bb.17818:                            ;   in Loop: Header=BB6_16763 Depth=2
	s_and_not1_saveexec_b32 s28, s28
; %bb.17819:                            ;   in Loop: Header=BB6_16763 Depth=2
	v_cmp_lt_i32_e32 vcc_lo, -1, v0
	v_cndmask_b32_e32 v47, 0xfc, v30, vcc_lo
; %bb.17820:                            ;   in Loop: Header=BB6_16763 Depth=2
	s_or_b32 exec_lo, exec_lo, s28
.LBB6_17821:                            ;   in Loop: Header=BB6_16763 Depth=2
	s_delay_alu instid0(SALU_CYCLE_1)
	s_or_b32 exec_lo, exec_lo, s10
	v_mov_b32_e32 v1, 0
	s_mov_b32 s10, exec_lo
	v_cmpx_lt_u32_e32 0xffffff, v10
	s_cbranch_execz .LBB6_17831
; %bb.17822:                            ;   in Loop: Header=BB6_16763 Depth=2
	v_lshrrev_b32_e32 v0, 24, v10
	v_bfrev_b32_e32 v1, 1
	s_mov_b32 s28, exec_lo
	s_delay_alu instid0(VALU_DEP_2)
	v_cmpx_ne_u32_e32 0x80, v0
	s_cbranch_execz .LBB6_17830
; %bb.17823:                            ;   in Loop: Header=BB6_16763 Depth=2
	v_and_b32_e32 v1, 0x7c000000, v10
	v_bfe_u32 v2, v10, 24, 2
	s_delay_alu instid0(VALU_DEP_2) | instskip(SKIP_1) | instid1(SALU_CYCLE_1)
	v_cmp_ne_u32_e32 vcc_lo, 0x7c000000, v1
                                        ; implicit-def: $vgpr1
	s_and_saveexec_b32 s29, vcc_lo
	s_xor_b32 s29, exec_lo, s29
	s_cbranch_execz .LBB6_17827
; %bb.17824:                            ;   in Loop: Header=BB6_16763 Depth=2
	v_bfe_u32 v1, v10, 26, 5
	s_mov_b32 s40, exec_lo
	s_delay_alu instid0(VALU_DEP_1)
	v_cmpx_eq_u32_e32 0, v1
; %bb.17825:                            ;   in Loop: Header=BB6_16763 Depth=2
	v_clz_i32_u32_e32 v1, v2
	s_delay_alu instid0(VALU_DEP_1) | instskip(NEXT) | instid1(VALU_DEP_1)
	v_min_u32_e32 v2, 32, v1
	v_subrev_nc_u32_e32 v1, 29, v2
	s_delay_alu instid0(VALU_DEP_1) | instskip(NEXT) | instid1(VALU_DEP_1)
	v_lshlrev_b64_e32 v[0:1], v1, v[0:1]
	v_dual_sub_nc_u32 v1, 30, v2 :: v_dual_bitop2_b32 v2, 3, v0 bitop3:0x40
; %bb.17826:                            ;   in Loop: Header=BB6_16763 Depth=2
	s_or_b32 exec_lo, exec_lo, s40
	v_and_b32_e32 v0, 0x80000000, v10
	s_delay_alu instid0(VALU_DEP_1) | instskip(NEXT) | instid1(VALU_DEP_1)
	v_lshl_add_u32 v0, v1, 23, v0
	v_lshl_or_b32 v0, v2, 21, v0
                                        ; implicit-def: $vgpr2
	s_delay_alu instid0(VALU_DEP_1)
	v_add_nc_u32_e32 v1, 0x38000000, v0
.LBB6_17827:                            ;   in Loop: Header=BB6_16763 Depth=2
	s_and_not1_saveexec_b32 s29, s29
; %bb.17828:                            ;   in Loop: Header=BB6_16763 Depth=2
	v_cmp_lt_i32_e32 vcc_lo, -1, v10
	v_cndmask_b32_e32 v0, 0xff800000, v29, vcc_lo
	v_cmp_eq_u32_e32 vcc_lo, 0, v2
	s_delay_alu instid0(VALU_DEP_2)
	v_cndmask_b32_e32 v1, 0x7f800001, v0, vcc_lo
; %bb.17829:                            ;   in Loop: Header=BB6_16763 Depth=2
	s_or_b32 exec_lo, exec_lo, s29
.LBB6_17830:                            ;   in Loop: Header=BB6_16763 Depth=2
	s_delay_alu instid0(SALU_CYCLE_1)
	s_or_b32 exec_lo, exec_lo, s28
.LBB6_17831:                            ;   in Loop: Header=BB6_16763 Depth=2
	s_delay_alu instid0(SALU_CYCLE_1) | instskip(NEXT) | instid1(VALU_DEP_1)
	s_or_b32 exec_lo, exec_lo, s10
	v_dual_mul_f32 v0, s27, v1 :: v_dual_mov_b32 v3, v55
                                        ; implicit-def: $vgpr56
	s_mov_b32 s10, exec_lo
	s_delay_alu instid0(VALU_DEP_1) | instskip(SKIP_2) | instid1(VALU_DEP_3)
	v_and_b32_e32 v2, 0x7f800000, v0
	v_and_b32_e32 v54, 0x7fffff, v0
	v_lshrrev_b32_e32 v1, 24, v0
	v_cmpx_ne_u64_e32 0x7f800000, v[2:3]
	s_xor_b32 s28, exec_lo, s10
	s_cbranch_execz .LBB6_17845
; %bb.17832:                            ;   in Loop: Header=BB6_16763 Depth=2
	v_and_b32_e32 v2, 0x7fffffff, v0
	v_mov_b32_e32 v3, v55
	v_and_b32_e32 v5, 0x80, v1
                                        ; implicit-def: $vgpr56
	s_mov_b32 s10, exec_lo
	s_delay_alu instid0(VALU_DEP_2)
	v_cmpx_gt_u64_e32 0x47600001, v[2:3]
	s_xor_b32 s29, exec_lo, s10
	s_cbranch_execz .LBB6_17842
; %bb.17833:                            ;   in Loop: Header=BB6_16763 Depth=2
	v_mov_b32_e32 v56, 0
	s_mov_b32 s40, exec_lo
	v_cmpx_ne_u32_e32 0, v0
	s_cbranch_execz .LBB6_17841
; %bb.17834:                            ;   in Loop: Header=BB6_16763 Depth=2
	v_bfe_u32 v6, v0, 23, 8
	v_or_b32_e32 v2, 0x800000, v54
	s_mov_b32 s41, exec_lo
	s_delay_alu instid0(VALU_DEP_2) | instskip(SKIP_1) | instid1(VALU_DEP_2)
	v_dual_mov_b32 v3, v55 :: v_dual_sub_nc_u32 v0, 0x71, v6
	v_cmp_gt_u32_e32 vcc_lo, 0x72, v6
	v_cndmask_b32_e32 v0, 0, v0, vcc_lo
	v_cmp_eq_u32_e32 vcc_lo, 0, v6
	s_delay_alu instid0(VALU_DEP_2) | instskip(NEXT) | instid1(VALU_DEP_1)
	v_cndmask_b32_e64 v7, v0, 0x70, vcc_lo
	v_dual_cndmask_b32 v2, v2, v54, vcc_lo :: v_dual_add_nc_u32 v0, 21, v7
	v_add_nc_u32_e32 v8, 20, v7
	s_delay_alu instid0(VALU_DEP_2) | instskip(NEXT) | instid1(VALU_DEP_2)
	v_lshlrev_b64_e64 v[0:1], v0, -1
	v_lshlrev_b64_e64 v[8:9], v8, 1
	s_delay_alu instid0(VALU_DEP_2) | instskip(NEXT) | instid1(VALU_DEP_3)
	v_bfi_b32 v17, v1, 0, 0
	v_bfi_b32 v16, v0, 0, v2
	v_lshrrev_b64 v[0:1], v7, v[2:3]
	s_delay_alu instid0(VALU_DEP_1) | instskip(NEXT) | instid1(VALU_DEP_3)
	v_mov_b64_e32 v[2:3], v[0:1]
	v_cmpx_eq_u64_e64 v[16:17], v[8:9]
; %bb.17835:                            ;   in Loop: Header=BB6_16763 Depth=2
	v_bfe_u32 v2, v0, 21, 1
	v_mov_b32_e32 v3, v55
	s_delay_alu instid0(VALU_DEP_1) | instskip(NEXT) | instid1(VALU_DEP_1)
	v_add_nc_u64_e32 v[2:3], v[0:1], v[2:3]
	v_add_nc_u64_e32 v[2:3], -1, v[2:3]
; %bb.17836:                            ;   in Loop: Header=BB6_16763 Depth=2
	s_or_b32 exec_lo, exec_lo, s41
	v_add_nc_u32_e32 v1, 0xffffff81, v6
	v_lshrrev_b32_e32 v3, 23, v0
	s_mov_b32 s10, exec_lo
	s_delay_alu instid0(VALU_DEP_2) | instskip(NEXT) | instid1(VALU_DEP_1)
	v_cndmask_b32_e64 v1, v1, 0xffffff82, vcc_lo
	v_add3_u32 v3, v7, v1, v3
	v_and_b32_e32 v1, 0x1fffff, v2
                                        ; implicit-def: $vgpr2
	s_delay_alu instid0(VALU_DEP_1) | instskip(NEXT) | instid1(VALU_DEP_1)
	v_dual_add_nc_u32 v6, 14, v3 :: v_dual_add_nc_u32 v54, v1, v0
                                        ; implicit-def: $vgpr0_vgpr1
	v_cmpx_ne_u32_e32 0, v6
	s_xor_b32 s10, exec_lo, s10
; %bb.17837:                            ;   in Loop: Header=BB6_16763 Depth=2
	s_delay_alu instid0(VALU_DEP_2) | instskip(SKIP_1) | instid1(VALU_DEP_1)
	v_cmp_lt_u64_e32 vcc_lo, 0xffffff, v[54:55]
	v_add_nc_u32_e32 v0, 15, v3
	v_cndmask_b32_e32 v2, v6, v0, vcc_lo
	v_cndmask_b32_e64 v0, 0, 1, vcc_lo
	s_delay_alu instid0(VALU_DEP_1)
	v_lshrrev_b64 v[0:1], v0, v[54:55]
; %bb.17838:                            ;   in Loop: Header=BB6_16763 Depth=2
	s_and_not1_saveexec_b32 s10, s10
; %bb.17839:                            ;   in Loop: Header=BB6_16763 Depth=2
	v_mov_b64_e32 v[0:1], v[54:55]
	v_bfe_u32 v2, v54, 23, 1
; %bb.17840:                            ;   in Loop: Header=BB6_16763 Depth=2
	s_or_b32 exec_lo, exec_lo, s10
	s_delay_alu instid0(VALU_DEP_2) | instskip(NEXT) | instid1(VALU_DEP_2)
	v_lshrrev_b64 v[0:1], 21, v[0:1]
	v_cmp_gt_i32_e32 vcc_lo, 32, v2
	v_min_i32_e32 v3, 31, v2
	v_cmp_eq_u32_e64 s10, 0, v2
	s_delay_alu instid0(VALU_DEP_2) | instskip(SKIP_1) | instid1(VALU_DEP_2)
	v_dual_cndmask_b32 v1, 0, v1, vcc_lo :: v_dual_lshlrev_b32 v3, 2, v3
	v_cndmask_b32_e32 v0, 3, v0, vcc_lo
	v_and_b32_e32 v3, 0xfc, v3
	s_delay_alu instid0(VALU_DEP_2) | instskip(NEXT) | instid1(VALU_DEP_2)
	v_cmp_eq_u64_e32 vcc_lo, 0, v[0:1]
	v_and_or_b32 v0, v0, 3, v3
	s_and_b32 s10, s10, vcc_lo
	s_delay_alu instid0(VALU_DEP_1) | instid1(SALU_CYCLE_1)
	v_cndmask_b32_e64 v0, v0, 0, s10
	s_delay_alu instid0(VALU_DEP_1)
	v_or_b32_e32 v56, v0, v5
.LBB6_17841:                            ;   in Loop: Header=BB6_16763 Depth=2
	s_or_b32 exec_lo, exec_lo, s40
                                        ; implicit-def: $vgpr5
.LBB6_17842:                            ;   in Loop: Header=BB6_16763 Depth=2
	s_and_not1_saveexec_b32 s10, s29
; %bb.17843:                            ;   in Loop: Header=BB6_16763 Depth=2
	v_or_b32_e32 v56, 0x7b, v5
; %bb.17844:                            ;   in Loop: Header=BB6_16763 Depth=2
	s_or_b32 exec_lo, exec_lo, s10
                                        ; implicit-def: $vgpr0
                                        ; implicit-def: $vgpr1
.LBB6_17845:                            ;   in Loop: Header=BB6_16763 Depth=2
	s_and_not1_saveexec_b32 s10, s28
	s_cbranch_execz .LBB6_17851
; %bb.17846:                            ;   in Loop: Header=BB6_16763 Depth=2
	s_mov_b32 s28, exec_lo
                                        ; implicit-def: $vgpr56
	v_cmpx_ne_u64_e32 0, v[54:55]
	s_xor_b32 s28, exec_lo, s28
; %bb.17847:                            ;   in Loop: Header=BB6_16763 Depth=2
	v_or_b32_e32 v56, 0x7f, v1
                                        ; implicit-def: $vgpr0
; %bb.17848:                            ;   in Loop: Header=BB6_16763 Depth=2
	s_and_not1_saveexec_b32 s28, s28
; %bb.17849:                            ;   in Loop: Header=BB6_16763 Depth=2
	v_cmp_lt_i32_e32 vcc_lo, -1, v0
	v_cndmask_b32_e32 v56, 0xfc, v30, vcc_lo
; %bb.17850:                            ;   in Loop: Header=BB6_16763 Depth=2
	s_or_b32 exec_lo, exec_lo, s28
.LBB6_17851:                            ;   in Loop: Header=BB6_16763 Depth=2
	s_delay_alu instid0(SALU_CYCLE_1) | instskip(SKIP_3) | instid1(VALU_DEP_2)
	s_or_b32 exec_lo, exec_lo, s10
	v_and_b32_e32 v0, 0xff, v11
	v_dual_mov_b32 v54, v11 :: v_dual_mov_b32 v1, 0
	s_mov_b32 s10, exec_lo
	v_cmpx_ne_u16_e32 0, v0
	s_cbranch_execz .LBB6_17861
; %bb.17852:                            ;   in Loop: Header=BB6_16763 Depth=2
	v_bfrev_b32_e32 v1, 1
	s_mov_b32 s28, exec_lo
	v_cmpx_ne_u16_e32 0x80, v0
	s_cbranch_execz .LBB6_17860
; %bb.17853:                            ;   in Loop: Header=BB6_16763 Depth=2
	v_and_b32_e32 v1, 0x7c, v11
	v_and_b32_e32 v0, 3, v11
	s_delay_alu instid0(VALU_DEP_2) | instskip(SKIP_1) | instid1(SALU_CYCLE_1)
	v_cmp_ne_u32_e32 vcc_lo, 0x7c, v1
                                        ; implicit-def: $vgpr1
	s_and_saveexec_b32 s29, vcc_lo
	s_xor_b32 s29, exec_lo, s29
	s_cbranch_execz .LBB6_17857
; %bb.17854:                            ;   in Loop: Header=BB6_16763 Depth=2
	v_bfe_u32 v1, v11, 2, 5
	s_mov_b32 s40, exec_lo
	s_delay_alu instid0(VALU_DEP_1)
	v_cmpx_eq_u32_e32 0, v1
; %bb.17855:                            ;   in Loop: Header=BB6_16763 Depth=2
	v_clz_i32_u32_e32 v0, v0
	s_delay_alu instid0(VALU_DEP_1) | instskip(NEXT) | instid1(VALU_DEP_1)
	v_min_u32_e32 v2, 32, v0
	v_subrev_nc_u32_e32 v0, 29, v2
	s_delay_alu instid0(VALU_DEP_1) | instskip(NEXT) | instid1(VALU_DEP_1)
	v_lshlrev_b64_e32 v[0:1], v0, v[54:55]
	v_dual_sub_nc_u32 v1, 30, v2 :: v_dual_bitop2_b32 v0, 3, v0 bitop3:0x40
; %bb.17856:                            ;   in Loop: Header=BB6_16763 Depth=2
	s_or_b32 exec_lo, exec_lo, s40
	v_lshlrev_b32_e32 v2, 24, v11
	s_delay_alu instid0(VALU_DEP_1) | instskip(NEXT) | instid1(VALU_DEP_1)
	v_and_b32_e32 v2, 0x80000000, v2
	v_lshl_add_u32 v1, v1, 23, v2
	s_delay_alu instid0(VALU_DEP_1) | instskip(NEXT) | instid1(VALU_DEP_1)
	v_lshl_or_b32 v0, v0, 21, v1
	v_add_nc_u32_e32 v1, 0x38000000, v0
                                        ; implicit-def: $vgpr0
.LBB6_17857:                            ;   in Loop: Header=BB6_16763 Depth=2
	s_and_not1_saveexec_b32 s29, s29
; %bb.17858:                            ;   in Loop: Header=BB6_16763 Depth=2
	v_bfe_i32 v1, v11, 0, 8
	s_delay_alu instid0(VALU_DEP_1) | instskip(SKIP_2) | instid1(VALU_DEP_2)
	v_cmp_lt_i16_e32 vcc_lo, -1, v1
	v_cndmask_b32_e32 v1, 0xff800000, v29, vcc_lo
	v_cmp_eq_u32_e32 vcc_lo, 0, v0
	v_cndmask_b32_e32 v1, 0x7f800001, v1, vcc_lo
; %bb.17859:                            ;   in Loop: Header=BB6_16763 Depth=2
	s_or_b32 exec_lo, exec_lo, s29
.LBB6_17860:                            ;   in Loop: Header=BB6_16763 Depth=2
	s_delay_alu instid0(SALU_CYCLE_1)
	s_or_b32 exec_lo, exec_lo, s28
.LBB6_17861:                            ;   in Loop: Header=BB6_16763 Depth=2
	s_delay_alu instid0(SALU_CYCLE_1) | instskip(NEXT) | instid1(VALU_DEP_1)
	s_or_b32 exec_lo, exec_lo, s10
	v_dual_mul_f32 v2, s27, v1 :: v_dual_mov_b32 v7, v55
	v_mov_b32_e32 v1, v55
                                        ; implicit-def: $vgpr22
	s_mov_b32 s10, exec_lo
	s_delay_alu instid0(VALU_DEP_2) | instskip(SKIP_2) | instid1(VALU_DEP_3)
	v_and_b32_e32 v6, 0x7f800000, v2
	v_and_b32_e32 v0, 0x7fffff, v2
	v_lshrrev_b32_e32 v3, 24, v2
	v_cmpx_ne_u64_e32 0x7f800000, v[6:7]
	s_xor_b32 s28, exec_lo, s10
	s_cbranch_execz .LBB6_17875
; %bb.17862:                            ;   in Loop: Header=BB6_16763 Depth=2
	v_and_b32_e32 v6, 0x7fffffff, v2
	v_mov_b32_e32 v7, v55
	v_and_b32_e32 v5, 0x80, v3
                                        ; implicit-def: $vgpr22
	s_mov_b32 s10, exec_lo
	s_delay_alu instid0(VALU_DEP_2)
	v_cmpx_gt_u64_e32 0x47600001, v[6:7]
	s_xor_b32 s29, exec_lo, s10
	s_cbranch_execz .LBB6_17872
; %bb.17863:                            ;   in Loop: Header=BB6_16763 Depth=2
	v_mov_b32_e32 v22, 0
	s_mov_b32 s40, exec_lo
	v_cmpx_ne_u32_e32 0, v2
	s_cbranch_execz .LBB6_17871
; %bb.17864:                            ;   in Loop: Header=BB6_16763 Depth=2
	v_bfe_u32 v6, v2, 23, 8
	v_or_b32_e32 v8, 0x800000, v0
	s_delay_alu instid0(VALU_DEP_2) | instskip(SKIP_1) | instid1(VALU_DEP_2)
	v_sub_nc_u32_e32 v2, 0x71, v6
	v_cmp_gt_u32_e32 vcc_lo, 0x72, v6
	v_cndmask_b32_e32 v2, 0, v2, vcc_lo
	v_cmp_eq_u32_e32 vcc_lo, 0, v6
	s_delay_alu instid0(VALU_DEP_2) | instskip(NEXT) | instid1(VALU_DEP_1)
	v_cndmask_b32_e64 v7, v2, 0x70, vcc_lo
	v_dual_cndmask_b32 v0, v8, v0, vcc_lo :: v_dual_add_nc_u32 v2, 21, v7
	v_add_nc_u32_e32 v9, 20, v7
	s_delay_alu instid0(VALU_DEP_2) | instskip(NEXT) | instid1(VALU_DEP_2)
	v_lshlrev_b64_e64 v[2:3], v2, -1
	v_lshlrev_b64_e64 v[8:9], v9, 1
	s_delay_alu instid0(VALU_DEP_2) | instskip(SKIP_1) | instid1(VALU_DEP_4)
	v_bfi_b32 v2, v2, 0, v0
	v_lshrrev_b64 v[0:1], v7, v[0:1]
	v_bfi_b32 v3, v3, 0, 0
	s_delay_alu instid0(VALU_DEP_1) | instskip(NEXT) | instid1(VALU_DEP_3)
	v_cmp_eq_u64_e64 s10, v[2:3], v[8:9]
	v_mov_b64_e32 v[2:3], v[0:1]
	s_and_saveexec_b32 s41, s10
; %bb.17865:                            ;   in Loop: Header=BB6_16763 Depth=2
	v_bfe_u32 v2, v0, 21, 1
	v_mov_b32_e32 v3, v55
	s_delay_alu instid0(VALU_DEP_1) | instskip(NEXT) | instid1(VALU_DEP_1)
	v_add_nc_u64_e32 v[2:3], v[0:1], v[2:3]
	v_add_nc_u64_e32 v[2:3], -1, v[2:3]
; %bb.17866:                            ;   in Loop: Header=BB6_16763 Depth=2
	s_or_b32 exec_lo, exec_lo, s41
	v_add_nc_u32_e32 v1, 0xffffff81, v6
	v_lshrrev_b32_e32 v3, 23, v0
	s_mov_b32 s10, exec_lo
	s_delay_alu instid0(VALU_DEP_2) | instskip(NEXT) | instid1(VALU_DEP_1)
	v_cndmask_b32_e64 v1, v1, 0xffffff82, vcc_lo
	v_add3_u32 v3, v7, v1, v3
	v_and_b32_e32 v1, 0x1fffff, v2
                                        ; implicit-def: $vgpr2
	s_delay_alu instid0(VALU_DEP_1) | instskip(SKIP_1) | instid1(VALU_DEP_2)
	v_dual_add_nc_u32 v6, 14, v3 :: v_dual_add_nc_u32 v0, v1, v0
	v_mov_b32_e32 v1, v55
	v_cmpx_ne_u32_e32 0, v6
	s_xor_b32 s10, exec_lo, s10
; %bb.17867:                            ;   in Loop: Header=BB6_16763 Depth=2
	s_delay_alu instid0(VALU_DEP_2) | instskip(SKIP_2) | instid1(VALU_DEP_2)
	v_cmp_lt_u64_e32 vcc_lo, 0xffffff, v[0:1]
	v_add_nc_u32_e32 v2, 15, v3
	v_cndmask_b32_e64 v3, 0, 1, vcc_lo
	v_cndmask_b32_e32 v2, v6, v2, vcc_lo
	s_delay_alu instid0(VALU_DEP_2)
	v_lshrrev_b64 v[0:1], v3, v[0:1]
; %bb.17868:                            ;   in Loop: Header=BB6_16763 Depth=2
	s_and_not1_saveexec_b32 s10, s10
; %bb.17869:                            ;   in Loop: Header=BB6_16763 Depth=2
	s_delay_alu instid0(VALU_DEP_1)
	v_bfe_u32 v2, v0, 23, 1
; %bb.17870:                            ;   in Loop: Header=BB6_16763 Depth=2
	s_or_b32 exec_lo, exec_lo, s10
	s_delay_alu instid0(VALU_DEP_2) | instskip(NEXT) | instid1(VALU_DEP_2)
	v_lshrrev_b64 v[0:1], 21, v[0:1]
	v_cmp_gt_i32_e32 vcc_lo, 32, v2
	v_min_i32_e32 v3, 31, v2
	v_cmp_eq_u32_e64 s10, 0, v2
	s_delay_alu instid0(VALU_DEP_2) | instskip(SKIP_1) | instid1(VALU_DEP_2)
	v_dual_cndmask_b32 v1, 0, v1, vcc_lo :: v_dual_lshlrev_b32 v3, 2, v3
	v_cndmask_b32_e32 v0, 3, v0, vcc_lo
	v_and_b32_e32 v3, 0xfc, v3
	s_delay_alu instid0(VALU_DEP_2) | instskip(NEXT) | instid1(VALU_DEP_2)
	v_cmp_eq_u64_e32 vcc_lo, 0, v[0:1]
	v_and_or_b32 v0, v0, 3, v3
	s_and_b32 s10, s10, vcc_lo
	s_delay_alu instid0(VALU_DEP_1) | instid1(SALU_CYCLE_1)
	v_cndmask_b32_e64 v0, v0, 0, s10
	s_delay_alu instid0(VALU_DEP_1)
	v_or_b32_e32 v22, v0, v5
.LBB6_17871:                            ;   in Loop: Header=BB6_16763 Depth=2
	s_or_b32 exec_lo, exec_lo, s40
                                        ; implicit-def: $vgpr5
.LBB6_17872:                            ;   in Loop: Header=BB6_16763 Depth=2
	s_and_not1_saveexec_b32 s10, s29
; %bb.17873:                            ;   in Loop: Header=BB6_16763 Depth=2
	v_or_b32_e32 v22, 0x7b, v5
; %bb.17874:                            ;   in Loop: Header=BB6_16763 Depth=2
	s_or_b32 exec_lo, exec_lo, s10
                                        ; implicit-def: $vgpr2
                                        ; implicit-def: $vgpr0_vgpr1
                                        ; implicit-def: $vgpr3
.LBB6_17875:                            ;   in Loop: Header=BB6_16763 Depth=2
	s_and_not1_saveexec_b32 s10, s28
	s_cbranch_execz .LBB6_17881
; %bb.17876:                            ;   in Loop: Header=BB6_16763 Depth=2
	s_mov_b32 s28, exec_lo
                                        ; implicit-def: $vgpr22
	v_cmpx_ne_u64_e32 0, v[0:1]
	s_xor_b32 s28, exec_lo, s28
; %bb.17877:                            ;   in Loop: Header=BB6_16763 Depth=2
	v_or_b32_e32 v22, 0x7f, v3
                                        ; implicit-def: $vgpr2
; %bb.17878:                            ;   in Loop: Header=BB6_16763 Depth=2
	s_and_not1_saveexec_b32 s28, s28
; %bb.17879:                            ;   in Loop: Header=BB6_16763 Depth=2
	v_cmp_lt_i32_e32 vcc_lo, -1, v2
	v_cndmask_b32_e32 v22, 0xfc, v30, vcc_lo
; %bb.17880:                            ;   in Loop: Header=BB6_16763 Depth=2
	s_or_b32 exec_lo, exec_lo, s28
.LBB6_17881:                            ;   in Loop: Header=BB6_16763 Depth=2
	s_delay_alu instid0(SALU_CYCLE_1) | instskip(SKIP_3) | instid1(VALU_DEP_2)
	s_or_b32 exec_lo, exec_lo, s10
	v_lshrrev_b16 v0, 8, v54
	v_mov_b32_e32 v2, 0
	s_mov_b32 s10, exec_lo
	v_cmpx_ne_u16_e32 0, v0
	s_cbranch_execz .LBB6_17891
; %bb.17882:                            ;   in Loop: Header=BB6_16763 Depth=2
	v_bfrev_b32_e32 v2, 1
	s_mov_b32 s28, exec_lo
	v_cmpx_ne_u16_e32 0x80, v0
	s_cbranch_execz .LBB6_17890
; %bb.17883:                            ;   in Loop: Header=BB6_16763 Depth=2
	v_and_b32_e32 v3, 0xffff, v0
	s_delay_alu instid0(VALU_DEP_1) | instskip(SKIP_1) | instid1(VALU_DEP_2)
	v_and_b32_e32 v2, 0x7c, v3
	v_and_b32_e32 v1, 3, v3
	v_cmp_ne_u32_e32 vcc_lo, 0x7c, v2
                                        ; implicit-def: $vgpr2
	s_and_saveexec_b32 s29, vcc_lo
	s_delay_alu instid0(SALU_CYCLE_1)
	s_xor_b32 s29, exec_lo, s29
	s_cbranch_execz .LBB6_17887
; %bb.17884:                            ;   in Loop: Header=BB6_16763 Depth=2
	v_bfe_u32 v2, v3, 2, 5
	s_mov_b32 s40, exec_lo
	s_delay_alu instid0(VALU_DEP_1)
	v_cmpx_eq_u32_e32 0, v2
	s_cbranch_execz .LBB6_17886
; %bb.17885:                            ;   in Loop: Header=BB6_16763 Depth=2
	v_clz_i32_u32_e32 v1, v1
	s_delay_alu instid0(VALU_DEP_1) | instskip(SKIP_1) | instid1(VALU_DEP_2)
	v_min_u32_e32 v2, 32, v1
	v_mov_b32_e32 v1, v55
	v_subrev_nc_u32_e32 v3, 29, v2
	v_sub_nc_u32_e32 v2, 30, v2
	s_delay_alu instid0(VALU_DEP_2) | instskip(NEXT) | instid1(VALU_DEP_1)
	v_lshlrev_b64_e32 v[0:1], v3, v[0:1]
	v_and_b32_e32 v1, 3, v0
.LBB6_17886:                            ;   in Loop: Header=BB6_16763 Depth=2
	s_or_b32 exec_lo, exec_lo, s40
	v_lshlrev_b32_e32 v0, 16, v54
	s_delay_alu instid0(VALU_DEP_1) | instskip(NEXT) | instid1(VALU_DEP_1)
	v_and_b32_e32 v0, 0x80000000, v0
	v_lshl_add_u32 v0, v2, 23, v0
	s_delay_alu instid0(VALU_DEP_1) | instskip(NEXT) | instid1(VALU_DEP_1)
	v_lshl_or_b32 v0, v1, 21, v0
                                        ; implicit-def: $vgpr1
	v_add_nc_u32_e32 v2, 0x38000000, v0
.LBB6_17887:                            ;   in Loop: Header=BB6_16763 Depth=2
	s_and_not1_saveexec_b32 s29, s29
; %bb.17888:                            ;   in Loop: Header=BB6_16763 Depth=2
	v_cmp_lt_i16_e32 vcc_lo, -1, v54
	v_cndmask_b32_e32 v0, 0xff800000, v29, vcc_lo
	v_cmp_eq_u32_e32 vcc_lo, 0, v1
	s_delay_alu instid0(VALU_DEP_2)
	v_cndmask_b32_e32 v2, 0x7f800001, v0, vcc_lo
; %bb.17889:                            ;   in Loop: Header=BB6_16763 Depth=2
	s_or_b32 exec_lo, exec_lo, s29
.LBB6_17890:                            ;   in Loop: Header=BB6_16763 Depth=2
	s_delay_alu instid0(SALU_CYCLE_1)
	s_or_b32 exec_lo, exec_lo, s28
.LBB6_17891:                            ;   in Loop: Header=BB6_16763 Depth=2
	s_delay_alu instid0(SALU_CYCLE_1) | instskip(NEXT) | instid1(VALU_DEP_1)
	s_or_b32 exec_lo, exec_lo, s10
	v_dual_mul_f32 v0, s27, v2 :: v_dual_mov_b32 v3, v55
                                        ; implicit-def: $vgpr23
	s_mov_b32 s10, exec_lo
	s_delay_alu instid0(VALU_DEP_1) | instskip(SKIP_2) | instid1(VALU_DEP_3)
	v_and_b32_e32 v2, 0x7f800000, v0
	v_and_b32_e32 v54, 0x7fffff, v0
	v_lshrrev_b32_e32 v1, 24, v0
	v_cmpx_ne_u64_e32 0x7f800000, v[2:3]
	s_xor_b32 s28, exec_lo, s10
	s_cbranch_execz .LBB6_17905
; %bb.17892:                            ;   in Loop: Header=BB6_16763 Depth=2
	v_and_b32_e32 v2, 0x7fffffff, v0
	v_mov_b32_e32 v3, v55
	v_and_b32_e32 v5, 0x80, v1
                                        ; implicit-def: $vgpr23
	s_mov_b32 s10, exec_lo
	s_delay_alu instid0(VALU_DEP_2)
	v_cmpx_gt_u64_e32 0x47600001, v[2:3]
	s_xor_b32 s29, exec_lo, s10
	s_cbranch_execz .LBB6_17902
; %bb.17893:                            ;   in Loop: Header=BB6_16763 Depth=2
	v_mov_b32_e32 v23, 0
	s_mov_b32 s40, exec_lo
	v_cmpx_ne_u32_e32 0, v0
	s_cbranch_execz .LBB6_17901
; %bb.17894:                            ;   in Loop: Header=BB6_16763 Depth=2
	v_bfe_u32 v6, v0, 23, 8
	v_or_b32_e32 v2, 0x800000, v54
	s_mov_b32 s41, exec_lo
	s_delay_alu instid0(VALU_DEP_2) | instskip(SKIP_1) | instid1(VALU_DEP_2)
	v_dual_mov_b32 v3, v55 :: v_dual_sub_nc_u32 v0, 0x71, v6
	v_cmp_gt_u32_e32 vcc_lo, 0x72, v6
	v_cndmask_b32_e32 v0, 0, v0, vcc_lo
	v_cmp_eq_u32_e32 vcc_lo, 0, v6
	s_delay_alu instid0(VALU_DEP_2) | instskip(NEXT) | instid1(VALU_DEP_1)
	v_cndmask_b32_e64 v7, v0, 0x70, vcc_lo
	v_dual_cndmask_b32 v2, v2, v54, vcc_lo :: v_dual_add_nc_u32 v0, 21, v7
	v_add_nc_u32_e32 v8, 20, v7
	s_delay_alu instid0(VALU_DEP_2) | instskip(NEXT) | instid1(VALU_DEP_2)
	v_lshlrev_b64_e64 v[0:1], v0, -1
	v_lshlrev_b64_e64 v[8:9], v8, 1
	s_delay_alu instid0(VALU_DEP_2) | instskip(NEXT) | instid1(VALU_DEP_3)
	v_bfi_b32 v17, v1, 0, 0
	v_bfi_b32 v16, v0, 0, v2
	v_lshrrev_b64 v[0:1], v7, v[2:3]
	s_delay_alu instid0(VALU_DEP_1) | instskip(NEXT) | instid1(VALU_DEP_3)
	v_mov_b64_e32 v[2:3], v[0:1]
	v_cmpx_eq_u64_e64 v[16:17], v[8:9]
; %bb.17895:                            ;   in Loop: Header=BB6_16763 Depth=2
	v_bfe_u32 v2, v0, 21, 1
	v_mov_b32_e32 v3, v55
	s_delay_alu instid0(VALU_DEP_1) | instskip(NEXT) | instid1(VALU_DEP_1)
	v_add_nc_u64_e32 v[2:3], v[0:1], v[2:3]
	v_add_nc_u64_e32 v[2:3], -1, v[2:3]
; %bb.17896:                            ;   in Loop: Header=BB6_16763 Depth=2
	s_or_b32 exec_lo, exec_lo, s41
	v_add_nc_u32_e32 v1, 0xffffff81, v6
	v_lshrrev_b32_e32 v3, 23, v0
	s_mov_b32 s10, exec_lo
	s_delay_alu instid0(VALU_DEP_2) | instskip(NEXT) | instid1(VALU_DEP_1)
	v_cndmask_b32_e64 v1, v1, 0xffffff82, vcc_lo
	v_add3_u32 v3, v7, v1, v3
	v_and_b32_e32 v1, 0x1fffff, v2
                                        ; implicit-def: $vgpr2
	s_delay_alu instid0(VALU_DEP_1) | instskip(NEXT) | instid1(VALU_DEP_1)
	v_dual_add_nc_u32 v6, 14, v3 :: v_dual_add_nc_u32 v54, v1, v0
                                        ; implicit-def: $vgpr0_vgpr1
	v_cmpx_ne_u32_e32 0, v6
	s_xor_b32 s10, exec_lo, s10
; %bb.17897:                            ;   in Loop: Header=BB6_16763 Depth=2
	s_delay_alu instid0(VALU_DEP_2) | instskip(SKIP_1) | instid1(VALU_DEP_1)
	v_cmp_lt_u64_e32 vcc_lo, 0xffffff, v[54:55]
	v_add_nc_u32_e32 v0, 15, v3
	v_cndmask_b32_e32 v2, v6, v0, vcc_lo
	v_cndmask_b32_e64 v0, 0, 1, vcc_lo
	s_delay_alu instid0(VALU_DEP_1)
	v_lshrrev_b64 v[0:1], v0, v[54:55]
; %bb.17898:                            ;   in Loop: Header=BB6_16763 Depth=2
	s_and_not1_saveexec_b32 s10, s10
; %bb.17899:                            ;   in Loop: Header=BB6_16763 Depth=2
	v_mov_b64_e32 v[0:1], v[54:55]
	v_bfe_u32 v2, v54, 23, 1
; %bb.17900:                            ;   in Loop: Header=BB6_16763 Depth=2
	s_or_b32 exec_lo, exec_lo, s10
	s_delay_alu instid0(VALU_DEP_2) | instskip(NEXT) | instid1(VALU_DEP_2)
	v_lshrrev_b64 v[0:1], 21, v[0:1]
	v_cmp_gt_i32_e32 vcc_lo, 32, v2
	v_min_i32_e32 v3, 31, v2
	v_cmp_eq_u32_e64 s10, 0, v2
	s_delay_alu instid0(VALU_DEP_2) | instskip(SKIP_1) | instid1(VALU_DEP_2)
	v_dual_cndmask_b32 v1, 0, v1, vcc_lo :: v_dual_lshlrev_b32 v3, 2, v3
	v_cndmask_b32_e32 v0, 3, v0, vcc_lo
	v_and_b32_e32 v3, 0xfc, v3
	s_delay_alu instid0(VALU_DEP_2) | instskip(NEXT) | instid1(VALU_DEP_2)
	v_cmp_eq_u64_e32 vcc_lo, 0, v[0:1]
	v_and_or_b32 v0, v0, 3, v3
	s_and_b32 s10, s10, vcc_lo
	s_delay_alu instid0(VALU_DEP_1) | instid1(SALU_CYCLE_1)
	v_cndmask_b32_e64 v0, v0, 0, s10
	s_delay_alu instid0(VALU_DEP_1)
	v_or_b32_e32 v23, v0, v5
.LBB6_17901:                            ;   in Loop: Header=BB6_16763 Depth=2
	s_or_b32 exec_lo, exec_lo, s40
                                        ; implicit-def: $vgpr5
.LBB6_17902:                            ;   in Loop: Header=BB6_16763 Depth=2
	s_and_not1_saveexec_b32 s10, s29
; %bb.17903:                            ;   in Loop: Header=BB6_16763 Depth=2
	v_or_b32_e32 v23, 0x7b, v5
; %bb.17904:                            ;   in Loop: Header=BB6_16763 Depth=2
	s_or_b32 exec_lo, exec_lo, s10
                                        ; implicit-def: $vgpr0
                                        ; implicit-def: $vgpr1
.LBB6_17905:                            ;   in Loop: Header=BB6_16763 Depth=2
	s_and_not1_saveexec_b32 s10, s28
	s_cbranch_execz .LBB6_17911
; %bb.17906:                            ;   in Loop: Header=BB6_16763 Depth=2
	s_mov_b32 s28, exec_lo
                                        ; implicit-def: $vgpr23
	v_cmpx_ne_u64_e32 0, v[54:55]
	s_xor_b32 s28, exec_lo, s28
; %bb.17907:                            ;   in Loop: Header=BB6_16763 Depth=2
	v_or_b32_e32 v23, 0x7f, v1
                                        ; implicit-def: $vgpr0
; %bb.17908:                            ;   in Loop: Header=BB6_16763 Depth=2
	s_and_not1_saveexec_b32 s28, s28
; %bb.17909:                            ;   in Loop: Header=BB6_16763 Depth=2
	v_cmp_lt_i32_e32 vcc_lo, -1, v0
	v_cndmask_b32_e32 v23, 0xfc, v30, vcc_lo
; %bb.17910:                            ;   in Loop: Header=BB6_16763 Depth=2
	s_or_b32 exec_lo, exec_lo, s28
.LBB6_17911:                            ;   in Loop: Header=BB6_16763 Depth=2
	s_delay_alu instid0(SALU_CYCLE_1) | instskip(SKIP_2) | instid1(VALU_DEP_1)
	s_or_b32 exec_lo, exec_lo, s10
	v_dual_lshrrev_b32 v0, 16, v11 :: v_dual_mov_b32 v2, 0
	s_mov_b32 s10, exec_lo
	v_and_b32_e32 v1, 0xff, v0
	s_delay_alu instid0(VALU_DEP_1)
	v_cmpx_ne_u16_e32 0, v1
	s_cbranch_execz .LBB6_17921
; %bb.17912:                            ;   in Loop: Header=BB6_16763 Depth=2
	v_bfrev_b32_e32 v2, 1
	s_mov_b32 s28, exec_lo
	v_cmpx_ne_u16_e32 0x80, v1
	s_cbranch_execz .LBB6_17920
; %bb.17913:                            ;   in Loop: Header=BB6_16763 Depth=2
	v_and_b32_e32 v2, 0x7c0000, v11
	v_bfe_u32 v1, v11, 16, 2
	s_delay_alu instid0(VALU_DEP_2) | instskip(SKIP_1) | instid1(SALU_CYCLE_1)
	v_cmp_ne_u32_e32 vcc_lo, 0x7c0000, v2
                                        ; implicit-def: $vgpr2
	s_and_saveexec_b32 s29, vcc_lo
	s_xor_b32 s29, exec_lo, s29
	s_cbranch_execz .LBB6_17917
; %bb.17914:                            ;   in Loop: Header=BB6_16763 Depth=2
	v_bfe_u32 v2, v11, 18, 5
	s_mov_b32 s40, exec_lo
	s_delay_alu instid0(VALU_DEP_1)
	v_cmpx_eq_u32_e32 0, v2
; %bb.17915:                            ;   in Loop: Header=BB6_16763 Depth=2
	v_clz_i32_u32_e32 v1, v1
	s_delay_alu instid0(VALU_DEP_1) | instskip(NEXT) | instid1(VALU_DEP_1)
	v_min_u32_e32 v1, 32, v1
	v_subrev_nc_u32_e32 v2, 29, v1
	s_delay_alu instid0(VALU_DEP_1) | instskip(NEXT) | instid1(VALU_DEP_1)
	v_lshlrev_b64_e32 v[6:7], v2, v[0:1]
	v_dual_sub_nc_u32 v2, 30, v1 :: v_dual_bitop2_b32 v1, 3, v6 bitop3:0x40
; %bb.17916:                            ;   in Loop: Header=BB6_16763 Depth=2
	s_or_b32 exec_lo, exec_lo, s40
	v_lshlrev_b32_e32 v0, 24, v0
	s_delay_alu instid0(VALU_DEP_1) | instskip(NEXT) | instid1(VALU_DEP_1)
	v_and_b32_e32 v0, 0x80000000, v0
	v_lshl_add_u32 v0, v2, 23, v0
	s_delay_alu instid0(VALU_DEP_1) | instskip(NEXT) | instid1(VALU_DEP_1)
	v_lshl_or_b32 v0, v1, 21, v0
                                        ; implicit-def: $vgpr1
	v_add_nc_u32_e32 v2, 0x38000000, v0
                                        ; implicit-def: $vgpr0
.LBB6_17917:                            ;   in Loop: Header=BB6_16763 Depth=2
	s_and_not1_saveexec_b32 s29, s29
; %bb.17918:                            ;   in Loop: Header=BB6_16763 Depth=2
	v_bfe_i32 v0, v0, 0, 8
	s_delay_alu instid0(VALU_DEP_1) | instskip(SKIP_2) | instid1(VALU_DEP_2)
	v_cmp_lt_i16_e32 vcc_lo, -1, v0
	v_cndmask_b32_e32 v0, 0xff800000, v29, vcc_lo
	v_cmp_eq_u32_e32 vcc_lo, 0, v1
	v_cndmask_b32_e32 v2, 0x7f800001, v0, vcc_lo
; %bb.17919:                            ;   in Loop: Header=BB6_16763 Depth=2
	s_or_b32 exec_lo, exec_lo, s29
.LBB6_17920:                            ;   in Loop: Header=BB6_16763 Depth=2
	s_delay_alu instid0(SALU_CYCLE_1)
	s_or_b32 exec_lo, exec_lo, s28
.LBB6_17921:                            ;   in Loop: Header=BB6_16763 Depth=2
	s_delay_alu instid0(SALU_CYCLE_1) | instskip(NEXT) | instid1(VALU_DEP_1)
	s_or_b32 exec_lo, exec_lo, s10
	v_dual_mul_f32 v0, s27, v2 :: v_dual_mov_b32 v3, v55
                                        ; implicit-def: $vgpr24
	s_mov_b32 s10, exec_lo
	s_delay_alu instid0(VALU_DEP_1) | instskip(SKIP_2) | instid1(VALU_DEP_3)
	v_and_b32_e32 v2, 0x7f800000, v0
	v_and_b32_e32 v54, 0x7fffff, v0
	v_lshrrev_b32_e32 v1, 24, v0
	v_cmpx_ne_u64_e32 0x7f800000, v[2:3]
	s_xor_b32 s28, exec_lo, s10
	s_cbranch_execz .LBB6_17935
; %bb.17922:                            ;   in Loop: Header=BB6_16763 Depth=2
	v_and_b32_e32 v2, 0x7fffffff, v0
	v_mov_b32_e32 v3, v55
	v_and_b32_e32 v5, 0x80, v1
                                        ; implicit-def: $vgpr24
	s_mov_b32 s10, exec_lo
	s_delay_alu instid0(VALU_DEP_2)
	v_cmpx_gt_u64_e32 0x47600001, v[2:3]
	s_xor_b32 s29, exec_lo, s10
	s_cbranch_execz .LBB6_17932
; %bb.17923:                            ;   in Loop: Header=BB6_16763 Depth=2
	v_mov_b32_e32 v24, 0
	s_mov_b32 s40, exec_lo
	v_cmpx_ne_u32_e32 0, v0
	s_cbranch_execz .LBB6_17931
; %bb.17924:                            ;   in Loop: Header=BB6_16763 Depth=2
	v_bfe_u32 v6, v0, 23, 8
	v_or_b32_e32 v2, 0x800000, v54
	s_mov_b32 s41, exec_lo
	s_delay_alu instid0(VALU_DEP_2) | instskip(SKIP_1) | instid1(VALU_DEP_2)
	v_dual_mov_b32 v3, v55 :: v_dual_sub_nc_u32 v0, 0x71, v6
	v_cmp_gt_u32_e32 vcc_lo, 0x72, v6
	v_cndmask_b32_e32 v0, 0, v0, vcc_lo
	v_cmp_eq_u32_e32 vcc_lo, 0, v6
	s_delay_alu instid0(VALU_DEP_2) | instskip(NEXT) | instid1(VALU_DEP_1)
	v_cndmask_b32_e64 v7, v0, 0x70, vcc_lo
	v_dual_cndmask_b32 v2, v2, v54, vcc_lo :: v_dual_add_nc_u32 v0, 21, v7
	v_add_nc_u32_e32 v8, 20, v7
	s_delay_alu instid0(VALU_DEP_2) | instskip(NEXT) | instid1(VALU_DEP_2)
	v_lshlrev_b64_e64 v[0:1], v0, -1
	v_lshlrev_b64_e64 v[8:9], v8, 1
	s_delay_alu instid0(VALU_DEP_2) | instskip(NEXT) | instid1(VALU_DEP_3)
	v_bfi_b32 v17, v1, 0, 0
	v_bfi_b32 v16, v0, 0, v2
	v_lshrrev_b64 v[0:1], v7, v[2:3]
	s_delay_alu instid0(VALU_DEP_1) | instskip(NEXT) | instid1(VALU_DEP_3)
	v_mov_b64_e32 v[2:3], v[0:1]
	v_cmpx_eq_u64_e64 v[16:17], v[8:9]
; %bb.17925:                            ;   in Loop: Header=BB6_16763 Depth=2
	v_bfe_u32 v2, v0, 21, 1
	v_mov_b32_e32 v3, v55
	s_delay_alu instid0(VALU_DEP_1) | instskip(NEXT) | instid1(VALU_DEP_1)
	v_add_nc_u64_e32 v[2:3], v[0:1], v[2:3]
	v_add_nc_u64_e32 v[2:3], -1, v[2:3]
; %bb.17926:                            ;   in Loop: Header=BB6_16763 Depth=2
	s_or_b32 exec_lo, exec_lo, s41
	v_add_nc_u32_e32 v1, 0xffffff81, v6
	v_lshrrev_b32_e32 v3, 23, v0
	s_mov_b32 s10, exec_lo
	s_delay_alu instid0(VALU_DEP_2) | instskip(NEXT) | instid1(VALU_DEP_1)
	v_cndmask_b32_e64 v1, v1, 0xffffff82, vcc_lo
	v_add3_u32 v3, v7, v1, v3
	v_and_b32_e32 v1, 0x1fffff, v2
                                        ; implicit-def: $vgpr2
	s_delay_alu instid0(VALU_DEP_1) | instskip(NEXT) | instid1(VALU_DEP_1)
	v_dual_add_nc_u32 v6, 14, v3 :: v_dual_add_nc_u32 v54, v1, v0
                                        ; implicit-def: $vgpr0_vgpr1
	v_cmpx_ne_u32_e32 0, v6
	s_xor_b32 s10, exec_lo, s10
; %bb.17927:                            ;   in Loop: Header=BB6_16763 Depth=2
	s_delay_alu instid0(VALU_DEP_2) | instskip(SKIP_1) | instid1(VALU_DEP_1)
	v_cmp_lt_u64_e32 vcc_lo, 0xffffff, v[54:55]
	v_add_nc_u32_e32 v0, 15, v3
	v_cndmask_b32_e32 v2, v6, v0, vcc_lo
	v_cndmask_b32_e64 v0, 0, 1, vcc_lo
	s_delay_alu instid0(VALU_DEP_1)
	v_lshrrev_b64 v[0:1], v0, v[54:55]
; %bb.17928:                            ;   in Loop: Header=BB6_16763 Depth=2
	s_and_not1_saveexec_b32 s10, s10
; %bb.17929:                            ;   in Loop: Header=BB6_16763 Depth=2
	v_mov_b64_e32 v[0:1], v[54:55]
	v_bfe_u32 v2, v54, 23, 1
; %bb.17930:                            ;   in Loop: Header=BB6_16763 Depth=2
	s_or_b32 exec_lo, exec_lo, s10
	s_delay_alu instid0(VALU_DEP_2) | instskip(NEXT) | instid1(VALU_DEP_2)
	v_lshrrev_b64 v[0:1], 21, v[0:1]
	v_cmp_gt_i32_e32 vcc_lo, 32, v2
	v_min_i32_e32 v3, 31, v2
	v_cmp_eq_u32_e64 s10, 0, v2
	s_delay_alu instid0(VALU_DEP_2) | instskip(SKIP_1) | instid1(VALU_DEP_2)
	v_dual_cndmask_b32 v1, 0, v1, vcc_lo :: v_dual_lshlrev_b32 v3, 2, v3
	v_cndmask_b32_e32 v0, 3, v0, vcc_lo
	v_and_b32_e32 v3, 0xfc, v3
	s_delay_alu instid0(VALU_DEP_2) | instskip(NEXT) | instid1(VALU_DEP_2)
	v_cmp_eq_u64_e32 vcc_lo, 0, v[0:1]
	v_and_or_b32 v0, v0, 3, v3
	s_and_b32 s10, s10, vcc_lo
	s_delay_alu instid0(VALU_DEP_1) | instid1(SALU_CYCLE_1)
	v_cndmask_b32_e64 v0, v0, 0, s10
	s_delay_alu instid0(VALU_DEP_1)
	v_or_b32_e32 v24, v0, v5
.LBB6_17931:                            ;   in Loop: Header=BB6_16763 Depth=2
	s_or_b32 exec_lo, exec_lo, s40
                                        ; implicit-def: $vgpr5
.LBB6_17932:                            ;   in Loop: Header=BB6_16763 Depth=2
	s_and_not1_saveexec_b32 s10, s29
; %bb.17933:                            ;   in Loop: Header=BB6_16763 Depth=2
	v_or_b32_e32 v24, 0x7b, v5
; %bb.17934:                            ;   in Loop: Header=BB6_16763 Depth=2
	s_or_b32 exec_lo, exec_lo, s10
                                        ; implicit-def: $vgpr0
                                        ; implicit-def: $vgpr1
.LBB6_17935:                            ;   in Loop: Header=BB6_16763 Depth=2
	s_and_not1_saveexec_b32 s10, s28
	s_cbranch_execz .LBB6_17941
; %bb.17936:                            ;   in Loop: Header=BB6_16763 Depth=2
	s_mov_b32 s28, exec_lo
                                        ; implicit-def: $vgpr24
	v_cmpx_ne_u64_e32 0, v[54:55]
	s_xor_b32 s28, exec_lo, s28
; %bb.17937:                            ;   in Loop: Header=BB6_16763 Depth=2
	v_or_b32_e32 v24, 0x7f, v1
                                        ; implicit-def: $vgpr0
; %bb.17938:                            ;   in Loop: Header=BB6_16763 Depth=2
	s_and_not1_saveexec_b32 s28, s28
; %bb.17939:                            ;   in Loop: Header=BB6_16763 Depth=2
	v_cmp_lt_i32_e32 vcc_lo, -1, v0
	v_cndmask_b32_e32 v24, 0xfc, v30, vcc_lo
; %bb.17940:                            ;   in Loop: Header=BB6_16763 Depth=2
	s_or_b32 exec_lo, exec_lo, s28
.LBB6_17941:                            ;   in Loop: Header=BB6_16763 Depth=2
	s_delay_alu instid0(SALU_CYCLE_1)
	s_or_b32 exec_lo, exec_lo, s10
	v_mov_b32_e32 v1, 0
	s_mov_b32 s10, exec_lo
	v_cmpx_lt_u64_e64 s[12:13], v[10:11]
	s_cbranch_execz .LBB6_17951
; %bb.17942:                            ;   in Loop: Header=BB6_16763 Depth=2
	v_lshrrev_b32_e32 v0, 24, v11
	v_bfrev_b32_e32 v1, 1
	s_mov_b32 s28, exec_lo
	s_delay_alu instid0(VALU_DEP_2)
	v_cmpx_ne_u32_e32 0x80, v0
	s_cbranch_execz .LBB6_17950
; %bb.17943:                            ;   in Loop: Header=BB6_16763 Depth=2
	v_and_b32_e32 v1, 0x7c000000, v11
	v_bfe_u32 v2, v11, 24, 2
	s_delay_alu instid0(VALU_DEP_2) | instskip(SKIP_1) | instid1(SALU_CYCLE_1)
	v_cmp_ne_u32_e32 vcc_lo, 0x7c000000, v1
                                        ; implicit-def: $vgpr1
	s_and_saveexec_b32 s29, vcc_lo
	s_xor_b32 s29, exec_lo, s29
	s_cbranch_execz .LBB6_17947
; %bb.17944:                            ;   in Loop: Header=BB6_16763 Depth=2
	v_bfe_u32 v1, v11, 26, 5
	s_mov_b32 s40, exec_lo
	s_delay_alu instid0(VALU_DEP_1)
	v_cmpx_eq_u32_e32 0, v1
; %bb.17945:                            ;   in Loop: Header=BB6_16763 Depth=2
	v_clz_i32_u32_e32 v1, v2
	s_delay_alu instid0(VALU_DEP_1) | instskip(NEXT) | instid1(VALU_DEP_1)
	v_min_u32_e32 v2, 32, v1
	v_subrev_nc_u32_e32 v1, 29, v2
	s_delay_alu instid0(VALU_DEP_1) | instskip(NEXT) | instid1(VALU_DEP_1)
	v_lshlrev_b64_e32 v[0:1], v1, v[0:1]
	v_dual_sub_nc_u32 v1, 30, v2 :: v_dual_bitop2_b32 v2, 3, v0 bitop3:0x40
; %bb.17946:                            ;   in Loop: Header=BB6_16763 Depth=2
	s_or_b32 exec_lo, exec_lo, s40
	v_and_b32_e32 v0, 0x80000000, v11
	s_delay_alu instid0(VALU_DEP_1) | instskip(NEXT) | instid1(VALU_DEP_1)
	v_lshl_add_u32 v0, v1, 23, v0
	v_lshl_or_b32 v0, v2, 21, v0
                                        ; implicit-def: $vgpr2
	s_delay_alu instid0(VALU_DEP_1)
	v_add_nc_u32_e32 v1, 0x38000000, v0
.LBB6_17947:                            ;   in Loop: Header=BB6_16763 Depth=2
	s_and_not1_saveexec_b32 s29, s29
; %bb.17948:                            ;   in Loop: Header=BB6_16763 Depth=2
	v_cmp_lt_i64_e32 vcc_lo, -1, v[10:11]
	v_cndmask_b32_e32 v0, 0xff800000, v29, vcc_lo
	v_cmp_eq_u32_e32 vcc_lo, 0, v2
	s_delay_alu instid0(VALU_DEP_2)
	v_cndmask_b32_e32 v1, 0x7f800001, v0, vcc_lo
; %bb.17949:                            ;   in Loop: Header=BB6_16763 Depth=2
	s_or_b32 exec_lo, exec_lo, s29
.LBB6_17950:                            ;   in Loop: Header=BB6_16763 Depth=2
	s_delay_alu instid0(SALU_CYCLE_1)
	s_or_b32 exec_lo, exec_lo, s28
.LBB6_17951:                            ;   in Loop: Header=BB6_16763 Depth=2
	s_delay_alu instid0(SALU_CYCLE_1) | instskip(NEXT) | instid1(VALU_DEP_1)
	s_or_b32 exec_lo, exec_lo, s10
	v_dual_mul_f32 v0, s27, v1 :: v_dual_mov_b32 v3, v55
                                        ; implicit-def: $vgpr25
	s_mov_b32 s10, exec_lo
	s_delay_alu instid0(VALU_DEP_1) | instskip(SKIP_2) | instid1(VALU_DEP_3)
	v_and_b32_e32 v2, 0x7f800000, v0
	v_and_b32_e32 v54, 0x7fffff, v0
	v_lshrrev_b32_e32 v1, 24, v0
	v_cmpx_ne_u64_e32 0x7f800000, v[2:3]
	s_xor_b32 s28, exec_lo, s10
	s_cbranch_execz .LBB6_17965
; %bb.17952:                            ;   in Loop: Header=BB6_16763 Depth=2
	v_and_b32_e32 v2, 0x7fffffff, v0
	v_mov_b32_e32 v3, v55
	v_and_b32_e32 v5, 0x80, v1
                                        ; implicit-def: $vgpr25
	s_mov_b32 s10, exec_lo
	s_delay_alu instid0(VALU_DEP_2)
	v_cmpx_gt_u64_e32 0x47600001, v[2:3]
	s_xor_b32 s29, exec_lo, s10
	s_cbranch_execz .LBB6_17962
; %bb.17953:                            ;   in Loop: Header=BB6_16763 Depth=2
	v_mov_b32_e32 v25, 0
	s_mov_b32 s40, exec_lo
	v_cmpx_ne_u32_e32 0, v0
	s_cbranch_execz .LBB6_17961
; %bb.17954:                            ;   in Loop: Header=BB6_16763 Depth=2
	v_bfe_u32 v6, v0, 23, 8
	v_or_b32_e32 v2, 0x800000, v54
	s_mov_b32 s41, exec_lo
	s_delay_alu instid0(VALU_DEP_2) | instskip(SKIP_1) | instid1(VALU_DEP_2)
	v_dual_mov_b32 v3, v55 :: v_dual_sub_nc_u32 v0, 0x71, v6
	v_cmp_gt_u32_e32 vcc_lo, 0x72, v6
	v_cndmask_b32_e32 v0, 0, v0, vcc_lo
	v_cmp_eq_u32_e32 vcc_lo, 0, v6
	s_delay_alu instid0(VALU_DEP_2) | instskip(NEXT) | instid1(VALU_DEP_1)
	v_cndmask_b32_e64 v7, v0, 0x70, vcc_lo
	v_dual_cndmask_b32 v2, v2, v54, vcc_lo :: v_dual_add_nc_u32 v0, 21, v7
	v_add_nc_u32_e32 v8, 20, v7
	s_delay_alu instid0(VALU_DEP_2) | instskip(NEXT) | instid1(VALU_DEP_2)
	v_lshlrev_b64_e64 v[0:1], v0, -1
	v_lshlrev_b64_e64 v[8:9], v8, 1
	s_delay_alu instid0(VALU_DEP_2) | instskip(NEXT) | instid1(VALU_DEP_3)
	v_bfi_b32 v11, v1, 0, 0
	v_bfi_b32 v10, v0, 0, v2
	v_lshrrev_b64 v[0:1], v7, v[2:3]
	s_delay_alu instid0(VALU_DEP_1) | instskip(NEXT) | instid1(VALU_DEP_3)
	v_mov_b64_e32 v[2:3], v[0:1]
	v_cmpx_eq_u64_e64 v[10:11], v[8:9]
; %bb.17955:                            ;   in Loop: Header=BB6_16763 Depth=2
	v_bfe_u32 v2, v0, 21, 1
	v_mov_b32_e32 v3, v55
	s_delay_alu instid0(VALU_DEP_1) | instskip(NEXT) | instid1(VALU_DEP_1)
	v_add_nc_u64_e32 v[2:3], v[0:1], v[2:3]
	v_add_nc_u64_e32 v[2:3], -1, v[2:3]
; %bb.17956:                            ;   in Loop: Header=BB6_16763 Depth=2
	s_or_b32 exec_lo, exec_lo, s41
	v_add_nc_u32_e32 v1, 0xffffff81, v6
	v_lshrrev_b32_e32 v3, 23, v0
	s_mov_b32 s10, exec_lo
	s_delay_alu instid0(VALU_DEP_2) | instskip(NEXT) | instid1(VALU_DEP_1)
	v_cndmask_b32_e64 v1, v1, 0xffffff82, vcc_lo
	v_add3_u32 v3, v7, v1, v3
	v_and_b32_e32 v1, 0x1fffff, v2
                                        ; implicit-def: $vgpr2
	s_delay_alu instid0(VALU_DEP_1) | instskip(NEXT) | instid1(VALU_DEP_1)
	v_dual_add_nc_u32 v6, 14, v3 :: v_dual_add_nc_u32 v54, v1, v0
                                        ; implicit-def: $vgpr0_vgpr1
	v_cmpx_ne_u32_e32 0, v6
	s_xor_b32 s10, exec_lo, s10
; %bb.17957:                            ;   in Loop: Header=BB6_16763 Depth=2
	s_delay_alu instid0(VALU_DEP_2) | instskip(SKIP_1) | instid1(VALU_DEP_1)
	v_cmp_lt_u64_e32 vcc_lo, 0xffffff, v[54:55]
	v_add_nc_u32_e32 v0, 15, v3
	v_cndmask_b32_e32 v2, v6, v0, vcc_lo
	v_cndmask_b32_e64 v0, 0, 1, vcc_lo
	s_delay_alu instid0(VALU_DEP_1)
	v_lshrrev_b64 v[0:1], v0, v[54:55]
; %bb.17958:                            ;   in Loop: Header=BB6_16763 Depth=2
	s_and_not1_saveexec_b32 s10, s10
; %bb.17959:                            ;   in Loop: Header=BB6_16763 Depth=2
	v_mov_b64_e32 v[0:1], v[54:55]
	v_bfe_u32 v2, v54, 23, 1
; %bb.17960:                            ;   in Loop: Header=BB6_16763 Depth=2
	s_or_b32 exec_lo, exec_lo, s10
	s_delay_alu instid0(VALU_DEP_2) | instskip(NEXT) | instid1(VALU_DEP_2)
	v_lshrrev_b64 v[0:1], 21, v[0:1]
	v_cmp_gt_i32_e32 vcc_lo, 32, v2
	v_min_i32_e32 v3, 31, v2
	v_cmp_eq_u32_e64 s10, 0, v2
	s_delay_alu instid0(VALU_DEP_2) | instskip(SKIP_1) | instid1(VALU_DEP_2)
	v_dual_cndmask_b32 v1, 0, v1, vcc_lo :: v_dual_lshlrev_b32 v3, 2, v3
	v_cndmask_b32_e32 v0, 3, v0, vcc_lo
	v_and_b32_e32 v3, 0xfc, v3
	s_delay_alu instid0(VALU_DEP_2) | instskip(NEXT) | instid1(VALU_DEP_2)
	v_cmp_eq_u64_e32 vcc_lo, 0, v[0:1]
	v_and_or_b32 v0, v0, 3, v3
	s_and_b32 s10, s10, vcc_lo
	s_delay_alu instid0(VALU_DEP_1) | instid1(SALU_CYCLE_1)
	v_cndmask_b32_e64 v0, v0, 0, s10
	s_delay_alu instid0(VALU_DEP_1)
	v_or_b32_e32 v25, v0, v5
.LBB6_17961:                            ;   in Loop: Header=BB6_16763 Depth=2
	s_or_b32 exec_lo, exec_lo, s40
                                        ; implicit-def: $vgpr5
.LBB6_17962:                            ;   in Loop: Header=BB6_16763 Depth=2
	s_and_not1_saveexec_b32 s10, s29
; %bb.17963:                            ;   in Loop: Header=BB6_16763 Depth=2
	v_or_b32_e32 v25, 0x7b, v5
; %bb.17964:                            ;   in Loop: Header=BB6_16763 Depth=2
	s_or_b32 exec_lo, exec_lo, s10
                                        ; implicit-def: $vgpr0
                                        ; implicit-def: $vgpr1
.LBB6_17965:                            ;   in Loop: Header=BB6_16763 Depth=2
	s_and_not1_saveexec_b32 s10, s28
	s_cbranch_execz .LBB6_17971
; %bb.17966:                            ;   in Loop: Header=BB6_16763 Depth=2
	s_mov_b32 s28, exec_lo
                                        ; implicit-def: $vgpr25
	v_cmpx_ne_u64_e32 0, v[54:55]
	s_xor_b32 s28, exec_lo, s28
; %bb.17967:                            ;   in Loop: Header=BB6_16763 Depth=2
	v_or_b32_e32 v25, 0x7f, v1
                                        ; implicit-def: $vgpr0
; %bb.17968:                            ;   in Loop: Header=BB6_16763 Depth=2
	s_and_not1_saveexec_b32 s28, s28
; %bb.17969:                            ;   in Loop: Header=BB6_16763 Depth=2
	v_cmp_lt_i32_e32 vcc_lo, -1, v0
	v_cndmask_b32_e32 v25, 0xfc, v30, vcc_lo
; %bb.17970:                            ;   in Loop: Header=BB6_16763 Depth=2
	s_or_b32 exec_lo, exec_lo, s28
.LBB6_17971:                            ;   in Loop: Header=BB6_16763 Depth=2
	s_delay_alu instid0(SALU_CYCLE_1) | instskip(SKIP_1) | instid1(VALU_DEP_1)
	s_or_b32 exec_lo, exec_lo, s10
	v_and_b32_e32 v0, 0xff, v12
	v_cmp_ne_u16_e32 vcc_lo, 0, v0
	v_mov_b32_e32 v0, 0
	s_and_saveexec_b32 s10, vcc_lo
	s_cbranch_execz .LBB6_17981
; %bb.17972:                            ;   in Loop: Header=BB6_16763 Depth=2
	v_bfe_i32 v2, v12, 0, 8
	v_bfrev_b32_e32 v0, 1
	s_mov_b32 s28, exec_lo
	s_delay_alu instid0(VALU_DEP_2)
	v_cmpx_ne_u16_e32 0xff80, v2
	s_cbranch_execz .LBB6_17980
; %bb.17973:                            ;   in Loop: Header=BB6_16763 Depth=2
	v_and_b32_e32 v0, 0x7c, v12
	v_and_b32_e32 v1, 3, v12
	s_delay_alu instid0(VALU_DEP_2) | instskip(SKIP_1) | instid1(SALU_CYCLE_1)
	v_cmp_ne_u32_e32 vcc_lo, 0x7c, v0
                                        ; implicit-def: $vgpr0
	s_and_saveexec_b32 s29, vcc_lo
	s_xor_b32 s29, exec_lo, s29
	s_cbranch_execz .LBB6_17977
; %bb.17974:                            ;   in Loop: Header=BB6_16763 Depth=2
	v_bfe_u32 v0, v12, 2, 5
	s_mov_b32 s40, exec_lo
	s_delay_alu instid0(VALU_DEP_1)
	v_cmpx_eq_u32_e32 0, v0
; %bb.17975:                            ;   in Loop: Header=BB6_16763 Depth=2
	v_clz_i32_u32_e32 v0, v1
	s_delay_alu instid0(VALU_DEP_1) | instskip(NEXT) | instid1(VALU_DEP_1)
	v_min_u32_e32 v0, 32, v0
	v_subrev_nc_u32_e32 v1, 29, v0
	s_delay_alu instid0(VALU_DEP_1) | instskip(NEXT) | instid1(VALU_DEP_1)
	v_lshlrev_b64_e32 v[2:3], v1, v[12:13]
	v_dual_sub_nc_u32 v0, 30, v0 :: v_dual_bitop2_b32 v1, 3, v2 bitop3:0x40
; %bb.17976:                            ;   in Loop: Header=BB6_16763 Depth=2
	s_or_b32 exec_lo, exec_lo, s40
	v_lshlrev_b32_e32 v2, 24, v12
	s_delay_alu instid0(VALU_DEP_1) | instskip(NEXT) | instid1(VALU_DEP_1)
	v_and_b32_e32 v2, 0x80000000, v2
	v_lshl_add_u32 v0, v0, 23, v2
                                        ; implicit-def: $vgpr2
	s_delay_alu instid0(VALU_DEP_1) | instskip(NEXT) | instid1(VALU_DEP_1)
	v_lshl_or_b32 v0, v1, 21, v0
                                        ; implicit-def: $vgpr1
	v_add_nc_u32_e32 v0, 0x38000000, v0
.LBB6_17977:                            ;   in Loop: Header=BB6_16763 Depth=2
	s_and_not1_saveexec_b32 s29, s29
; %bb.17978:                            ;   in Loop: Header=BB6_16763 Depth=2
	v_cmp_lt_i16_e32 vcc_lo, -1, v2
	v_cndmask_b32_e32 v0, 0xff800000, v29, vcc_lo
	v_cmp_eq_u32_e32 vcc_lo, 0, v1
	s_delay_alu instid0(VALU_DEP_2)
	v_cndmask_b32_e32 v0, 0x7f800001, v0, vcc_lo
; %bb.17979:                            ;   in Loop: Header=BB6_16763 Depth=2
	s_or_b32 exec_lo, exec_lo, s29
.LBB6_17980:                            ;   in Loop: Header=BB6_16763 Depth=2
	s_delay_alu instid0(SALU_CYCLE_1)
	s_or_b32 exec_lo, exec_lo, s28
.LBB6_17981:                            ;   in Loop: Header=BB6_16763 Depth=2
	s_delay_alu instid0(SALU_CYCLE_1) | instskip(NEXT) | instid1(VALU_DEP_1)
	s_or_b32 exec_lo, exec_lo, s10
	v_dual_mul_f32 v0, s27, v0 :: v_dual_mov_b32 v3, v55
                                        ; implicit-def: $vgpr57
	s_mov_b32 s10, exec_lo
	s_delay_alu instid0(VALU_DEP_1) | instskip(SKIP_2) | instid1(VALU_DEP_3)
	v_and_b32_e32 v2, 0x7f800000, v0
	v_and_b32_e32 v54, 0x7fffff, v0
	v_lshrrev_b32_e32 v1, 24, v0
	v_cmpx_ne_u64_e32 0x7f800000, v[2:3]
	s_xor_b32 s28, exec_lo, s10
	s_cbranch_execz .LBB6_17995
; %bb.17982:                            ;   in Loop: Header=BB6_16763 Depth=2
	v_and_b32_e32 v2, 0x7fffffff, v0
	v_mov_b32_e32 v3, v55
	v_and_b32_e32 v5, 0x80, v1
                                        ; implicit-def: $vgpr57
	s_mov_b32 s10, exec_lo
	s_delay_alu instid0(VALU_DEP_2)
	v_cmpx_gt_u64_e32 0x47600001, v[2:3]
	s_xor_b32 s29, exec_lo, s10
	s_cbranch_execz .LBB6_17992
; %bb.17983:                            ;   in Loop: Header=BB6_16763 Depth=2
	v_mov_b32_e32 v57, 0
	s_mov_b32 s40, exec_lo
	v_cmpx_ne_u32_e32 0, v0
	s_cbranch_execz .LBB6_17991
; %bb.17984:                            ;   in Loop: Header=BB6_16763 Depth=2
	v_bfe_u32 v6, v0, 23, 8
	v_or_b32_e32 v2, 0x800000, v54
	s_mov_b32 s41, exec_lo
	s_delay_alu instid0(VALU_DEP_2) | instskip(SKIP_1) | instid1(VALU_DEP_2)
	v_dual_mov_b32 v3, v55 :: v_dual_sub_nc_u32 v0, 0x71, v6
	v_cmp_gt_u32_e32 vcc_lo, 0x72, v6
	v_cndmask_b32_e32 v0, 0, v0, vcc_lo
	v_cmp_eq_u32_e32 vcc_lo, 0, v6
	s_delay_alu instid0(VALU_DEP_2) | instskip(NEXT) | instid1(VALU_DEP_1)
	v_cndmask_b32_e64 v7, v0, 0x70, vcc_lo
	v_dual_cndmask_b32 v2, v2, v54, vcc_lo :: v_dual_add_nc_u32 v0, 21, v7
	v_add_nc_u32_e32 v8, 20, v7
	s_delay_alu instid0(VALU_DEP_2) | instskip(NEXT) | instid1(VALU_DEP_2)
	v_lshlrev_b64_e64 v[0:1], v0, -1
	v_lshlrev_b64_e64 v[8:9], v8, 1
	s_delay_alu instid0(VALU_DEP_2) | instskip(NEXT) | instid1(VALU_DEP_3)
	v_bfi_b32 v11, v1, 0, 0
	v_bfi_b32 v10, v0, 0, v2
	v_lshrrev_b64 v[0:1], v7, v[2:3]
	s_delay_alu instid0(VALU_DEP_1) | instskip(NEXT) | instid1(VALU_DEP_3)
	v_mov_b64_e32 v[2:3], v[0:1]
	v_cmpx_eq_u64_e64 v[10:11], v[8:9]
; %bb.17985:                            ;   in Loop: Header=BB6_16763 Depth=2
	v_bfe_u32 v2, v0, 21, 1
	v_mov_b32_e32 v3, v55
	s_delay_alu instid0(VALU_DEP_1) | instskip(NEXT) | instid1(VALU_DEP_1)
	v_add_nc_u64_e32 v[2:3], v[0:1], v[2:3]
	v_add_nc_u64_e32 v[2:3], -1, v[2:3]
; %bb.17986:                            ;   in Loop: Header=BB6_16763 Depth=2
	s_or_b32 exec_lo, exec_lo, s41
	v_add_nc_u32_e32 v1, 0xffffff81, v6
	v_lshrrev_b32_e32 v3, 23, v0
	s_mov_b32 s10, exec_lo
	s_delay_alu instid0(VALU_DEP_2) | instskip(NEXT) | instid1(VALU_DEP_1)
	v_cndmask_b32_e64 v1, v1, 0xffffff82, vcc_lo
	v_add3_u32 v3, v7, v1, v3
	v_and_b32_e32 v1, 0x1fffff, v2
                                        ; implicit-def: $vgpr2
	s_delay_alu instid0(VALU_DEP_1) | instskip(NEXT) | instid1(VALU_DEP_1)
	v_dual_add_nc_u32 v6, 14, v3 :: v_dual_add_nc_u32 v54, v1, v0
                                        ; implicit-def: $vgpr0_vgpr1
	v_cmpx_ne_u32_e32 0, v6
	s_xor_b32 s10, exec_lo, s10
; %bb.17987:                            ;   in Loop: Header=BB6_16763 Depth=2
	s_delay_alu instid0(VALU_DEP_2) | instskip(SKIP_1) | instid1(VALU_DEP_1)
	v_cmp_lt_u64_e32 vcc_lo, 0xffffff, v[54:55]
	v_add_nc_u32_e32 v0, 15, v3
	v_cndmask_b32_e32 v2, v6, v0, vcc_lo
	v_cndmask_b32_e64 v0, 0, 1, vcc_lo
	s_delay_alu instid0(VALU_DEP_1)
	v_lshrrev_b64 v[0:1], v0, v[54:55]
; %bb.17988:                            ;   in Loop: Header=BB6_16763 Depth=2
	s_and_not1_saveexec_b32 s10, s10
; %bb.17989:                            ;   in Loop: Header=BB6_16763 Depth=2
	v_mov_b64_e32 v[0:1], v[54:55]
	v_bfe_u32 v2, v54, 23, 1
; %bb.17990:                            ;   in Loop: Header=BB6_16763 Depth=2
	s_or_b32 exec_lo, exec_lo, s10
	s_delay_alu instid0(VALU_DEP_2) | instskip(NEXT) | instid1(VALU_DEP_2)
	v_lshrrev_b64 v[0:1], 21, v[0:1]
	v_cmp_gt_i32_e32 vcc_lo, 32, v2
	v_min_i32_e32 v3, 31, v2
	v_cmp_eq_u32_e64 s10, 0, v2
	s_delay_alu instid0(VALU_DEP_2) | instskip(SKIP_1) | instid1(VALU_DEP_2)
	v_dual_cndmask_b32 v1, 0, v1, vcc_lo :: v_dual_lshlrev_b32 v3, 2, v3
	v_cndmask_b32_e32 v0, 3, v0, vcc_lo
	v_and_b32_e32 v3, 0xfc, v3
	s_delay_alu instid0(VALU_DEP_2) | instskip(NEXT) | instid1(VALU_DEP_2)
	v_cmp_eq_u64_e32 vcc_lo, 0, v[0:1]
	v_and_or_b32 v0, v0, 3, v3
	s_and_b32 s10, s10, vcc_lo
	s_delay_alu instid0(VALU_DEP_1) | instid1(SALU_CYCLE_1)
	v_cndmask_b32_e64 v0, v0, 0, s10
	s_delay_alu instid0(VALU_DEP_1)
	v_or_b32_e32 v57, v0, v5
.LBB6_17991:                            ;   in Loop: Header=BB6_16763 Depth=2
	s_or_b32 exec_lo, exec_lo, s40
                                        ; implicit-def: $vgpr5
.LBB6_17992:                            ;   in Loop: Header=BB6_16763 Depth=2
	s_and_not1_saveexec_b32 s10, s29
; %bb.17993:                            ;   in Loop: Header=BB6_16763 Depth=2
	v_or_b32_e32 v57, 0x7b, v5
; %bb.17994:                            ;   in Loop: Header=BB6_16763 Depth=2
	s_or_b32 exec_lo, exec_lo, s10
                                        ; implicit-def: $vgpr0
                                        ; implicit-def: $vgpr1
.LBB6_17995:                            ;   in Loop: Header=BB6_16763 Depth=2
	s_and_not1_saveexec_b32 s10, s28
	s_cbranch_execz .LBB6_18001
; %bb.17996:                            ;   in Loop: Header=BB6_16763 Depth=2
	s_mov_b32 s28, exec_lo
                                        ; implicit-def: $vgpr57
	v_cmpx_ne_u64_e32 0, v[54:55]
	s_xor_b32 s28, exec_lo, s28
; %bb.17997:                            ;   in Loop: Header=BB6_16763 Depth=2
	v_or_b32_e32 v57, 0x7f, v1
                                        ; implicit-def: $vgpr0
; %bb.17998:                            ;   in Loop: Header=BB6_16763 Depth=2
	s_and_not1_saveexec_b32 s28, s28
; %bb.17999:                            ;   in Loop: Header=BB6_16763 Depth=2
	v_cmp_lt_i32_e32 vcc_lo, -1, v0
	v_cndmask_b32_e32 v57, 0xfc, v30, vcc_lo
; %bb.18000:                            ;   in Loop: Header=BB6_16763 Depth=2
	s_or_b32 exec_lo, exec_lo, s28
.LBB6_18001:                            ;   in Loop: Header=BB6_16763 Depth=2
	s_delay_alu instid0(SALU_CYCLE_1) | instskip(SKIP_3) | instid1(VALU_DEP_2)
	s_or_b32 exec_lo, exec_lo, s10
	v_lshrrev_b16 v0, 8, v12
	v_mov_b32_e32 v2, 0
	s_mov_b32 s10, exec_lo
	v_cmpx_ne_u16_e32 0, v0
	s_cbranch_execz .LBB6_18011
; %bb.18002:                            ;   in Loop: Header=BB6_16763 Depth=2
	v_bfrev_b32_e32 v2, 1
	s_mov_b32 s28, exec_lo
	v_cmpx_ne_u16_e32 0x80, v0
	s_cbranch_execz .LBB6_18010
; %bb.18003:                            ;   in Loop: Header=BB6_16763 Depth=2
	v_and_b32_e32 v3, 0xffff, v0
	s_delay_alu instid0(VALU_DEP_1) | instskip(SKIP_1) | instid1(VALU_DEP_2)
	v_and_b32_e32 v2, 0x7c, v3
	v_and_b32_e32 v1, 3, v3
	v_cmp_ne_u32_e32 vcc_lo, 0x7c, v2
                                        ; implicit-def: $vgpr2
	s_and_saveexec_b32 s29, vcc_lo
	s_delay_alu instid0(SALU_CYCLE_1)
	s_xor_b32 s29, exec_lo, s29
	s_cbranch_execz .LBB6_18007
; %bb.18004:                            ;   in Loop: Header=BB6_16763 Depth=2
	v_bfe_u32 v2, v3, 2, 5
	s_mov_b32 s40, exec_lo
	s_delay_alu instid0(VALU_DEP_1)
	v_cmpx_eq_u32_e32 0, v2
	s_cbranch_execz .LBB6_18006
; %bb.18005:                            ;   in Loop: Header=BB6_16763 Depth=2
	v_clz_i32_u32_e32 v1, v1
	s_delay_alu instid0(VALU_DEP_1) | instskip(SKIP_1) | instid1(VALU_DEP_2)
	v_min_u32_e32 v2, 32, v1
	v_mov_b32_e32 v1, v55
	v_subrev_nc_u32_e32 v3, 29, v2
	v_sub_nc_u32_e32 v2, 30, v2
	s_delay_alu instid0(VALU_DEP_2) | instskip(NEXT) | instid1(VALU_DEP_1)
	v_lshlrev_b64_e32 v[0:1], v3, v[0:1]
	v_and_b32_e32 v1, 3, v0
.LBB6_18006:                            ;   in Loop: Header=BB6_16763 Depth=2
	s_or_b32 exec_lo, exec_lo, s40
	v_lshlrev_b32_e32 v0, 16, v12
	s_delay_alu instid0(VALU_DEP_1) | instskip(NEXT) | instid1(VALU_DEP_1)
	v_and_b32_e32 v0, 0x80000000, v0
	v_lshl_add_u32 v0, v2, 23, v0
	s_delay_alu instid0(VALU_DEP_1) | instskip(NEXT) | instid1(VALU_DEP_1)
	v_lshl_or_b32 v0, v1, 21, v0
                                        ; implicit-def: $vgpr1
	v_add_nc_u32_e32 v2, 0x38000000, v0
.LBB6_18007:                            ;   in Loop: Header=BB6_16763 Depth=2
	s_and_not1_saveexec_b32 s29, s29
; %bb.18008:                            ;   in Loop: Header=BB6_16763 Depth=2
	v_cmp_lt_i16_e32 vcc_lo, -1, v12
	v_cndmask_b32_e32 v0, 0xff800000, v29, vcc_lo
	v_cmp_eq_u32_e32 vcc_lo, 0, v1
	s_delay_alu instid0(VALU_DEP_2)
	v_cndmask_b32_e32 v2, 0x7f800001, v0, vcc_lo
; %bb.18009:                            ;   in Loop: Header=BB6_16763 Depth=2
	s_or_b32 exec_lo, exec_lo, s29
.LBB6_18010:                            ;   in Loop: Header=BB6_16763 Depth=2
	s_delay_alu instid0(SALU_CYCLE_1)
	s_or_b32 exec_lo, exec_lo, s28
.LBB6_18011:                            ;   in Loop: Header=BB6_16763 Depth=2
	s_delay_alu instid0(SALU_CYCLE_1) | instskip(NEXT) | instid1(VALU_DEP_1)
	s_or_b32 exec_lo, exec_lo, s10
	v_dual_mul_f32 v0, s27, v2 :: v_dual_mov_b32 v3, v55
                                        ; implicit-def: $vgpr58
	s_mov_b32 s10, exec_lo
	s_delay_alu instid0(VALU_DEP_1) | instskip(SKIP_2) | instid1(VALU_DEP_3)
	v_and_b32_e32 v2, 0x7f800000, v0
	v_and_b32_e32 v54, 0x7fffff, v0
	v_lshrrev_b32_e32 v1, 24, v0
	v_cmpx_ne_u64_e32 0x7f800000, v[2:3]
	s_xor_b32 s28, exec_lo, s10
	s_cbranch_execz .LBB6_18025
; %bb.18012:                            ;   in Loop: Header=BB6_16763 Depth=2
	v_and_b32_e32 v2, 0x7fffffff, v0
	v_mov_b32_e32 v3, v55
	v_and_b32_e32 v5, 0x80, v1
                                        ; implicit-def: $vgpr58
	s_mov_b32 s10, exec_lo
	s_delay_alu instid0(VALU_DEP_2)
	v_cmpx_gt_u64_e32 0x47600001, v[2:3]
	s_xor_b32 s29, exec_lo, s10
	s_cbranch_execz .LBB6_18022
; %bb.18013:                            ;   in Loop: Header=BB6_16763 Depth=2
	v_mov_b32_e32 v58, 0
	s_mov_b32 s40, exec_lo
	v_cmpx_ne_u32_e32 0, v0
	s_cbranch_execz .LBB6_18021
; %bb.18014:                            ;   in Loop: Header=BB6_16763 Depth=2
	v_bfe_u32 v6, v0, 23, 8
	v_or_b32_e32 v2, 0x800000, v54
	s_mov_b32 s41, exec_lo
	s_delay_alu instid0(VALU_DEP_2) | instskip(SKIP_1) | instid1(VALU_DEP_2)
	v_dual_mov_b32 v3, v55 :: v_dual_sub_nc_u32 v0, 0x71, v6
	v_cmp_gt_u32_e32 vcc_lo, 0x72, v6
	v_cndmask_b32_e32 v0, 0, v0, vcc_lo
	v_cmp_eq_u32_e32 vcc_lo, 0, v6
	s_delay_alu instid0(VALU_DEP_2) | instskip(NEXT) | instid1(VALU_DEP_1)
	v_cndmask_b32_e64 v7, v0, 0x70, vcc_lo
	v_dual_cndmask_b32 v2, v2, v54, vcc_lo :: v_dual_add_nc_u32 v0, 21, v7
	v_add_nc_u32_e32 v8, 20, v7
	s_delay_alu instid0(VALU_DEP_2) | instskip(NEXT) | instid1(VALU_DEP_2)
	v_lshlrev_b64_e64 v[0:1], v0, -1
	v_lshlrev_b64_e64 v[8:9], v8, 1
	s_delay_alu instid0(VALU_DEP_2) | instskip(NEXT) | instid1(VALU_DEP_3)
	v_bfi_b32 v11, v1, 0, 0
	v_bfi_b32 v10, v0, 0, v2
	v_lshrrev_b64 v[0:1], v7, v[2:3]
	s_delay_alu instid0(VALU_DEP_1) | instskip(NEXT) | instid1(VALU_DEP_3)
	v_mov_b64_e32 v[2:3], v[0:1]
	v_cmpx_eq_u64_e64 v[10:11], v[8:9]
; %bb.18015:                            ;   in Loop: Header=BB6_16763 Depth=2
	v_bfe_u32 v2, v0, 21, 1
	v_mov_b32_e32 v3, v55
	s_delay_alu instid0(VALU_DEP_1) | instskip(NEXT) | instid1(VALU_DEP_1)
	v_add_nc_u64_e32 v[2:3], v[0:1], v[2:3]
	v_add_nc_u64_e32 v[2:3], -1, v[2:3]
; %bb.18016:                            ;   in Loop: Header=BB6_16763 Depth=2
	s_or_b32 exec_lo, exec_lo, s41
	v_add_nc_u32_e32 v1, 0xffffff81, v6
	v_lshrrev_b32_e32 v3, 23, v0
	s_mov_b32 s10, exec_lo
	s_delay_alu instid0(VALU_DEP_2) | instskip(NEXT) | instid1(VALU_DEP_1)
	v_cndmask_b32_e64 v1, v1, 0xffffff82, vcc_lo
	v_add3_u32 v3, v7, v1, v3
	v_and_b32_e32 v1, 0x1fffff, v2
                                        ; implicit-def: $vgpr2
	s_delay_alu instid0(VALU_DEP_1) | instskip(NEXT) | instid1(VALU_DEP_1)
	v_dual_add_nc_u32 v6, 14, v3 :: v_dual_add_nc_u32 v54, v1, v0
                                        ; implicit-def: $vgpr0_vgpr1
	v_cmpx_ne_u32_e32 0, v6
	s_xor_b32 s10, exec_lo, s10
; %bb.18017:                            ;   in Loop: Header=BB6_16763 Depth=2
	s_delay_alu instid0(VALU_DEP_2) | instskip(SKIP_1) | instid1(VALU_DEP_1)
	v_cmp_lt_u64_e32 vcc_lo, 0xffffff, v[54:55]
	v_add_nc_u32_e32 v0, 15, v3
	v_cndmask_b32_e32 v2, v6, v0, vcc_lo
	v_cndmask_b32_e64 v0, 0, 1, vcc_lo
	s_delay_alu instid0(VALU_DEP_1)
	v_lshrrev_b64 v[0:1], v0, v[54:55]
; %bb.18018:                            ;   in Loop: Header=BB6_16763 Depth=2
	s_and_not1_saveexec_b32 s10, s10
; %bb.18019:                            ;   in Loop: Header=BB6_16763 Depth=2
	v_mov_b64_e32 v[0:1], v[54:55]
	v_bfe_u32 v2, v54, 23, 1
; %bb.18020:                            ;   in Loop: Header=BB6_16763 Depth=2
	s_or_b32 exec_lo, exec_lo, s10
	s_delay_alu instid0(VALU_DEP_2) | instskip(NEXT) | instid1(VALU_DEP_2)
	v_lshrrev_b64 v[0:1], 21, v[0:1]
	v_cmp_gt_i32_e32 vcc_lo, 32, v2
	v_min_i32_e32 v3, 31, v2
	v_cmp_eq_u32_e64 s10, 0, v2
	s_delay_alu instid0(VALU_DEP_2) | instskip(SKIP_1) | instid1(VALU_DEP_2)
	v_dual_cndmask_b32 v1, 0, v1, vcc_lo :: v_dual_lshlrev_b32 v3, 2, v3
	v_cndmask_b32_e32 v0, 3, v0, vcc_lo
	v_and_b32_e32 v3, 0xfc, v3
	s_delay_alu instid0(VALU_DEP_2) | instskip(NEXT) | instid1(VALU_DEP_2)
	v_cmp_eq_u64_e32 vcc_lo, 0, v[0:1]
	v_and_or_b32 v0, v0, 3, v3
	s_and_b32 s10, s10, vcc_lo
	s_delay_alu instid0(VALU_DEP_1) | instid1(SALU_CYCLE_1)
	v_cndmask_b32_e64 v0, v0, 0, s10
	s_delay_alu instid0(VALU_DEP_1)
	v_or_b32_e32 v58, v0, v5
.LBB6_18021:                            ;   in Loop: Header=BB6_16763 Depth=2
	s_or_b32 exec_lo, exec_lo, s40
                                        ; implicit-def: $vgpr5
.LBB6_18022:                            ;   in Loop: Header=BB6_16763 Depth=2
	s_and_not1_saveexec_b32 s10, s29
; %bb.18023:                            ;   in Loop: Header=BB6_16763 Depth=2
	v_or_b32_e32 v58, 0x7b, v5
; %bb.18024:                            ;   in Loop: Header=BB6_16763 Depth=2
	s_or_b32 exec_lo, exec_lo, s10
                                        ; implicit-def: $vgpr0
                                        ; implicit-def: $vgpr1
.LBB6_18025:                            ;   in Loop: Header=BB6_16763 Depth=2
	s_and_not1_saveexec_b32 s10, s28
	s_cbranch_execz .LBB6_18031
; %bb.18026:                            ;   in Loop: Header=BB6_16763 Depth=2
	s_mov_b32 s28, exec_lo
                                        ; implicit-def: $vgpr58
	v_cmpx_ne_u64_e32 0, v[54:55]
	s_xor_b32 s28, exec_lo, s28
; %bb.18027:                            ;   in Loop: Header=BB6_16763 Depth=2
	v_or_b32_e32 v58, 0x7f, v1
                                        ; implicit-def: $vgpr0
; %bb.18028:                            ;   in Loop: Header=BB6_16763 Depth=2
	s_and_not1_saveexec_b32 s28, s28
; %bb.18029:                            ;   in Loop: Header=BB6_16763 Depth=2
	v_cmp_lt_i32_e32 vcc_lo, -1, v0
	v_cndmask_b32_e32 v58, 0xfc, v30, vcc_lo
; %bb.18030:                            ;   in Loop: Header=BB6_16763 Depth=2
	s_or_b32 exec_lo, exec_lo, s28
.LBB6_18031:                            ;   in Loop: Header=BB6_16763 Depth=2
	s_delay_alu instid0(SALU_CYCLE_1) | instskip(SKIP_2) | instid1(VALU_DEP_1)
	s_or_b32 exec_lo, exec_lo, s10
	v_dual_lshrrev_b32 v0, 16, v12 :: v_dual_mov_b32 v2, 0
	s_mov_b32 s10, exec_lo
	v_and_b32_e32 v1, 0xff, v0
	s_delay_alu instid0(VALU_DEP_1)
	v_cmpx_ne_u16_e32 0, v1
	s_cbranch_execz .LBB6_18041
; %bb.18032:                            ;   in Loop: Header=BB6_16763 Depth=2
	v_bfrev_b32_e32 v2, 1
	s_mov_b32 s28, exec_lo
	v_cmpx_ne_u16_e32 0x80, v1
	s_cbranch_execz .LBB6_18040
; %bb.18033:                            ;   in Loop: Header=BB6_16763 Depth=2
	v_and_b32_e32 v2, 0x7c0000, v12
	v_bfe_u32 v1, v12, 16, 2
	s_delay_alu instid0(VALU_DEP_2) | instskip(SKIP_1) | instid1(SALU_CYCLE_1)
	v_cmp_ne_u32_e32 vcc_lo, 0x7c0000, v2
                                        ; implicit-def: $vgpr2
	s_and_saveexec_b32 s29, vcc_lo
	s_xor_b32 s29, exec_lo, s29
	s_cbranch_execz .LBB6_18037
; %bb.18034:                            ;   in Loop: Header=BB6_16763 Depth=2
	v_bfe_u32 v2, v12, 18, 5
	s_mov_b32 s40, exec_lo
	s_delay_alu instid0(VALU_DEP_1)
	v_cmpx_eq_u32_e32 0, v2
; %bb.18035:                            ;   in Loop: Header=BB6_16763 Depth=2
	v_clz_i32_u32_e32 v1, v1
	s_delay_alu instid0(VALU_DEP_1) | instskip(NEXT) | instid1(VALU_DEP_1)
	v_min_u32_e32 v1, 32, v1
	v_subrev_nc_u32_e32 v2, 29, v1
	s_delay_alu instid0(VALU_DEP_1) | instskip(NEXT) | instid1(VALU_DEP_1)
	v_lshlrev_b64_e32 v[6:7], v2, v[0:1]
	v_dual_sub_nc_u32 v2, 30, v1 :: v_dual_bitop2_b32 v1, 3, v6 bitop3:0x40
; %bb.18036:                            ;   in Loop: Header=BB6_16763 Depth=2
	s_or_b32 exec_lo, exec_lo, s40
	v_lshlrev_b32_e32 v0, 24, v0
	s_delay_alu instid0(VALU_DEP_1) | instskip(NEXT) | instid1(VALU_DEP_1)
	v_and_b32_e32 v0, 0x80000000, v0
	v_lshl_add_u32 v0, v2, 23, v0
	s_delay_alu instid0(VALU_DEP_1) | instskip(NEXT) | instid1(VALU_DEP_1)
	v_lshl_or_b32 v0, v1, 21, v0
                                        ; implicit-def: $vgpr1
	v_add_nc_u32_e32 v2, 0x38000000, v0
                                        ; implicit-def: $vgpr0
.LBB6_18037:                            ;   in Loop: Header=BB6_16763 Depth=2
	s_and_not1_saveexec_b32 s29, s29
; %bb.18038:                            ;   in Loop: Header=BB6_16763 Depth=2
	v_bfe_i32 v0, v0, 0, 8
	s_delay_alu instid0(VALU_DEP_1) | instskip(SKIP_2) | instid1(VALU_DEP_2)
	v_cmp_lt_i16_e32 vcc_lo, -1, v0
	v_cndmask_b32_e32 v0, 0xff800000, v29, vcc_lo
	v_cmp_eq_u32_e32 vcc_lo, 0, v1
	v_cndmask_b32_e32 v2, 0x7f800001, v0, vcc_lo
; %bb.18039:                            ;   in Loop: Header=BB6_16763 Depth=2
	s_or_b32 exec_lo, exec_lo, s29
.LBB6_18040:                            ;   in Loop: Header=BB6_16763 Depth=2
	s_delay_alu instid0(SALU_CYCLE_1)
	s_or_b32 exec_lo, exec_lo, s28
.LBB6_18041:                            ;   in Loop: Header=BB6_16763 Depth=2
	s_delay_alu instid0(SALU_CYCLE_1) | instskip(NEXT) | instid1(VALU_DEP_1)
	s_or_b32 exec_lo, exec_lo, s10
	v_dual_mul_f32 v0, s27, v2 :: v_dual_mov_b32 v3, v55
                                        ; implicit-def: $vgpr59
	s_mov_b32 s10, exec_lo
	s_delay_alu instid0(VALU_DEP_1) | instskip(SKIP_2) | instid1(VALU_DEP_3)
	v_and_b32_e32 v2, 0x7f800000, v0
	v_and_b32_e32 v54, 0x7fffff, v0
	v_lshrrev_b32_e32 v1, 24, v0
	v_cmpx_ne_u64_e32 0x7f800000, v[2:3]
	s_xor_b32 s28, exec_lo, s10
	s_cbranch_execz .LBB6_18055
; %bb.18042:                            ;   in Loop: Header=BB6_16763 Depth=2
	v_and_b32_e32 v2, 0x7fffffff, v0
	v_mov_b32_e32 v3, v55
	v_and_b32_e32 v5, 0x80, v1
                                        ; implicit-def: $vgpr59
	s_mov_b32 s10, exec_lo
	s_delay_alu instid0(VALU_DEP_2)
	v_cmpx_gt_u64_e32 0x47600001, v[2:3]
	s_xor_b32 s29, exec_lo, s10
	s_cbranch_execz .LBB6_18052
; %bb.18043:                            ;   in Loop: Header=BB6_16763 Depth=2
	v_mov_b32_e32 v59, 0
	s_mov_b32 s40, exec_lo
	v_cmpx_ne_u32_e32 0, v0
	s_cbranch_execz .LBB6_18051
; %bb.18044:                            ;   in Loop: Header=BB6_16763 Depth=2
	v_bfe_u32 v6, v0, 23, 8
	v_or_b32_e32 v2, 0x800000, v54
	s_mov_b32 s41, exec_lo
	s_delay_alu instid0(VALU_DEP_2) | instskip(SKIP_1) | instid1(VALU_DEP_2)
	v_dual_mov_b32 v3, v55 :: v_dual_sub_nc_u32 v0, 0x71, v6
	v_cmp_gt_u32_e32 vcc_lo, 0x72, v6
	v_cndmask_b32_e32 v0, 0, v0, vcc_lo
	v_cmp_eq_u32_e32 vcc_lo, 0, v6
	s_delay_alu instid0(VALU_DEP_2) | instskip(NEXT) | instid1(VALU_DEP_1)
	v_cndmask_b32_e64 v7, v0, 0x70, vcc_lo
	v_dual_cndmask_b32 v2, v2, v54, vcc_lo :: v_dual_add_nc_u32 v0, 21, v7
	v_add_nc_u32_e32 v8, 20, v7
	s_delay_alu instid0(VALU_DEP_2) | instskip(NEXT) | instid1(VALU_DEP_2)
	v_lshlrev_b64_e64 v[0:1], v0, -1
	v_lshlrev_b64_e64 v[8:9], v8, 1
	s_delay_alu instid0(VALU_DEP_2) | instskip(NEXT) | instid1(VALU_DEP_3)
	v_bfi_b32 v11, v1, 0, 0
	v_bfi_b32 v10, v0, 0, v2
	v_lshrrev_b64 v[0:1], v7, v[2:3]
	s_delay_alu instid0(VALU_DEP_1) | instskip(NEXT) | instid1(VALU_DEP_3)
	v_mov_b64_e32 v[2:3], v[0:1]
	v_cmpx_eq_u64_e64 v[10:11], v[8:9]
; %bb.18045:                            ;   in Loop: Header=BB6_16763 Depth=2
	v_bfe_u32 v2, v0, 21, 1
	v_mov_b32_e32 v3, v55
	s_delay_alu instid0(VALU_DEP_1) | instskip(NEXT) | instid1(VALU_DEP_1)
	v_add_nc_u64_e32 v[2:3], v[0:1], v[2:3]
	v_add_nc_u64_e32 v[2:3], -1, v[2:3]
; %bb.18046:                            ;   in Loop: Header=BB6_16763 Depth=2
	s_or_b32 exec_lo, exec_lo, s41
	v_add_nc_u32_e32 v1, 0xffffff81, v6
	v_lshrrev_b32_e32 v3, 23, v0
	s_mov_b32 s10, exec_lo
	s_delay_alu instid0(VALU_DEP_2) | instskip(NEXT) | instid1(VALU_DEP_1)
	v_cndmask_b32_e64 v1, v1, 0xffffff82, vcc_lo
	v_add3_u32 v3, v7, v1, v3
	v_and_b32_e32 v1, 0x1fffff, v2
                                        ; implicit-def: $vgpr2
	s_delay_alu instid0(VALU_DEP_1) | instskip(NEXT) | instid1(VALU_DEP_1)
	v_dual_add_nc_u32 v6, 14, v3 :: v_dual_add_nc_u32 v54, v1, v0
                                        ; implicit-def: $vgpr0_vgpr1
	v_cmpx_ne_u32_e32 0, v6
	s_xor_b32 s10, exec_lo, s10
; %bb.18047:                            ;   in Loop: Header=BB6_16763 Depth=2
	s_delay_alu instid0(VALU_DEP_2) | instskip(SKIP_1) | instid1(VALU_DEP_1)
	v_cmp_lt_u64_e32 vcc_lo, 0xffffff, v[54:55]
	v_add_nc_u32_e32 v0, 15, v3
	v_cndmask_b32_e32 v2, v6, v0, vcc_lo
	v_cndmask_b32_e64 v0, 0, 1, vcc_lo
	s_delay_alu instid0(VALU_DEP_1)
	v_lshrrev_b64 v[0:1], v0, v[54:55]
; %bb.18048:                            ;   in Loop: Header=BB6_16763 Depth=2
	s_and_not1_saveexec_b32 s10, s10
; %bb.18049:                            ;   in Loop: Header=BB6_16763 Depth=2
	v_mov_b64_e32 v[0:1], v[54:55]
	v_bfe_u32 v2, v54, 23, 1
; %bb.18050:                            ;   in Loop: Header=BB6_16763 Depth=2
	s_or_b32 exec_lo, exec_lo, s10
	s_delay_alu instid0(VALU_DEP_2) | instskip(NEXT) | instid1(VALU_DEP_2)
	v_lshrrev_b64 v[0:1], 21, v[0:1]
	v_cmp_gt_i32_e32 vcc_lo, 32, v2
	v_min_i32_e32 v3, 31, v2
	v_cmp_eq_u32_e64 s10, 0, v2
	s_delay_alu instid0(VALU_DEP_2) | instskip(SKIP_1) | instid1(VALU_DEP_2)
	v_dual_cndmask_b32 v1, 0, v1, vcc_lo :: v_dual_lshlrev_b32 v3, 2, v3
	v_cndmask_b32_e32 v0, 3, v0, vcc_lo
	v_and_b32_e32 v3, 0xfc, v3
	s_delay_alu instid0(VALU_DEP_2) | instskip(NEXT) | instid1(VALU_DEP_2)
	v_cmp_eq_u64_e32 vcc_lo, 0, v[0:1]
	v_and_or_b32 v0, v0, 3, v3
	s_and_b32 s10, s10, vcc_lo
	s_delay_alu instid0(VALU_DEP_1) | instid1(SALU_CYCLE_1)
	v_cndmask_b32_e64 v0, v0, 0, s10
	s_delay_alu instid0(VALU_DEP_1)
	v_or_b32_e32 v59, v0, v5
.LBB6_18051:                            ;   in Loop: Header=BB6_16763 Depth=2
	s_or_b32 exec_lo, exec_lo, s40
                                        ; implicit-def: $vgpr5
.LBB6_18052:                            ;   in Loop: Header=BB6_16763 Depth=2
	s_and_not1_saveexec_b32 s10, s29
; %bb.18053:                            ;   in Loop: Header=BB6_16763 Depth=2
	v_or_b32_e32 v59, 0x7b, v5
; %bb.18054:                            ;   in Loop: Header=BB6_16763 Depth=2
	s_or_b32 exec_lo, exec_lo, s10
                                        ; implicit-def: $vgpr0
                                        ; implicit-def: $vgpr1
.LBB6_18055:                            ;   in Loop: Header=BB6_16763 Depth=2
	s_and_not1_saveexec_b32 s10, s28
	s_cbranch_execz .LBB6_18061
; %bb.18056:                            ;   in Loop: Header=BB6_16763 Depth=2
	s_mov_b32 s28, exec_lo
                                        ; implicit-def: $vgpr59
	v_cmpx_ne_u64_e32 0, v[54:55]
	s_xor_b32 s28, exec_lo, s28
; %bb.18057:                            ;   in Loop: Header=BB6_16763 Depth=2
	v_or_b32_e32 v59, 0x7f, v1
                                        ; implicit-def: $vgpr0
; %bb.18058:                            ;   in Loop: Header=BB6_16763 Depth=2
	s_and_not1_saveexec_b32 s28, s28
; %bb.18059:                            ;   in Loop: Header=BB6_16763 Depth=2
	v_cmp_lt_i32_e32 vcc_lo, -1, v0
	v_cndmask_b32_e32 v59, 0xfc, v30, vcc_lo
; %bb.18060:                            ;   in Loop: Header=BB6_16763 Depth=2
	s_or_b32 exec_lo, exec_lo, s28
.LBB6_18061:                            ;   in Loop: Header=BB6_16763 Depth=2
	s_delay_alu instid0(SALU_CYCLE_1)
	s_or_b32 exec_lo, exec_lo, s10
	v_mov_b32_e32 v1, 0
	s_mov_b32 s10, exec_lo
	v_cmpx_lt_u32_e32 0xffffff, v12
	s_cbranch_execz .LBB6_18071
; %bb.18062:                            ;   in Loop: Header=BB6_16763 Depth=2
	v_lshrrev_b32_e32 v0, 24, v12
	v_bfrev_b32_e32 v1, 1
	s_mov_b32 s28, exec_lo
	s_delay_alu instid0(VALU_DEP_2)
	v_cmpx_ne_u32_e32 0x80, v0
	s_cbranch_execz .LBB6_18070
; %bb.18063:                            ;   in Loop: Header=BB6_16763 Depth=2
	v_and_b32_e32 v1, 0x7c000000, v12
	v_bfe_u32 v2, v12, 24, 2
	s_delay_alu instid0(VALU_DEP_2) | instskip(SKIP_1) | instid1(SALU_CYCLE_1)
	v_cmp_ne_u32_e32 vcc_lo, 0x7c000000, v1
                                        ; implicit-def: $vgpr1
	s_and_saveexec_b32 s29, vcc_lo
	s_xor_b32 s29, exec_lo, s29
	s_cbranch_execz .LBB6_18067
; %bb.18064:                            ;   in Loop: Header=BB6_16763 Depth=2
	v_bfe_u32 v1, v12, 26, 5
	s_mov_b32 s40, exec_lo
	s_delay_alu instid0(VALU_DEP_1)
	v_cmpx_eq_u32_e32 0, v1
; %bb.18065:                            ;   in Loop: Header=BB6_16763 Depth=2
	v_clz_i32_u32_e32 v1, v2
	s_delay_alu instid0(VALU_DEP_1) | instskip(NEXT) | instid1(VALU_DEP_1)
	v_min_u32_e32 v2, 32, v1
	v_subrev_nc_u32_e32 v1, 29, v2
	s_delay_alu instid0(VALU_DEP_1) | instskip(NEXT) | instid1(VALU_DEP_1)
	v_lshlrev_b64_e32 v[0:1], v1, v[0:1]
	v_dual_sub_nc_u32 v1, 30, v2 :: v_dual_bitop2_b32 v2, 3, v0 bitop3:0x40
; %bb.18066:                            ;   in Loop: Header=BB6_16763 Depth=2
	s_or_b32 exec_lo, exec_lo, s40
	v_and_b32_e32 v0, 0x80000000, v12
	s_delay_alu instid0(VALU_DEP_1) | instskip(NEXT) | instid1(VALU_DEP_1)
	v_lshl_add_u32 v0, v1, 23, v0
	v_lshl_or_b32 v0, v2, 21, v0
                                        ; implicit-def: $vgpr2
	s_delay_alu instid0(VALU_DEP_1)
	v_add_nc_u32_e32 v1, 0x38000000, v0
.LBB6_18067:                            ;   in Loop: Header=BB6_16763 Depth=2
	s_and_not1_saveexec_b32 s29, s29
; %bb.18068:                            ;   in Loop: Header=BB6_16763 Depth=2
	v_cmp_lt_i32_e32 vcc_lo, -1, v12
	v_cndmask_b32_e32 v0, 0xff800000, v29, vcc_lo
	v_cmp_eq_u32_e32 vcc_lo, 0, v2
	s_delay_alu instid0(VALU_DEP_2)
	v_cndmask_b32_e32 v1, 0x7f800001, v0, vcc_lo
; %bb.18069:                            ;   in Loop: Header=BB6_16763 Depth=2
	s_or_b32 exec_lo, exec_lo, s29
.LBB6_18070:                            ;   in Loop: Header=BB6_16763 Depth=2
	s_delay_alu instid0(SALU_CYCLE_1)
	s_or_b32 exec_lo, exec_lo, s28
.LBB6_18071:                            ;   in Loop: Header=BB6_16763 Depth=2
	s_delay_alu instid0(SALU_CYCLE_1) | instskip(NEXT) | instid1(VALU_DEP_1)
	s_or_b32 exec_lo, exec_lo, s10
	v_dual_mul_f32 v0, s27, v1 :: v_dual_mov_b32 v3, v55
                                        ; implicit-def: $vgpr60
	s_mov_b32 s10, exec_lo
	s_delay_alu instid0(VALU_DEP_1) | instskip(SKIP_2) | instid1(VALU_DEP_3)
	v_and_b32_e32 v2, 0x7f800000, v0
	v_and_b32_e32 v54, 0x7fffff, v0
	v_lshrrev_b32_e32 v1, 24, v0
	v_cmpx_ne_u64_e32 0x7f800000, v[2:3]
	s_xor_b32 s28, exec_lo, s10
	s_cbranch_execz .LBB6_18085
; %bb.18072:                            ;   in Loop: Header=BB6_16763 Depth=2
	v_and_b32_e32 v2, 0x7fffffff, v0
	v_mov_b32_e32 v3, v55
	v_and_b32_e32 v5, 0x80, v1
                                        ; implicit-def: $vgpr60
	s_mov_b32 s10, exec_lo
	s_delay_alu instid0(VALU_DEP_2)
	v_cmpx_gt_u64_e32 0x47600001, v[2:3]
	s_xor_b32 s29, exec_lo, s10
	s_cbranch_execz .LBB6_18082
; %bb.18073:                            ;   in Loop: Header=BB6_16763 Depth=2
	v_mov_b32_e32 v60, 0
	s_mov_b32 s40, exec_lo
	v_cmpx_ne_u32_e32 0, v0
	s_cbranch_execz .LBB6_18081
; %bb.18074:                            ;   in Loop: Header=BB6_16763 Depth=2
	v_bfe_u32 v6, v0, 23, 8
	v_or_b32_e32 v2, 0x800000, v54
	s_mov_b32 s41, exec_lo
	s_delay_alu instid0(VALU_DEP_2) | instskip(SKIP_1) | instid1(VALU_DEP_2)
	v_dual_mov_b32 v3, v55 :: v_dual_sub_nc_u32 v0, 0x71, v6
	v_cmp_gt_u32_e32 vcc_lo, 0x72, v6
	v_cndmask_b32_e32 v0, 0, v0, vcc_lo
	v_cmp_eq_u32_e32 vcc_lo, 0, v6
	s_delay_alu instid0(VALU_DEP_2) | instskip(NEXT) | instid1(VALU_DEP_1)
	v_cndmask_b32_e64 v7, v0, 0x70, vcc_lo
	v_dual_cndmask_b32 v2, v2, v54, vcc_lo :: v_dual_add_nc_u32 v0, 21, v7
	v_add_nc_u32_e32 v8, 20, v7
	s_delay_alu instid0(VALU_DEP_2) | instskip(NEXT) | instid1(VALU_DEP_2)
	v_lshlrev_b64_e64 v[0:1], v0, -1
	v_lshlrev_b64_e64 v[8:9], v8, 1
	s_delay_alu instid0(VALU_DEP_2) | instskip(NEXT) | instid1(VALU_DEP_3)
	v_bfi_b32 v11, v1, 0, 0
	v_bfi_b32 v10, v0, 0, v2
	v_lshrrev_b64 v[0:1], v7, v[2:3]
	s_delay_alu instid0(VALU_DEP_1) | instskip(NEXT) | instid1(VALU_DEP_3)
	v_mov_b64_e32 v[2:3], v[0:1]
	v_cmpx_eq_u64_e64 v[10:11], v[8:9]
; %bb.18075:                            ;   in Loop: Header=BB6_16763 Depth=2
	v_bfe_u32 v2, v0, 21, 1
	v_mov_b32_e32 v3, v55
	s_delay_alu instid0(VALU_DEP_1) | instskip(NEXT) | instid1(VALU_DEP_1)
	v_add_nc_u64_e32 v[2:3], v[0:1], v[2:3]
	v_add_nc_u64_e32 v[2:3], -1, v[2:3]
; %bb.18076:                            ;   in Loop: Header=BB6_16763 Depth=2
	s_or_b32 exec_lo, exec_lo, s41
	v_add_nc_u32_e32 v1, 0xffffff81, v6
	v_lshrrev_b32_e32 v3, 23, v0
	s_mov_b32 s10, exec_lo
	s_delay_alu instid0(VALU_DEP_2) | instskip(NEXT) | instid1(VALU_DEP_1)
	v_cndmask_b32_e64 v1, v1, 0xffffff82, vcc_lo
	v_add3_u32 v3, v7, v1, v3
	v_and_b32_e32 v1, 0x1fffff, v2
                                        ; implicit-def: $vgpr2
	s_delay_alu instid0(VALU_DEP_1) | instskip(NEXT) | instid1(VALU_DEP_1)
	v_dual_add_nc_u32 v6, 14, v3 :: v_dual_add_nc_u32 v54, v1, v0
                                        ; implicit-def: $vgpr0_vgpr1
	v_cmpx_ne_u32_e32 0, v6
	s_xor_b32 s10, exec_lo, s10
; %bb.18077:                            ;   in Loop: Header=BB6_16763 Depth=2
	s_delay_alu instid0(VALU_DEP_2) | instskip(SKIP_1) | instid1(VALU_DEP_1)
	v_cmp_lt_u64_e32 vcc_lo, 0xffffff, v[54:55]
	v_add_nc_u32_e32 v0, 15, v3
	v_cndmask_b32_e32 v2, v6, v0, vcc_lo
	v_cndmask_b32_e64 v0, 0, 1, vcc_lo
	s_delay_alu instid0(VALU_DEP_1)
	v_lshrrev_b64 v[0:1], v0, v[54:55]
; %bb.18078:                            ;   in Loop: Header=BB6_16763 Depth=2
	s_and_not1_saveexec_b32 s10, s10
; %bb.18079:                            ;   in Loop: Header=BB6_16763 Depth=2
	v_mov_b64_e32 v[0:1], v[54:55]
	v_bfe_u32 v2, v54, 23, 1
; %bb.18080:                            ;   in Loop: Header=BB6_16763 Depth=2
	s_or_b32 exec_lo, exec_lo, s10
	s_delay_alu instid0(VALU_DEP_2) | instskip(NEXT) | instid1(VALU_DEP_2)
	v_lshrrev_b64 v[0:1], 21, v[0:1]
	v_cmp_gt_i32_e32 vcc_lo, 32, v2
	v_min_i32_e32 v3, 31, v2
	v_cmp_eq_u32_e64 s10, 0, v2
	s_delay_alu instid0(VALU_DEP_2) | instskip(SKIP_1) | instid1(VALU_DEP_2)
	v_dual_cndmask_b32 v1, 0, v1, vcc_lo :: v_dual_lshlrev_b32 v3, 2, v3
	v_cndmask_b32_e32 v0, 3, v0, vcc_lo
	v_and_b32_e32 v3, 0xfc, v3
	s_delay_alu instid0(VALU_DEP_2) | instskip(NEXT) | instid1(VALU_DEP_2)
	v_cmp_eq_u64_e32 vcc_lo, 0, v[0:1]
	v_and_or_b32 v0, v0, 3, v3
	s_and_b32 s10, s10, vcc_lo
	s_delay_alu instid0(VALU_DEP_1) | instid1(SALU_CYCLE_1)
	v_cndmask_b32_e64 v0, v0, 0, s10
	s_delay_alu instid0(VALU_DEP_1)
	v_or_b32_e32 v60, v0, v5
.LBB6_18081:                            ;   in Loop: Header=BB6_16763 Depth=2
	s_or_b32 exec_lo, exec_lo, s40
                                        ; implicit-def: $vgpr5
.LBB6_18082:                            ;   in Loop: Header=BB6_16763 Depth=2
	s_and_not1_saveexec_b32 s10, s29
; %bb.18083:                            ;   in Loop: Header=BB6_16763 Depth=2
	v_or_b32_e32 v60, 0x7b, v5
; %bb.18084:                            ;   in Loop: Header=BB6_16763 Depth=2
	s_or_b32 exec_lo, exec_lo, s10
                                        ; implicit-def: $vgpr0
                                        ; implicit-def: $vgpr1
.LBB6_18085:                            ;   in Loop: Header=BB6_16763 Depth=2
	s_and_not1_saveexec_b32 s10, s28
	s_cbranch_execz .LBB6_18091
; %bb.18086:                            ;   in Loop: Header=BB6_16763 Depth=2
	s_mov_b32 s28, exec_lo
                                        ; implicit-def: $vgpr60
	v_cmpx_ne_u64_e32 0, v[54:55]
	s_xor_b32 s28, exec_lo, s28
; %bb.18087:                            ;   in Loop: Header=BB6_16763 Depth=2
	v_or_b32_e32 v60, 0x7f, v1
                                        ; implicit-def: $vgpr0
; %bb.18088:                            ;   in Loop: Header=BB6_16763 Depth=2
	s_and_not1_saveexec_b32 s28, s28
; %bb.18089:                            ;   in Loop: Header=BB6_16763 Depth=2
	v_cmp_lt_i32_e32 vcc_lo, -1, v0
	v_cndmask_b32_e32 v60, 0xfc, v30, vcc_lo
; %bb.18090:                            ;   in Loop: Header=BB6_16763 Depth=2
	s_or_b32 exec_lo, exec_lo, s28
.LBB6_18091:                            ;   in Loop: Header=BB6_16763 Depth=2
	s_delay_alu instid0(SALU_CYCLE_1) | instskip(SKIP_3) | instid1(VALU_DEP_2)
	s_or_b32 exec_lo, exec_lo, s10
	v_and_b32_e32 v0, 0xff, v13
	v_dual_mov_b32 v54, v13 :: v_dual_mov_b32 v1, 0
	s_mov_b32 s10, exec_lo
	v_cmpx_ne_u16_e32 0, v0
	s_cbranch_execz .LBB6_18101
; %bb.18092:                            ;   in Loop: Header=BB6_16763 Depth=2
	v_bfrev_b32_e32 v1, 1
	s_mov_b32 s28, exec_lo
	v_cmpx_ne_u16_e32 0x80, v0
	s_cbranch_execz .LBB6_18100
; %bb.18093:                            ;   in Loop: Header=BB6_16763 Depth=2
	v_and_b32_e32 v1, 0x7c, v13
	v_and_b32_e32 v0, 3, v13
	s_delay_alu instid0(VALU_DEP_2) | instskip(SKIP_1) | instid1(SALU_CYCLE_1)
	v_cmp_ne_u32_e32 vcc_lo, 0x7c, v1
                                        ; implicit-def: $vgpr1
	s_and_saveexec_b32 s29, vcc_lo
	s_xor_b32 s29, exec_lo, s29
	s_cbranch_execz .LBB6_18097
; %bb.18094:                            ;   in Loop: Header=BB6_16763 Depth=2
	v_bfe_u32 v1, v13, 2, 5
	s_mov_b32 s40, exec_lo
	s_delay_alu instid0(VALU_DEP_1)
	v_cmpx_eq_u32_e32 0, v1
; %bb.18095:                            ;   in Loop: Header=BB6_16763 Depth=2
	v_clz_i32_u32_e32 v0, v0
	s_delay_alu instid0(VALU_DEP_1) | instskip(NEXT) | instid1(VALU_DEP_1)
	v_min_u32_e32 v2, 32, v0
	v_subrev_nc_u32_e32 v0, 29, v2
	s_delay_alu instid0(VALU_DEP_1) | instskip(NEXT) | instid1(VALU_DEP_1)
	v_lshlrev_b64_e32 v[0:1], v0, v[54:55]
	v_dual_sub_nc_u32 v1, 30, v2 :: v_dual_bitop2_b32 v0, 3, v0 bitop3:0x40
; %bb.18096:                            ;   in Loop: Header=BB6_16763 Depth=2
	s_or_b32 exec_lo, exec_lo, s40
	v_lshlrev_b32_e32 v2, 24, v13
	s_delay_alu instid0(VALU_DEP_1) | instskip(NEXT) | instid1(VALU_DEP_1)
	v_and_b32_e32 v2, 0x80000000, v2
	v_lshl_add_u32 v1, v1, 23, v2
	s_delay_alu instid0(VALU_DEP_1) | instskip(NEXT) | instid1(VALU_DEP_1)
	v_lshl_or_b32 v0, v0, 21, v1
	v_add_nc_u32_e32 v1, 0x38000000, v0
                                        ; implicit-def: $vgpr0
.LBB6_18097:                            ;   in Loop: Header=BB6_16763 Depth=2
	s_and_not1_saveexec_b32 s29, s29
; %bb.18098:                            ;   in Loop: Header=BB6_16763 Depth=2
	v_bfe_i32 v1, v13, 0, 8
	s_delay_alu instid0(VALU_DEP_1) | instskip(SKIP_2) | instid1(VALU_DEP_2)
	v_cmp_lt_i16_e32 vcc_lo, -1, v1
	v_cndmask_b32_e32 v1, 0xff800000, v29, vcc_lo
	v_cmp_eq_u32_e32 vcc_lo, 0, v0
	v_cndmask_b32_e32 v1, 0x7f800001, v1, vcc_lo
; %bb.18099:                            ;   in Loop: Header=BB6_16763 Depth=2
	s_or_b32 exec_lo, exec_lo, s29
.LBB6_18100:                            ;   in Loop: Header=BB6_16763 Depth=2
	s_delay_alu instid0(SALU_CYCLE_1)
	s_or_b32 exec_lo, exec_lo, s28
.LBB6_18101:                            ;   in Loop: Header=BB6_16763 Depth=2
	s_delay_alu instid0(SALU_CYCLE_1) | instskip(NEXT) | instid1(VALU_DEP_1)
	s_or_b32 exec_lo, exec_lo, s10
	v_dual_mul_f32 v2, s27, v1 :: v_dual_mov_b32 v7, v55
	v_mov_b32_e32 v1, v55
                                        ; implicit-def: $vgpr61
	s_mov_b32 s10, exec_lo
	s_delay_alu instid0(VALU_DEP_2) | instskip(SKIP_2) | instid1(VALU_DEP_3)
	v_and_b32_e32 v6, 0x7f800000, v2
	v_and_b32_e32 v0, 0x7fffff, v2
	v_lshrrev_b32_e32 v3, 24, v2
	v_cmpx_ne_u64_e32 0x7f800000, v[6:7]
	s_xor_b32 s28, exec_lo, s10
	s_cbranch_execz .LBB6_18115
; %bb.18102:                            ;   in Loop: Header=BB6_16763 Depth=2
	v_and_b32_e32 v6, 0x7fffffff, v2
	v_mov_b32_e32 v7, v55
	v_and_b32_e32 v5, 0x80, v3
                                        ; implicit-def: $vgpr61
	s_mov_b32 s10, exec_lo
	s_delay_alu instid0(VALU_DEP_2)
	v_cmpx_gt_u64_e32 0x47600001, v[6:7]
	s_xor_b32 s29, exec_lo, s10
	s_cbranch_execz .LBB6_18112
; %bb.18103:                            ;   in Loop: Header=BB6_16763 Depth=2
	v_mov_b32_e32 v61, 0
	s_mov_b32 s40, exec_lo
	v_cmpx_ne_u32_e32 0, v2
	s_cbranch_execz .LBB6_18111
; %bb.18104:                            ;   in Loop: Header=BB6_16763 Depth=2
	v_bfe_u32 v6, v2, 23, 8
	v_or_b32_e32 v8, 0x800000, v0
	s_delay_alu instid0(VALU_DEP_2) | instskip(SKIP_1) | instid1(VALU_DEP_2)
	v_sub_nc_u32_e32 v2, 0x71, v6
	v_cmp_gt_u32_e32 vcc_lo, 0x72, v6
	v_cndmask_b32_e32 v2, 0, v2, vcc_lo
	v_cmp_eq_u32_e32 vcc_lo, 0, v6
	s_delay_alu instid0(VALU_DEP_2) | instskip(NEXT) | instid1(VALU_DEP_1)
	v_cndmask_b32_e64 v7, v2, 0x70, vcc_lo
	v_dual_cndmask_b32 v0, v8, v0, vcc_lo :: v_dual_add_nc_u32 v2, 21, v7
	v_add_nc_u32_e32 v9, 20, v7
	s_delay_alu instid0(VALU_DEP_2) | instskip(NEXT) | instid1(VALU_DEP_2)
	v_lshlrev_b64_e64 v[2:3], v2, -1
	v_lshlrev_b64_e64 v[8:9], v9, 1
	s_delay_alu instid0(VALU_DEP_2) | instskip(SKIP_1) | instid1(VALU_DEP_4)
	v_bfi_b32 v2, v2, 0, v0
	v_lshrrev_b64 v[0:1], v7, v[0:1]
	v_bfi_b32 v3, v3, 0, 0
	s_delay_alu instid0(VALU_DEP_1) | instskip(NEXT) | instid1(VALU_DEP_3)
	v_cmp_eq_u64_e64 s10, v[2:3], v[8:9]
	v_mov_b64_e32 v[2:3], v[0:1]
	s_and_saveexec_b32 s41, s10
; %bb.18105:                            ;   in Loop: Header=BB6_16763 Depth=2
	v_bfe_u32 v2, v0, 21, 1
	v_mov_b32_e32 v3, v55
	s_delay_alu instid0(VALU_DEP_1) | instskip(NEXT) | instid1(VALU_DEP_1)
	v_add_nc_u64_e32 v[2:3], v[0:1], v[2:3]
	v_add_nc_u64_e32 v[2:3], -1, v[2:3]
; %bb.18106:                            ;   in Loop: Header=BB6_16763 Depth=2
	s_or_b32 exec_lo, exec_lo, s41
	v_add_nc_u32_e32 v1, 0xffffff81, v6
	v_lshrrev_b32_e32 v3, 23, v0
	s_mov_b32 s10, exec_lo
	s_delay_alu instid0(VALU_DEP_2) | instskip(NEXT) | instid1(VALU_DEP_1)
	v_cndmask_b32_e64 v1, v1, 0xffffff82, vcc_lo
	v_add3_u32 v3, v7, v1, v3
	v_and_b32_e32 v1, 0x1fffff, v2
                                        ; implicit-def: $vgpr2
	s_delay_alu instid0(VALU_DEP_1) | instskip(SKIP_1) | instid1(VALU_DEP_2)
	v_dual_add_nc_u32 v6, 14, v3 :: v_dual_add_nc_u32 v0, v1, v0
	v_mov_b32_e32 v1, v55
	v_cmpx_ne_u32_e32 0, v6
	s_xor_b32 s10, exec_lo, s10
; %bb.18107:                            ;   in Loop: Header=BB6_16763 Depth=2
	s_delay_alu instid0(VALU_DEP_2) | instskip(SKIP_2) | instid1(VALU_DEP_2)
	v_cmp_lt_u64_e32 vcc_lo, 0xffffff, v[0:1]
	v_add_nc_u32_e32 v2, 15, v3
	v_cndmask_b32_e64 v3, 0, 1, vcc_lo
	v_cndmask_b32_e32 v2, v6, v2, vcc_lo
	s_delay_alu instid0(VALU_DEP_2)
	v_lshrrev_b64 v[0:1], v3, v[0:1]
; %bb.18108:                            ;   in Loop: Header=BB6_16763 Depth=2
	s_and_not1_saveexec_b32 s10, s10
; %bb.18109:                            ;   in Loop: Header=BB6_16763 Depth=2
	s_delay_alu instid0(VALU_DEP_1)
	v_bfe_u32 v2, v0, 23, 1
; %bb.18110:                            ;   in Loop: Header=BB6_16763 Depth=2
	s_or_b32 exec_lo, exec_lo, s10
	s_delay_alu instid0(VALU_DEP_2) | instskip(NEXT) | instid1(VALU_DEP_2)
	v_lshrrev_b64 v[0:1], 21, v[0:1]
	v_cmp_gt_i32_e32 vcc_lo, 32, v2
	v_min_i32_e32 v3, 31, v2
	v_cmp_eq_u32_e64 s10, 0, v2
	s_delay_alu instid0(VALU_DEP_2) | instskip(SKIP_1) | instid1(VALU_DEP_2)
	v_dual_cndmask_b32 v1, 0, v1, vcc_lo :: v_dual_lshlrev_b32 v3, 2, v3
	v_cndmask_b32_e32 v0, 3, v0, vcc_lo
	v_and_b32_e32 v3, 0xfc, v3
	s_delay_alu instid0(VALU_DEP_2) | instskip(NEXT) | instid1(VALU_DEP_2)
	v_cmp_eq_u64_e32 vcc_lo, 0, v[0:1]
	v_and_or_b32 v0, v0, 3, v3
	s_and_b32 s10, s10, vcc_lo
	s_delay_alu instid0(VALU_DEP_1) | instid1(SALU_CYCLE_1)
	v_cndmask_b32_e64 v0, v0, 0, s10
	s_delay_alu instid0(VALU_DEP_1)
	v_or_b32_e32 v61, v0, v5
.LBB6_18111:                            ;   in Loop: Header=BB6_16763 Depth=2
	s_or_b32 exec_lo, exec_lo, s40
                                        ; implicit-def: $vgpr5
.LBB6_18112:                            ;   in Loop: Header=BB6_16763 Depth=2
	s_and_not1_saveexec_b32 s10, s29
; %bb.18113:                            ;   in Loop: Header=BB6_16763 Depth=2
	v_or_b32_e32 v61, 0x7b, v5
; %bb.18114:                            ;   in Loop: Header=BB6_16763 Depth=2
	s_or_b32 exec_lo, exec_lo, s10
                                        ; implicit-def: $vgpr2
                                        ; implicit-def: $vgpr0_vgpr1
                                        ; implicit-def: $vgpr3
.LBB6_18115:                            ;   in Loop: Header=BB6_16763 Depth=2
	s_and_not1_saveexec_b32 s10, s28
	s_cbranch_execz .LBB6_18121
; %bb.18116:                            ;   in Loop: Header=BB6_16763 Depth=2
	s_mov_b32 s28, exec_lo
                                        ; implicit-def: $vgpr61
	v_cmpx_ne_u64_e32 0, v[0:1]
	s_xor_b32 s28, exec_lo, s28
; %bb.18117:                            ;   in Loop: Header=BB6_16763 Depth=2
	v_or_b32_e32 v61, 0x7f, v3
                                        ; implicit-def: $vgpr2
; %bb.18118:                            ;   in Loop: Header=BB6_16763 Depth=2
	s_and_not1_saveexec_b32 s28, s28
; %bb.18119:                            ;   in Loop: Header=BB6_16763 Depth=2
	v_cmp_lt_i32_e32 vcc_lo, -1, v2
	v_cndmask_b32_e32 v61, 0xfc, v30, vcc_lo
; %bb.18120:                            ;   in Loop: Header=BB6_16763 Depth=2
	s_or_b32 exec_lo, exec_lo, s28
.LBB6_18121:                            ;   in Loop: Header=BB6_16763 Depth=2
	s_delay_alu instid0(SALU_CYCLE_1) | instskip(SKIP_3) | instid1(VALU_DEP_2)
	s_or_b32 exec_lo, exec_lo, s10
	v_lshrrev_b16 v0, 8, v54
	v_mov_b32_e32 v2, 0
	s_mov_b32 s10, exec_lo
	v_cmpx_ne_u16_e32 0, v0
	s_cbranch_execz .LBB6_18131
; %bb.18122:                            ;   in Loop: Header=BB6_16763 Depth=2
	v_bfrev_b32_e32 v2, 1
	s_mov_b32 s28, exec_lo
	v_cmpx_ne_u16_e32 0x80, v0
	s_cbranch_execz .LBB6_18130
; %bb.18123:                            ;   in Loop: Header=BB6_16763 Depth=2
	v_and_b32_e32 v3, 0xffff, v0
	s_delay_alu instid0(VALU_DEP_1) | instskip(SKIP_1) | instid1(VALU_DEP_2)
	v_and_b32_e32 v2, 0x7c, v3
	v_and_b32_e32 v1, 3, v3
	v_cmp_ne_u32_e32 vcc_lo, 0x7c, v2
                                        ; implicit-def: $vgpr2
	s_and_saveexec_b32 s29, vcc_lo
	s_delay_alu instid0(SALU_CYCLE_1)
	s_xor_b32 s29, exec_lo, s29
	s_cbranch_execz .LBB6_18127
; %bb.18124:                            ;   in Loop: Header=BB6_16763 Depth=2
	v_bfe_u32 v2, v3, 2, 5
	s_mov_b32 s40, exec_lo
	s_delay_alu instid0(VALU_DEP_1)
	v_cmpx_eq_u32_e32 0, v2
	s_cbranch_execz .LBB6_18126
; %bb.18125:                            ;   in Loop: Header=BB6_16763 Depth=2
	v_clz_i32_u32_e32 v1, v1
	s_delay_alu instid0(VALU_DEP_1) | instskip(SKIP_1) | instid1(VALU_DEP_2)
	v_min_u32_e32 v2, 32, v1
	v_mov_b32_e32 v1, v55
	v_subrev_nc_u32_e32 v3, 29, v2
	v_sub_nc_u32_e32 v2, 30, v2
	s_delay_alu instid0(VALU_DEP_2) | instskip(NEXT) | instid1(VALU_DEP_1)
	v_lshlrev_b64_e32 v[0:1], v3, v[0:1]
	v_and_b32_e32 v1, 3, v0
.LBB6_18126:                            ;   in Loop: Header=BB6_16763 Depth=2
	s_or_b32 exec_lo, exec_lo, s40
	v_lshlrev_b32_e32 v0, 16, v54
	s_delay_alu instid0(VALU_DEP_1) | instskip(NEXT) | instid1(VALU_DEP_1)
	v_and_b32_e32 v0, 0x80000000, v0
	v_lshl_add_u32 v0, v2, 23, v0
	s_delay_alu instid0(VALU_DEP_1) | instskip(NEXT) | instid1(VALU_DEP_1)
	v_lshl_or_b32 v0, v1, 21, v0
                                        ; implicit-def: $vgpr1
	v_add_nc_u32_e32 v2, 0x38000000, v0
.LBB6_18127:                            ;   in Loop: Header=BB6_16763 Depth=2
	s_and_not1_saveexec_b32 s29, s29
; %bb.18128:                            ;   in Loop: Header=BB6_16763 Depth=2
	v_cmp_lt_i16_e32 vcc_lo, -1, v54
	v_cndmask_b32_e32 v0, 0xff800000, v29, vcc_lo
	v_cmp_eq_u32_e32 vcc_lo, 0, v1
	s_delay_alu instid0(VALU_DEP_2)
	v_cndmask_b32_e32 v2, 0x7f800001, v0, vcc_lo
; %bb.18129:                            ;   in Loop: Header=BB6_16763 Depth=2
	s_or_b32 exec_lo, exec_lo, s29
.LBB6_18130:                            ;   in Loop: Header=BB6_16763 Depth=2
	s_delay_alu instid0(SALU_CYCLE_1)
	s_or_b32 exec_lo, exec_lo, s28
.LBB6_18131:                            ;   in Loop: Header=BB6_16763 Depth=2
	s_delay_alu instid0(SALU_CYCLE_1) | instskip(NEXT) | instid1(VALU_DEP_1)
	s_or_b32 exec_lo, exec_lo, s10
	v_dual_mul_f32 v0, s27, v2 :: v_dual_mov_b32 v3, v55
                                        ; implicit-def: $vgpr62
	s_mov_b32 s10, exec_lo
	s_delay_alu instid0(VALU_DEP_1) | instskip(SKIP_2) | instid1(VALU_DEP_3)
	v_and_b32_e32 v2, 0x7f800000, v0
	v_and_b32_e32 v54, 0x7fffff, v0
	v_lshrrev_b32_e32 v1, 24, v0
	v_cmpx_ne_u64_e32 0x7f800000, v[2:3]
	s_xor_b32 s28, exec_lo, s10
	s_cbranch_execz .LBB6_18145
; %bb.18132:                            ;   in Loop: Header=BB6_16763 Depth=2
	v_and_b32_e32 v2, 0x7fffffff, v0
	v_mov_b32_e32 v3, v55
	v_and_b32_e32 v5, 0x80, v1
                                        ; implicit-def: $vgpr62
	s_mov_b32 s10, exec_lo
	s_delay_alu instid0(VALU_DEP_2)
	v_cmpx_gt_u64_e32 0x47600001, v[2:3]
	s_xor_b32 s29, exec_lo, s10
	s_cbranch_execz .LBB6_18142
; %bb.18133:                            ;   in Loop: Header=BB6_16763 Depth=2
	v_mov_b32_e32 v62, 0
	s_mov_b32 s40, exec_lo
	v_cmpx_ne_u32_e32 0, v0
	s_cbranch_execz .LBB6_18141
; %bb.18134:                            ;   in Loop: Header=BB6_16763 Depth=2
	v_bfe_u32 v6, v0, 23, 8
	v_or_b32_e32 v2, 0x800000, v54
	s_mov_b32 s41, exec_lo
	s_delay_alu instid0(VALU_DEP_2) | instskip(SKIP_1) | instid1(VALU_DEP_2)
	v_dual_mov_b32 v3, v55 :: v_dual_sub_nc_u32 v0, 0x71, v6
	v_cmp_gt_u32_e32 vcc_lo, 0x72, v6
	v_cndmask_b32_e32 v0, 0, v0, vcc_lo
	v_cmp_eq_u32_e32 vcc_lo, 0, v6
	s_delay_alu instid0(VALU_DEP_2) | instskip(NEXT) | instid1(VALU_DEP_1)
	v_cndmask_b32_e64 v7, v0, 0x70, vcc_lo
	v_dual_cndmask_b32 v2, v2, v54, vcc_lo :: v_dual_add_nc_u32 v0, 21, v7
	v_add_nc_u32_e32 v8, 20, v7
	s_delay_alu instid0(VALU_DEP_2) | instskip(NEXT) | instid1(VALU_DEP_2)
	v_lshlrev_b64_e64 v[0:1], v0, -1
	v_lshlrev_b64_e64 v[8:9], v8, 1
	s_delay_alu instid0(VALU_DEP_2) | instskip(NEXT) | instid1(VALU_DEP_3)
	v_bfi_b32 v11, v1, 0, 0
	v_bfi_b32 v10, v0, 0, v2
	v_lshrrev_b64 v[0:1], v7, v[2:3]
	s_delay_alu instid0(VALU_DEP_1) | instskip(NEXT) | instid1(VALU_DEP_3)
	v_mov_b64_e32 v[2:3], v[0:1]
	v_cmpx_eq_u64_e64 v[10:11], v[8:9]
; %bb.18135:                            ;   in Loop: Header=BB6_16763 Depth=2
	v_bfe_u32 v2, v0, 21, 1
	v_mov_b32_e32 v3, v55
	s_delay_alu instid0(VALU_DEP_1) | instskip(NEXT) | instid1(VALU_DEP_1)
	v_add_nc_u64_e32 v[2:3], v[0:1], v[2:3]
	v_add_nc_u64_e32 v[2:3], -1, v[2:3]
; %bb.18136:                            ;   in Loop: Header=BB6_16763 Depth=2
	s_or_b32 exec_lo, exec_lo, s41
	v_add_nc_u32_e32 v1, 0xffffff81, v6
	v_lshrrev_b32_e32 v3, 23, v0
	s_mov_b32 s10, exec_lo
	s_delay_alu instid0(VALU_DEP_2) | instskip(NEXT) | instid1(VALU_DEP_1)
	v_cndmask_b32_e64 v1, v1, 0xffffff82, vcc_lo
	v_add3_u32 v3, v7, v1, v3
	v_and_b32_e32 v1, 0x1fffff, v2
                                        ; implicit-def: $vgpr2
	s_delay_alu instid0(VALU_DEP_1) | instskip(NEXT) | instid1(VALU_DEP_1)
	v_dual_add_nc_u32 v6, 14, v3 :: v_dual_add_nc_u32 v54, v1, v0
                                        ; implicit-def: $vgpr0_vgpr1
	v_cmpx_ne_u32_e32 0, v6
	s_xor_b32 s10, exec_lo, s10
; %bb.18137:                            ;   in Loop: Header=BB6_16763 Depth=2
	s_delay_alu instid0(VALU_DEP_2) | instskip(SKIP_1) | instid1(VALU_DEP_1)
	v_cmp_lt_u64_e32 vcc_lo, 0xffffff, v[54:55]
	v_add_nc_u32_e32 v0, 15, v3
	v_cndmask_b32_e32 v2, v6, v0, vcc_lo
	v_cndmask_b32_e64 v0, 0, 1, vcc_lo
	s_delay_alu instid0(VALU_DEP_1)
	v_lshrrev_b64 v[0:1], v0, v[54:55]
; %bb.18138:                            ;   in Loop: Header=BB6_16763 Depth=2
	s_and_not1_saveexec_b32 s10, s10
; %bb.18139:                            ;   in Loop: Header=BB6_16763 Depth=2
	v_mov_b64_e32 v[0:1], v[54:55]
	v_bfe_u32 v2, v54, 23, 1
; %bb.18140:                            ;   in Loop: Header=BB6_16763 Depth=2
	s_or_b32 exec_lo, exec_lo, s10
	s_delay_alu instid0(VALU_DEP_2) | instskip(NEXT) | instid1(VALU_DEP_2)
	v_lshrrev_b64 v[0:1], 21, v[0:1]
	v_cmp_gt_i32_e32 vcc_lo, 32, v2
	v_min_i32_e32 v3, 31, v2
	v_cmp_eq_u32_e64 s10, 0, v2
	s_delay_alu instid0(VALU_DEP_2) | instskip(SKIP_1) | instid1(VALU_DEP_2)
	v_dual_cndmask_b32 v1, 0, v1, vcc_lo :: v_dual_lshlrev_b32 v3, 2, v3
	v_cndmask_b32_e32 v0, 3, v0, vcc_lo
	v_and_b32_e32 v3, 0xfc, v3
	s_delay_alu instid0(VALU_DEP_2) | instskip(NEXT) | instid1(VALU_DEP_2)
	v_cmp_eq_u64_e32 vcc_lo, 0, v[0:1]
	v_and_or_b32 v0, v0, 3, v3
	s_and_b32 s10, s10, vcc_lo
	s_delay_alu instid0(VALU_DEP_1) | instid1(SALU_CYCLE_1)
	v_cndmask_b32_e64 v0, v0, 0, s10
	s_delay_alu instid0(VALU_DEP_1)
	v_or_b32_e32 v62, v0, v5
.LBB6_18141:                            ;   in Loop: Header=BB6_16763 Depth=2
	s_or_b32 exec_lo, exec_lo, s40
                                        ; implicit-def: $vgpr5
.LBB6_18142:                            ;   in Loop: Header=BB6_16763 Depth=2
	s_and_not1_saveexec_b32 s10, s29
; %bb.18143:                            ;   in Loop: Header=BB6_16763 Depth=2
	v_or_b32_e32 v62, 0x7b, v5
; %bb.18144:                            ;   in Loop: Header=BB6_16763 Depth=2
	s_or_b32 exec_lo, exec_lo, s10
                                        ; implicit-def: $vgpr0
                                        ; implicit-def: $vgpr1
.LBB6_18145:                            ;   in Loop: Header=BB6_16763 Depth=2
	s_and_not1_saveexec_b32 s10, s28
	s_cbranch_execz .LBB6_18151
; %bb.18146:                            ;   in Loop: Header=BB6_16763 Depth=2
	s_mov_b32 s28, exec_lo
                                        ; implicit-def: $vgpr62
	v_cmpx_ne_u64_e32 0, v[54:55]
	s_xor_b32 s28, exec_lo, s28
; %bb.18147:                            ;   in Loop: Header=BB6_16763 Depth=2
	v_or_b32_e32 v62, 0x7f, v1
                                        ; implicit-def: $vgpr0
; %bb.18148:                            ;   in Loop: Header=BB6_16763 Depth=2
	s_and_not1_saveexec_b32 s28, s28
; %bb.18149:                            ;   in Loop: Header=BB6_16763 Depth=2
	v_cmp_lt_i32_e32 vcc_lo, -1, v0
	v_cndmask_b32_e32 v62, 0xfc, v30, vcc_lo
; %bb.18150:                            ;   in Loop: Header=BB6_16763 Depth=2
	s_or_b32 exec_lo, exec_lo, s28
.LBB6_18151:                            ;   in Loop: Header=BB6_16763 Depth=2
	s_delay_alu instid0(SALU_CYCLE_1) | instskip(SKIP_2) | instid1(VALU_DEP_1)
	s_or_b32 exec_lo, exec_lo, s10
	v_dual_lshrrev_b32 v0, 16, v13 :: v_dual_mov_b32 v2, 0
	s_mov_b32 s10, exec_lo
	v_and_b32_e32 v1, 0xff, v0
	s_delay_alu instid0(VALU_DEP_1)
	v_cmpx_ne_u16_e32 0, v1
	s_cbranch_execz .LBB6_18161
; %bb.18152:                            ;   in Loop: Header=BB6_16763 Depth=2
	v_bfrev_b32_e32 v2, 1
	s_mov_b32 s28, exec_lo
	v_cmpx_ne_u16_e32 0x80, v1
	s_cbranch_execz .LBB6_18160
; %bb.18153:                            ;   in Loop: Header=BB6_16763 Depth=2
	v_and_b32_e32 v2, 0x7c0000, v13
	v_bfe_u32 v1, v13, 16, 2
	s_delay_alu instid0(VALU_DEP_2) | instskip(SKIP_1) | instid1(SALU_CYCLE_1)
	v_cmp_ne_u32_e32 vcc_lo, 0x7c0000, v2
                                        ; implicit-def: $vgpr2
	s_and_saveexec_b32 s29, vcc_lo
	s_xor_b32 s29, exec_lo, s29
	s_cbranch_execz .LBB6_18157
; %bb.18154:                            ;   in Loop: Header=BB6_16763 Depth=2
	v_bfe_u32 v2, v13, 18, 5
	s_mov_b32 s40, exec_lo
	s_delay_alu instid0(VALU_DEP_1)
	v_cmpx_eq_u32_e32 0, v2
; %bb.18155:                            ;   in Loop: Header=BB6_16763 Depth=2
	v_clz_i32_u32_e32 v1, v1
	s_delay_alu instid0(VALU_DEP_1) | instskip(NEXT) | instid1(VALU_DEP_1)
	v_min_u32_e32 v1, 32, v1
	v_subrev_nc_u32_e32 v2, 29, v1
	s_delay_alu instid0(VALU_DEP_1) | instskip(NEXT) | instid1(VALU_DEP_1)
	v_lshlrev_b64_e32 v[6:7], v2, v[0:1]
	v_dual_sub_nc_u32 v2, 30, v1 :: v_dual_bitop2_b32 v1, 3, v6 bitop3:0x40
; %bb.18156:                            ;   in Loop: Header=BB6_16763 Depth=2
	s_or_b32 exec_lo, exec_lo, s40
	v_lshlrev_b32_e32 v0, 24, v0
	s_delay_alu instid0(VALU_DEP_1) | instskip(NEXT) | instid1(VALU_DEP_1)
	v_and_b32_e32 v0, 0x80000000, v0
	v_lshl_add_u32 v0, v2, 23, v0
	s_delay_alu instid0(VALU_DEP_1) | instskip(NEXT) | instid1(VALU_DEP_1)
	v_lshl_or_b32 v0, v1, 21, v0
                                        ; implicit-def: $vgpr1
	v_add_nc_u32_e32 v2, 0x38000000, v0
                                        ; implicit-def: $vgpr0
.LBB6_18157:                            ;   in Loop: Header=BB6_16763 Depth=2
	s_and_not1_saveexec_b32 s29, s29
; %bb.18158:                            ;   in Loop: Header=BB6_16763 Depth=2
	v_bfe_i32 v0, v0, 0, 8
	s_delay_alu instid0(VALU_DEP_1) | instskip(SKIP_2) | instid1(VALU_DEP_2)
	v_cmp_lt_i16_e32 vcc_lo, -1, v0
	v_cndmask_b32_e32 v0, 0xff800000, v29, vcc_lo
	v_cmp_eq_u32_e32 vcc_lo, 0, v1
	v_cndmask_b32_e32 v2, 0x7f800001, v0, vcc_lo
; %bb.18159:                            ;   in Loop: Header=BB6_16763 Depth=2
	s_or_b32 exec_lo, exec_lo, s29
.LBB6_18160:                            ;   in Loop: Header=BB6_16763 Depth=2
	s_delay_alu instid0(SALU_CYCLE_1)
	s_or_b32 exec_lo, exec_lo, s28
.LBB6_18161:                            ;   in Loop: Header=BB6_16763 Depth=2
	s_delay_alu instid0(SALU_CYCLE_1) | instskip(NEXT) | instid1(VALU_DEP_1)
	s_or_b32 exec_lo, exec_lo, s10
	v_dual_mul_f32 v0, s27, v2 :: v_dual_mov_b32 v3, v55
                                        ; implicit-def: $vgpr63
	s_mov_b32 s10, exec_lo
	s_delay_alu instid0(VALU_DEP_1) | instskip(SKIP_2) | instid1(VALU_DEP_3)
	v_and_b32_e32 v2, 0x7f800000, v0
	v_and_b32_e32 v54, 0x7fffff, v0
	v_lshrrev_b32_e32 v1, 24, v0
	v_cmpx_ne_u64_e32 0x7f800000, v[2:3]
	s_xor_b32 s28, exec_lo, s10
	s_cbranch_execz .LBB6_18175
; %bb.18162:                            ;   in Loop: Header=BB6_16763 Depth=2
	v_and_b32_e32 v2, 0x7fffffff, v0
	v_mov_b32_e32 v3, v55
	v_and_b32_e32 v5, 0x80, v1
                                        ; implicit-def: $vgpr63
	s_mov_b32 s10, exec_lo
	s_delay_alu instid0(VALU_DEP_2)
	v_cmpx_gt_u64_e32 0x47600001, v[2:3]
	s_xor_b32 s29, exec_lo, s10
	s_cbranch_execz .LBB6_18172
; %bb.18163:                            ;   in Loop: Header=BB6_16763 Depth=2
	v_mov_b32_e32 v63, 0
	s_mov_b32 s40, exec_lo
	v_cmpx_ne_u32_e32 0, v0
	s_cbranch_execz .LBB6_18171
; %bb.18164:                            ;   in Loop: Header=BB6_16763 Depth=2
	v_bfe_u32 v6, v0, 23, 8
	v_or_b32_e32 v2, 0x800000, v54
	s_mov_b32 s41, exec_lo
	s_delay_alu instid0(VALU_DEP_2) | instskip(SKIP_1) | instid1(VALU_DEP_2)
	v_dual_mov_b32 v3, v55 :: v_dual_sub_nc_u32 v0, 0x71, v6
	v_cmp_gt_u32_e32 vcc_lo, 0x72, v6
	v_cndmask_b32_e32 v0, 0, v0, vcc_lo
	v_cmp_eq_u32_e32 vcc_lo, 0, v6
	s_delay_alu instid0(VALU_DEP_2) | instskip(NEXT) | instid1(VALU_DEP_1)
	v_cndmask_b32_e64 v7, v0, 0x70, vcc_lo
	v_dual_cndmask_b32 v2, v2, v54, vcc_lo :: v_dual_add_nc_u32 v0, 21, v7
	v_add_nc_u32_e32 v8, 20, v7
	s_delay_alu instid0(VALU_DEP_2) | instskip(NEXT) | instid1(VALU_DEP_2)
	v_lshlrev_b64_e64 v[0:1], v0, -1
	v_lshlrev_b64_e64 v[8:9], v8, 1
	s_delay_alu instid0(VALU_DEP_2) | instskip(NEXT) | instid1(VALU_DEP_3)
	v_bfi_b32 v11, v1, 0, 0
	v_bfi_b32 v10, v0, 0, v2
	v_lshrrev_b64 v[0:1], v7, v[2:3]
	s_delay_alu instid0(VALU_DEP_1) | instskip(NEXT) | instid1(VALU_DEP_3)
	v_mov_b64_e32 v[2:3], v[0:1]
	v_cmpx_eq_u64_e64 v[10:11], v[8:9]
; %bb.18165:                            ;   in Loop: Header=BB6_16763 Depth=2
	v_bfe_u32 v2, v0, 21, 1
	v_mov_b32_e32 v3, v55
	s_delay_alu instid0(VALU_DEP_1) | instskip(NEXT) | instid1(VALU_DEP_1)
	v_add_nc_u64_e32 v[2:3], v[0:1], v[2:3]
	v_add_nc_u64_e32 v[2:3], -1, v[2:3]
; %bb.18166:                            ;   in Loop: Header=BB6_16763 Depth=2
	s_or_b32 exec_lo, exec_lo, s41
	v_add_nc_u32_e32 v1, 0xffffff81, v6
	v_lshrrev_b32_e32 v3, 23, v0
	s_mov_b32 s10, exec_lo
	s_delay_alu instid0(VALU_DEP_2) | instskip(NEXT) | instid1(VALU_DEP_1)
	v_cndmask_b32_e64 v1, v1, 0xffffff82, vcc_lo
	v_add3_u32 v3, v7, v1, v3
	v_and_b32_e32 v1, 0x1fffff, v2
                                        ; implicit-def: $vgpr2
	s_delay_alu instid0(VALU_DEP_1) | instskip(NEXT) | instid1(VALU_DEP_1)
	v_dual_add_nc_u32 v6, 14, v3 :: v_dual_add_nc_u32 v54, v1, v0
                                        ; implicit-def: $vgpr0_vgpr1
	v_cmpx_ne_u32_e32 0, v6
	s_xor_b32 s10, exec_lo, s10
; %bb.18167:                            ;   in Loop: Header=BB6_16763 Depth=2
	s_delay_alu instid0(VALU_DEP_2) | instskip(SKIP_1) | instid1(VALU_DEP_1)
	v_cmp_lt_u64_e32 vcc_lo, 0xffffff, v[54:55]
	v_add_nc_u32_e32 v0, 15, v3
	v_cndmask_b32_e32 v2, v6, v0, vcc_lo
	v_cndmask_b32_e64 v0, 0, 1, vcc_lo
	s_delay_alu instid0(VALU_DEP_1)
	v_lshrrev_b64 v[0:1], v0, v[54:55]
; %bb.18168:                            ;   in Loop: Header=BB6_16763 Depth=2
	s_and_not1_saveexec_b32 s10, s10
; %bb.18169:                            ;   in Loop: Header=BB6_16763 Depth=2
	v_mov_b64_e32 v[0:1], v[54:55]
	v_bfe_u32 v2, v54, 23, 1
; %bb.18170:                            ;   in Loop: Header=BB6_16763 Depth=2
	s_or_b32 exec_lo, exec_lo, s10
	s_delay_alu instid0(VALU_DEP_2) | instskip(NEXT) | instid1(VALU_DEP_2)
	v_lshrrev_b64 v[0:1], 21, v[0:1]
	v_cmp_gt_i32_e32 vcc_lo, 32, v2
	v_min_i32_e32 v3, 31, v2
	v_cmp_eq_u32_e64 s10, 0, v2
	s_delay_alu instid0(VALU_DEP_2) | instskip(SKIP_1) | instid1(VALU_DEP_2)
	v_dual_cndmask_b32 v1, 0, v1, vcc_lo :: v_dual_lshlrev_b32 v3, 2, v3
	v_cndmask_b32_e32 v0, 3, v0, vcc_lo
	v_and_b32_e32 v3, 0xfc, v3
	s_delay_alu instid0(VALU_DEP_2) | instskip(NEXT) | instid1(VALU_DEP_2)
	v_cmp_eq_u64_e32 vcc_lo, 0, v[0:1]
	v_and_or_b32 v0, v0, 3, v3
	s_and_b32 s10, s10, vcc_lo
	s_delay_alu instid0(VALU_DEP_1) | instid1(SALU_CYCLE_1)
	v_cndmask_b32_e64 v0, v0, 0, s10
	s_delay_alu instid0(VALU_DEP_1)
	v_or_b32_e32 v63, v0, v5
.LBB6_18171:                            ;   in Loop: Header=BB6_16763 Depth=2
	s_or_b32 exec_lo, exec_lo, s40
                                        ; implicit-def: $vgpr5
.LBB6_18172:                            ;   in Loop: Header=BB6_16763 Depth=2
	s_and_not1_saveexec_b32 s10, s29
; %bb.18173:                            ;   in Loop: Header=BB6_16763 Depth=2
	v_or_b32_e32 v63, 0x7b, v5
; %bb.18174:                            ;   in Loop: Header=BB6_16763 Depth=2
	s_or_b32 exec_lo, exec_lo, s10
                                        ; implicit-def: $vgpr0
                                        ; implicit-def: $vgpr1
.LBB6_18175:                            ;   in Loop: Header=BB6_16763 Depth=2
	s_and_not1_saveexec_b32 s10, s28
	s_cbranch_execz .LBB6_18181
; %bb.18176:                            ;   in Loop: Header=BB6_16763 Depth=2
	s_mov_b32 s28, exec_lo
                                        ; implicit-def: $vgpr63
	v_cmpx_ne_u64_e32 0, v[54:55]
	s_xor_b32 s28, exec_lo, s28
; %bb.18177:                            ;   in Loop: Header=BB6_16763 Depth=2
	v_or_b32_e32 v63, 0x7f, v1
                                        ; implicit-def: $vgpr0
; %bb.18178:                            ;   in Loop: Header=BB6_16763 Depth=2
	s_and_not1_saveexec_b32 s28, s28
; %bb.18179:                            ;   in Loop: Header=BB6_16763 Depth=2
	v_cmp_lt_i32_e32 vcc_lo, -1, v0
	v_cndmask_b32_e32 v63, 0xfc, v30, vcc_lo
; %bb.18180:                            ;   in Loop: Header=BB6_16763 Depth=2
	s_or_b32 exec_lo, exec_lo, s28
.LBB6_18181:                            ;   in Loop: Header=BB6_16763 Depth=2
	s_delay_alu instid0(SALU_CYCLE_1)
	s_or_b32 exec_lo, exec_lo, s10
	v_mov_b32_e32 v1, 0
	s_mov_b32 s10, exec_lo
	v_cmpx_lt_u64_e64 s[12:13], v[12:13]
	s_cbranch_execz .LBB6_18191
; %bb.18182:                            ;   in Loop: Header=BB6_16763 Depth=2
	v_lshrrev_b32_e32 v0, 24, v13
	v_bfrev_b32_e32 v1, 1
	s_mov_b32 s28, exec_lo
	s_delay_alu instid0(VALU_DEP_2)
	v_cmpx_ne_u32_e32 0x80, v0
	s_cbranch_execz .LBB6_18190
; %bb.18183:                            ;   in Loop: Header=BB6_16763 Depth=2
	v_and_b32_e32 v1, 0x7c000000, v13
	v_bfe_u32 v2, v13, 24, 2
	s_delay_alu instid0(VALU_DEP_2) | instskip(SKIP_1) | instid1(SALU_CYCLE_1)
	v_cmp_ne_u32_e32 vcc_lo, 0x7c000000, v1
                                        ; implicit-def: $vgpr1
	s_and_saveexec_b32 s29, vcc_lo
	s_xor_b32 s29, exec_lo, s29
	s_cbranch_execz .LBB6_18187
; %bb.18184:                            ;   in Loop: Header=BB6_16763 Depth=2
	v_bfe_u32 v1, v13, 26, 5
	s_mov_b32 s40, exec_lo
	s_delay_alu instid0(VALU_DEP_1)
	v_cmpx_eq_u32_e32 0, v1
; %bb.18185:                            ;   in Loop: Header=BB6_16763 Depth=2
	v_clz_i32_u32_e32 v1, v2
	s_delay_alu instid0(VALU_DEP_1) | instskip(NEXT) | instid1(VALU_DEP_1)
	v_min_u32_e32 v2, 32, v1
	v_subrev_nc_u32_e32 v1, 29, v2
	s_delay_alu instid0(VALU_DEP_1) | instskip(NEXT) | instid1(VALU_DEP_1)
	v_lshlrev_b64_e32 v[0:1], v1, v[0:1]
	v_dual_sub_nc_u32 v1, 30, v2 :: v_dual_bitop2_b32 v2, 3, v0 bitop3:0x40
; %bb.18186:                            ;   in Loop: Header=BB6_16763 Depth=2
	s_or_b32 exec_lo, exec_lo, s40
	v_and_b32_e32 v0, 0x80000000, v13
                                        ; implicit-def: $vgpr12_vgpr13
	s_delay_alu instid0(VALU_DEP_1) | instskip(NEXT) | instid1(VALU_DEP_1)
	v_lshl_add_u32 v0, v1, 23, v0
	v_lshl_or_b32 v0, v2, 21, v0
                                        ; implicit-def: $vgpr2
	s_delay_alu instid0(VALU_DEP_1)
	v_add_nc_u32_e32 v1, 0x38000000, v0
.LBB6_18187:                            ;   in Loop: Header=BB6_16763 Depth=2
	s_and_not1_saveexec_b32 s29, s29
; %bb.18188:                            ;   in Loop: Header=BB6_16763 Depth=2
	v_cmp_lt_i64_e32 vcc_lo, -1, v[12:13]
	v_cndmask_b32_e32 v0, 0xff800000, v29, vcc_lo
	v_cmp_eq_u32_e32 vcc_lo, 0, v2
	s_delay_alu instid0(VALU_DEP_2)
	v_cndmask_b32_e32 v1, 0x7f800001, v0, vcc_lo
; %bb.18189:                            ;   in Loop: Header=BB6_16763 Depth=2
	s_or_b32 exec_lo, exec_lo, s29
.LBB6_18190:                            ;   in Loop: Header=BB6_16763 Depth=2
	s_delay_alu instid0(SALU_CYCLE_1)
	s_or_b32 exec_lo, exec_lo, s28
.LBB6_18191:                            ;   in Loop: Header=BB6_16763 Depth=2
	s_delay_alu instid0(SALU_CYCLE_1) | instskip(NEXT) | instid1(VALU_DEP_1)
	s_or_b32 exec_lo, exec_lo, s10
	v_dual_mul_f32 v0, s27, v1 :: v_dual_mov_b32 v3, v55
                                        ; implicit-def: $vgpr72
	s_mov_b32 s10, exec_lo
	s_delay_alu instid0(VALU_DEP_1) | instskip(SKIP_2) | instid1(VALU_DEP_3)
	v_and_b32_e32 v2, 0x7f800000, v0
	v_and_b32_e32 v54, 0x7fffff, v0
	v_lshrrev_b32_e32 v1, 24, v0
	v_cmpx_ne_u64_e32 0x7f800000, v[2:3]
	s_xor_b32 s28, exec_lo, s10
	s_cbranch_execz .LBB6_18205
; %bb.18192:                            ;   in Loop: Header=BB6_16763 Depth=2
	v_and_b32_e32 v2, 0x7fffffff, v0
	v_mov_b32_e32 v3, v55
	v_and_b32_e32 v5, 0x80, v1
                                        ; implicit-def: $vgpr72
	s_mov_b32 s10, exec_lo
	s_delay_alu instid0(VALU_DEP_2)
	v_cmpx_gt_u64_e32 0x47600001, v[2:3]
	s_xor_b32 s29, exec_lo, s10
	s_cbranch_execz .LBB6_18202
; %bb.18193:                            ;   in Loop: Header=BB6_16763 Depth=2
	v_mov_b32_e32 v72, 0
	s_mov_b32 s40, exec_lo
	v_cmpx_ne_u32_e32 0, v0
	s_cbranch_execz .LBB6_18201
; %bb.18194:                            ;   in Loop: Header=BB6_16763 Depth=2
	v_bfe_u32 v6, v0, 23, 8
	v_or_b32_e32 v2, 0x800000, v54
	s_mov_b32 s41, exec_lo
	s_delay_alu instid0(VALU_DEP_2) | instskip(SKIP_1) | instid1(VALU_DEP_2)
	v_dual_mov_b32 v3, v55 :: v_dual_sub_nc_u32 v0, 0x71, v6
	v_cmp_gt_u32_e32 vcc_lo, 0x72, v6
	v_cndmask_b32_e32 v0, 0, v0, vcc_lo
	v_cmp_eq_u32_e32 vcc_lo, 0, v6
	s_delay_alu instid0(VALU_DEP_2) | instskip(NEXT) | instid1(VALU_DEP_1)
	v_cndmask_b32_e64 v7, v0, 0x70, vcc_lo
	v_dual_cndmask_b32 v2, v2, v54, vcc_lo :: v_dual_add_nc_u32 v0, 21, v7
	v_add_nc_u32_e32 v8, 20, v7
	s_delay_alu instid0(VALU_DEP_2) | instskip(NEXT) | instid1(VALU_DEP_2)
	v_lshlrev_b64_e64 v[0:1], v0, -1
	v_lshlrev_b64_e64 v[8:9], v8, 1
	s_delay_alu instid0(VALU_DEP_2) | instskip(NEXT) | instid1(VALU_DEP_3)
	v_bfi_b32 v11, v1, 0, 0
	v_bfi_b32 v10, v0, 0, v2
	v_lshrrev_b64 v[0:1], v7, v[2:3]
	s_delay_alu instid0(VALU_DEP_1) | instskip(NEXT) | instid1(VALU_DEP_3)
	v_mov_b64_e32 v[2:3], v[0:1]
	v_cmpx_eq_u64_e64 v[10:11], v[8:9]
; %bb.18195:                            ;   in Loop: Header=BB6_16763 Depth=2
	v_bfe_u32 v2, v0, 21, 1
	v_mov_b32_e32 v3, v55
	s_delay_alu instid0(VALU_DEP_1) | instskip(NEXT) | instid1(VALU_DEP_1)
	v_add_nc_u64_e32 v[2:3], v[0:1], v[2:3]
	v_add_nc_u64_e32 v[2:3], -1, v[2:3]
; %bb.18196:                            ;   in Loop: Header=BB6_16763 Depth=2
	s_or_b32 exec_lo, exec_lo, s41
	v_add_nc_u32_e32 v1, 0xffffff81, v6
	v_lshrrev_b32_e32 v3, 23, v0
	s_mov_b32 s10, exec_lo
	s_delay_alu instid0(VALU_DEP_2) | instskip(NEXT) | instid1(VALU_DEP_1)
	v_cndmask_b32_e64 v1, v1, 0xffffff82, vcc_lo
	v_add3_u32 v3, v7, v1, v3
	v_and_b32_e32 v1, 0x1fffff, v2
                                        ; implicit-def: $vgpr2
	s_delay_alu instid0(VALU_DEP_1) | instskip(NEXT) | instid1(VALU_DEP_1)
	v_dual_add_nc_u32 v6, 14, v3 :: v_dual_add_nc_u32 v54, v1, v0
                                        ; implicit-def: $vgpr0_vgpr1
	v_cmpx_ne_u32_e32 0, v6
	s_xor_b32 s10, exec_lo, s10
; %bb.18197:                            ;   in Loop: Header=BB6_16763 Depth=2
	s_delay_alu instid0(VALU_DEP_2) | instskip(SKIP_1) | instid1(VALU_DEP_1)
	v_cmp_lt_u64_e32 vcc_lo, 0xffffff, v[54:55]
	v_add_nc_u32_e32 v0, 15, v3
	v_cndmask_b32_e32 v2, v6, v0, vcc_lo
	v_cndmask_b32_e64 v0, 0, 1, vcc_lo
	s_delay_alu instid0(VALU_DEP_1)
	v_lshrrev_b64 v[0:1], v0, v[54:55]
; %bb.18198:                            ;   in Loop: Header=BB6_16763 Depth=2
	s_and_not1_saveexec_b32 s10, s10
; %bb.18199:                            ;   in Loop: Header=BB6_16763 Depth=2
	v_mov_b64_e32 v[0:1], v[54:55]
	v_bfe_u32 v2, v54, 23, 1
; %bb.18200:                            ;   in Loop: Header=BB6_16763 Depth=2
	s_or_b32 exec_lo, exec_lo, s10
	s_delay_alu instid0(VALU_DEP_2) | instskip(NEXT) | instid1(VALU_DEP_2)
	v_lshrrev_b64 v[0:1], 21, v[0:1]
	v_cmp_gt_i32_e32 vcc_lo, 32, v2
	v_min_i32_e32 v3, 31, v2
	v_cmp_eq_u32_e64 s10, 0, v2
	s_delay_alu instid0(VALU_DEP_2) | instskip(SKIP_1) | instid1(VALU_DEP_2)
	v_dual_cndmask_b32 v1, 0, v1, vcc_lo :: v_dual_lshlrev_b32 v3, 2, v3
	v_cndmask_b32_e32 v0, 3, v0, vcc_lo
	v_and_b32_e32 v3, 0xfc, v3
	s_delay_alu instid0(VALU_DEP_2) | instskip(NEXT) | instid1(VALU_DEP_2)
	v_cmp_eq_u64_e32 vcc_lo, 0, v[0:1]
	v_and_or_b32 v0, v0, 3, v3
	s_and_b32 s10, s10, vcc_lo
	s_delay_alu instid0(VALU_DEP_1) | instid1(SALU_CYCLE_1)
	v_cndmask_b32_e64 v0, v0, 0, s10
	s_delay_alu instid0(VALU_DEP_1)
	v_or_b32_e32 v72, v0, v5
.LBB6_18201:                            ;   in Loop: Header=BB6_16763 Depth=2
	s_or_b32 exec_lo, exec_lo, s40
                                        ; implicit-def: $vgpr5
.LBB6_18202:                            ;   in Loop: Header=BB6_16763 Depth=2
	s_and_not1_saveexec_b32 s10, s29
; %bb.18203:                            ;   in Loop: Header=BB6_16763 Depth=2
	v_or_b32_e32 v72, 0x7b, v5
; %bb.18204:                            ;   in Loop: Header=BB6_16763 Depth=2
	s_or_b32 exec_lo, exec_lo, s10
                                        ; implicit-def: $vgpr0
                                        ; implicit-def: $vgpr1
.LBB6_18205:                            ;   in Loop: Header=BB6_16763 Depth=2
	s_and_not1_saveexec_b32 s10, s28
	s_cbranch_execz .LBB6_18211
; %bb.18206:                            ;   in Loop: Header=BB6_16763 Depth=2
	s_mov_b32 s28, exec_lo
                                        ; implicit-def: $vgpr72
	v_cmpx_ne_u64_e32 0, v[54:55]
	s_xor_b32 s28, exec_lo, s28
; %bb.18207:                            ;   in Loop: Header=BB6_16763 Depth=2
	v_or_b32_e32 v72, 0x7f, v1
                                        ; implicit-def: $vgpr0
; %bb.18208:                            ;   in Loop: Header=BB6_16763 Depth=2
	s_and_not1_saveexec_b32 s28, s28
; %bb.18209:                            ;   in Loop: Header=BB6_16763 Depth=2
	v_cmp_lt_i32_e32 vcc_lo, -1, v0
	v_cndmask_b32_e32 v72, 0xfc, v30, vcc_lo
; %bb.18210:                            ;   in Loop: Header=BB6_16763 Depth=2
	s_or_b32 exec_lo, exec_lo, s28
.LBB6_18211:                            ;   in Loop: Header=BB6_16763 Depth=2
	s_delay_alu instid0(SALU_CYCLE_1) | instskip(SKIP_3) | instid1(VALU_DEP_1)
	s_or_b32 exec_lo, exec_lo, s10
	global_load_b128 v[10:13], v[14:15], off offset:1536 th:TH_LOAD_NT
	s_wait_loadcnt 0x0
	v_and_b32_e32 v0, 0xff, v10
	v_cmp_ne_u16_e32 vcc_lo, 0, v0
	v_mov_b32_e32 v0, 0
	s_wait_xcnt 0x0
	s_and_saveexec_b32 s10, vcc_lo
	s_cbranch_execz .LBB6_18221
; %bb.18212:                            ;   in Loop: Header=BB6_16763 Depth=2
	v_bfe_i32 v2, v10, 0, 8
	v_bfrev_b32_e32 v0, 1
	s_mov_b32 s28, exec_lo
	s_delay_alu instid0(VALU_DEP_2)
	v_cmpx_ne_u16_e32 0xff80, v2
	s_cbranch_execz .LBB6_18220
; %bb.18213:                            ;   in Loop: Header=BB6_16763 Depth=2
	v_and_b32_e32 v0, 0x7c, v10
	v_and_b32_e32 v1, 3, v10
	s_delay_alu instid0(VALU_DEP_2) | instskip(SKIP_1) | instid1(SALU_CYCLE_1)
	v_cmp_ne_u32_e32 vcc_lo, 0x7c, v0
                                        ; implicit-def: $vgpr0
	s_and_saveexec_b32 s29, vcc_lo
	s_xor_b32 s29, exec_lo, s29
	s_cbranch_execz .LBB6_18217
; %bb.18214:                            ;   in Loop: Header=BB6_16763 Depth=2
	v_bfe_u32 v0, v10, 2, 5
	s_mov_b32 s40, exec_lo
	s_delay_alu instid0(VALU_DEP_1)
	v_cmpx_eq_u32_e32 0, v0
; %bb.18215:                            ;   in Loop: Header=BB6_16763 Depth=2
	v_clz_i32_u32_e32 v0, v1
	s_delay_alu instid0(VALU_DEP_1) | instskip(NEXT) | instid1(VALU_DEP_1)
	v_min_u32_e32 v0, 32, v0
	v_subrev_nc_u32_e32 v1, 29, v0
	s_delay_alu instid0(VALU_DEP_1) | instskip(NEXT) | instid1(VALU_DEP_1)
	v_lshlrev_b64_e32 v[2:3], v1, v[10:11]
	v_dual_sub_nc_u32 v0, 30, v0 :: v_dual_bitop2_b32 v1, 3, v2 bitop3:0x40
; %bb.18216:                            ;   in Loop: Header=BB6_16763 Depth=2
	s_or_b32 exec_lo, exec_lo, s40
	v_lshlrev_b32_e32 v2, 24, v10
	s_delay_alu instid0(VALU_DEP_1) | instskip(NEXT) | instid1(VALU_DEP_1)
	v_and_b32_e32 v2, 0x80000000, v2
	v_lshl_add_u32 v0, v0, 23, v2
                                        ; implicit-def: $vgpr2
	s_delay_alu instid0(VALU_DEP_1) | instskip(NEXT) | instid1(VALU_DEP_1)
	v_lshl_or_b32 v0, v1, 21, v0
                                        ; implicit-def: $vgpr1
	v_add_nc_u32_e32 v0, 0x38000000, v0
.LBB6_18217:                            ;   in Loop: Header=BB6_16763 Depth=2
	s_and_not1_saveexec_b32 s29, s29
; %bb.18218:                            ;   in Loop: Header=BB6_16763 Depth=2
	v_cmp_lt_i16_e32 vcc_lo, -1, v2
	v_cndmask_b32_e32 v0, 0xff800000, v29, vcc_lo
	v_cmp_eq_u32_e32 vcc_lo, 0, v1
	s_delay_alu instid0(VALU_DEP_2)
	v_cndmask_b32_e32 v0, 0x7f800001, v0, vcc_lo
; %bb.18219:                            ;   in Loop: Header=BB6_16763 Depth=2
	s_or_b32 exec_lo, exec_lo, s29
.LBB6_18220:                            ;   in Loop: Header=BB6_16763 Depth=2
	s_delay_alu instid0(SALU_CYCLE_1)
	s_or_b32 exec_lo, exec_lo, s28
.LBB6_18221:                            ;   in Loop: Header=BB6_16763 Depth=2
	s_delay_alu instid0(SALU_CYCLE_1) | instskip(NEXT) | instid1(VALU_DEP_1)
	s_or_b32 exec_lo, exec_lo, s10
	v_dual_mul_f32 v0, s27, v0 :: v_dual_mov_b32 v3, v55
                                        ; implicit-def: $vgpr73
	s_mov_b32 s10, exec_lo
	s_delay_alu instid0(VALU_DEP_1) | instskip(SKIP_2) | instid1(VALU_DEP_3)
	v_and_b32_e32 v2, 0x7f800000, v0
	v_and_b32_e32 v54, 0x7fffff, v0
	v_lshrrev_b32_e32 v1, 24, v0
	v_cmpx_ne_u64_e32 0x7f800000, v[2:3]
	s_xor_b32 s28, exec_lo, s10
	s_cbranch_execz .LBB6_18235
; %bb.18222:                            ;   in Loop: Header=BB6_16763 Depth=2
	v_and_b32_e32 v2, 0x7fffffff, v0
	v_mov_b32_e32 v3, v55
	v_and_b32_e32 v5, 0x80, v1
                                        ; implicit-def: $vgpr73
	s_mov_b32 s10, exec_lo
	s_delay_alu instid0(VALU_DEP_2)
	v_cmpx_gt_u64_e32 0x47600001, v[2:3]
	s_xor_b32 s29, exec_lo, s10
	s_cbranch_execz .LBB6_18232
; %bb.18223:                            ;   in Loop: Header=BB6_16763 Depth=2
	v_mov_b32_e32 v73, 0
	s_mov_b32 s40, exec_lo
	v_cmpx_ne_u32_e32 0, v0
	s_cbranch_execz .LBB6_18231
; %bb.18224:                            ;   in Loop: Header=BB6_16763 Depth=2
	v_bfe_u32 v6, v0, 23, 8
	v_or_b32_e32 v1, 0x800000, v54
	s_delay_alu instid0(VALU_DEP_2) | instskip(SKIP_2) | instid1(VALU_DEP_2)
	v_cmp_gt_u32_e64 s10, 0x72, v6
	v_sub_nc_u32_e32 v0, 0x71, v6
	v_cmp_eq_u32_e32 vcc_lo, 0, v6
	v_cndmask_b32_e64 v0, 0, v0, s10
	s_delay_alu instid0(VALU_DEP_1) | instskip(SKIP_1) | instid1(VALU_DEP_2)
	v_cndmask_b32_e64 v7, v0, 0x70, vcc_lo
	v_dual_cndmask_b32 v0, v1, v54 :: v_dual_mov_b32 v1, v55
	v_dual_add_nc_u32 v2, 21, v7 :: v_dual_add_nc_u32 v8, 20, v7
	s_delay_alu instid0(VALU_DEP_1) | instskip(NEXT) | instid1(VALU_DEP_2)
	v_lshlrev_b64_e64 v[2:3], v2, -1
	v_lshlrev_b64_e64 v[8:9], v8, 1
	s_delay_alu instid0(VALU_DEP_2) | instskip(SKIP_1) | instid1(VALU_DEP_4)
	v_bfi_b32 v2, v2, 0, v0
	v_lshrrev_b64 v[0:1], v7, v[0:1]
	v_bfi_b32 v3, v3, 0, 0
	s_delay_alu instid0(VALU_DEP_1) | instskip(NEXT) | instid1(VALU_DEP_3)
	v_cmp_eq_u64_e64 s10, v[2:3], v[8:9]
	v_mov_b64_e32 v[2:3], v[0:1]
	s_and_saveexec_b32 s41, s10
; %bb.18225:                            ;   in Loop: Header=BB6_16763 Depth=2
	v_bfe_u32 v2, v0, 21, 1
	v_mov_b32_e32 v3, v55
	s_delay_alu instid0(VALU_DEP_1) | instskip(NEXT) | instid1(VALU_DEP_1)
	v_add_nc_u64_e32 v[2:3], v[0:1], v[2:3]
	v_add_nc_u64_e32 v[2:3], -1, v[2:3]
; %bb.18226:                            ;   in Loop: Header=BB6_16763 Depth=2
	s_or_b32 exec_lo, exec_lo, s41
	v_add_nc_u32_e32 v1, 0xffffff81, v6
	v_lshrrev_b32_e32 v3, 23, v0
	s_mov_b32 s10, exec_lo
	s_delay_alu instid0(VALU_DEP_2) | instskip(NEXT) | instid1(VALU_DEP_1)
	v_cndmask_b32_e64 v1, v1, 0xffffff82, vcc_lo
	v_add3_u32 v3, v7, v1, v3
	v_and_b32_e32 v1, 0x1fffff, v2
                                        ; implicit-def: $vgpr2
	s_delay_alu instid0(VALU_DEP_1) | instskip(NEXT) | instid1(VALU_DEP_1)
	v_dual_add_nc_u32 v6, 14, v3 :: v_dual_add_nc_u32 v54, v1, v0
                                        ; implicit-def: $vgpr0_vgpr1
	v_cmpx_ne_u32_e32 0, v6
	s_xor_b32 s10, exec_lo, s10
; %bb.18227:                            ;   in Loop: Header=BB6_16763 Depth=2
	s_delay_alu instid0(VALU_DEP_2) | instskip(SKIP_1) | instid1(VALU_DEP_1)
	v_cmp_lt_u64_e32 vcc_lo, 0xffffff, v[54:55]
	v_add_nc_u32_e32 v0, 15, v3
	v_cndmask_b32_e32 v2, v6, v0, vcc_lo
	v_cndmask_b32_e64 v0, 0, 1, vcc_lo
	s_delay_alu instid0(VALU_DEP_1)
	v_lshrrev_b64 v[0:1], v0, v[54:55]
; %bb.18228:                            ;   in Loop: Header=BB6_16763 Depth=2
	s_and_not1_saveexec_b32 s10, s10
; %bb.18229:                            ;   in Loop: Header=BB6_16763 Depth=2
	v_mov_b64_e32 v[0:1], v[54:55]
	v_bfe_u32 v2, v54, 23, 1
; %bb.18230:                            ;   in Loop: Header=BB6_16763 Depth=2
	s_or_b32 exec_lo, exec_lo, s10
	s_delay_alu instid0(VALU_DEP_2) | instskip(NEXT) | instid1(VALU_DEP_2)
	v_lshrrev_b64 v[0:1], 21, v[0:1]
	v_cmp_gt_i32_e32 vcc_lo, 32, v2
	v_min_i32_e32 v3, 31, v2
	v_cmp_eq_u32_e64 s10, 0, v2
	s_delay_alu instid0(VALU_DEP_2) | instskip(SKIP_1) | instid1(VALU_DEP_2)
	v_dual_cndmask_b32 v1, 0, v1, vcc_lo :: v_dual_lshlrev_b32 v3, 2, v3
	v_cndmask_b32_e32 v0, 3, v0, vcc_lo
	v_and_b32_e32 v3, 0xfc, v3
	s_delay_alu instid0(VALU_DEP_2) | instskip(NEXT) | instid1(VALU_DEP_2)
	v_cmp_eq_u64_e32 vcc_lo, 0, v[0:1]
	v_and_or_b32 v0, v0, 3, v3
	s_and_b32 s10, s10, vcc_lo
	s_delay_alu instid0(VALU_DEP_1) | instid1(SALU_CYCLE_1)
	v_cndmask_b32_e64 v0, v0, 0, s10
	s_delay_alu instid0(VALU_DEP_1)
	v_or_b32_e32 v73, v0, v5
.LBB6_18231:                            ;   in Loop: Header=BB6_16763 Depth=2
	s_or_b32 exec_lo, exec_lo, s40
                                        ; implicit-def: $vgpr5
.LBB6_18232:                            ;   in Loop: Header=BB6_16763 Depth=2
	s_and_not1_saveexec_b32 s10, s29
; %bb.18233:                            ;   in Loop: Header=BB6_16763 Depth=2
	v_or_b32_e32 v73, 0x7b, v5
; %bb.18234:                            ;   in Loop: Header=BB6_16763 Depth=2
	s_or_b32 exec_lo, exec_lo, s10
                                        ; implicit-def: $vgpr0
                                        ; implicit-def: $vgpr1
.LBB6_18235:                            ;   in Loop: Header=BB6_16763 Depth=2
	s_and_not1_saveexec_b32 s10, s28
	s_cbranch_execz .LBB6_18241
; %bb.18236:                            ;   in Loop: Header=BB6_16763 Depth=2
	s_mov_b32 s28, exec_lo
                                        ; implicit-def: $vgpr73
	v_cmpx_ne_u64_e32 0, v[54:55]
	s_xor_b32 s28, exec_lo, s28
; %bb.18237:                            ;   in Loop: Header=BB6_16763 Depth=2
	v_or_b32_e32 v73, 0x7f, v1
                                        ; implicit-def: $vgpr0
; %bb.18238:                            ;   in Loop: Header=BB6_16763 Depth=2
	s_and_not1_saveexec_b32 s28, s28
; %bb.18239:                            ;   in Loop: Header=BB6_16763 Depth=2
	v_cmp_lt_i32_e32 vcc_lo, -1, v0
	v_cndmask_b32_e32 v73, 0xfc, v30, vcc_lo
; %bb.18240:                            ;   in Loop: Header=BB6_16763 Depth=2
	s_or_b32 exec_lo, exec_lo, s28
.LBB6_18241:                            ;   in Loop: Header=BB6_16763 Depth=2
	s_delay_alu instid0(SALU_CYCLE_1) | instskip(SKIP_3) | instid1(VALU_DEP_2)
	s_or_b32 exec_lo, exec_lo, s10
	v_lshrrev_b16 v0, 8, v10
	v_mov_b32_e32 v2, 0
	s_mov_b32 s10, exec_lo
	v_cmpx_ne_u16_e32 0, v0
	s_cbranch_execz .LBB6_18251
; %bb.18242:                            ;   in Loop: Header=BB6_16763 Depth=2
	v_bfrev_b32_e32 v2, 1
	s_mov_b32 s28, exec_lo
	v_cmpx_ne_u16_e32 0x80, v0
	s_cbranch_execz .LBB6_18250
; %bb.18243:                            ;   in Loop: Header=BB6_16763 Depth=2
	v_and_b32_e32 v3, 0xffff, v0
	s_delay_alu instid0(VALU_DEP_1) | instskip(SKIP_1) | instid1(VALU_DEP_2)
	v_and_b32_e32 v2, 0x7c, v3
	v_and_b32_e32 v1, 3, v3
	v_cmp_ne_u32_e32 vcc_lo, 0x7c, v2
                                        ; implicit-def: $vgpr2
	s_and_saveexec_b32 s29, vcc_lo
	s_delay_alu instid0(SALU_CYCLE_1)
	s_xor_b32 s29, exec_lo, s29
	s_cbranch_execz .LBB6_18247
; %bb.18244:                            ;   in Loop: Header=BB6_16763 Depth=2
	v_bfe_u32 v2, v3, 2, 5
	s_mov_b32 s40, exec_lo
	s_delay_alu instid0(VALU_DEP_1)
	v_cmpx_eq_u32_e32 0, v2
	s_cbranch_execz .LBB6_18246
; %bb.18245:                            ;   in Loop: Header=BB6_16763 Depth=2
	v_clz_i32_u32_e32 v1, v1
	s_delay_alu instid0(VALU_DEP_1) | instskip(SKIP_1) | instid1(VALU_DEP_2)
	v_min_u32_e32 v2, 32, v1
	v_mov_b32_e32 v1, v55
	v_subrev_nc_u32_e32 v3, 29, v2
	v_sub_nc_u32_e32 v2, 30, v2
	s_delay_alu instid0(VALU_DEP_2) | instskip(NEXT) | instid1(VALU_DEP_1)
	v_lshlrev_b64_e32 v[0:1], v3, v[0:1]
	v_and_b32_e32 v1, 3, v0
.LBB6_18246:                            ;   in Loop: Header=BB6_16763 Depth=2
	s_or_b32 exec_lo, exec_lo, s40
	v_lshlrev_b32_e32 v0, 16, v10
	s_delay_alu instid0(VALU_DEP_1) | instskip(NEXT) | instid1(VALU_DEP_1)
	v_and_b32_e32 v0, 0x80000000, v0
	v_lshl_add_u32 v0, v2, 23, v0
	s_delay_alu instid0(VALU_DEP_1) | instskip(NEXT) | instid1(VALU_DEP_1)
	v_lshl_or_b32 v0, v1, 21, v0
                                        ; implicit-def: $vgpr1
	v_add_nc_u32_e32 v2, 0x38000000, v0
.LBB6_18247:                            ;   in Loop: Header=BB6_16763 Depth=2
	s_and_not1_saveexec_b32 s29, s29
; %bb.18248:                            ;   in Loop: Header=BB6_16763 Depth=2
	v_cmp_lt_i16_e32 vcc_lo, -1, v10
	v_cndmask_b32_e32 v0, 0xff800000, v29, vcc_lo
	v_cmp_eq_u32_e32 vcc_lo, 0, v1
	s_delay_alu instid0(VALU_DEP_2)
	v_cndmask_b32_e32 v2, 0x7f800001, v0, vcc_lo
; %bb.18249:                            ;   in Loop: Header=BB6_16763 Depth=2
	s_or_b32 exec_lo, exec_lo, s29
.LBB6_18250:                            ;   in Loop: Header=BB6_16763 Depth=2
	s_delay_alu instid0(SALU_CYCLE_1)
	s_or_b32 exec_lo, exec_lo, s28
.LBB6_18251:                            ;   in Loop: Header=BB6_16763 Depth=2
	s_delay_alu instid0(SALU_CYCLE_1) | instskip(NEXT) | instid1(VALU_DEP_1)
	s_or_b32 exec_lo, exec_lo, s10
	v_dual_mul_f32 v0, s27, v2 :: v_dual_mov_b32 v3, v55
                                        ; implicit-def: $vgpr74
	s_mov_b32 s10, exec_lo
	s_delay_alu instid0(VALU_DEP_1) | instskip(SKIP_2) | instid1(VALU_DEP_3)
	v_and_b32_e32 v2, 0x7f800000, v0
	v_and_b32_e32 v54, 0x7fffff, v0
	v_lshrrev_b32_e32 v1, 24, v0
	v_cmpx_ne_u64_e32 0x7f800000, v[2:3]
	s_xor_b32 s28, exec_lo, s10
	s_cbranch_execz .LBB6_18265
; %bb.18252:                            ;   in Loop: Header=BB6_16763 Depth=2
	v_and_b32_e32 v2, 0x7fffffff, v0
	v_mov_b32_e32 v3, v55
	v_and_b32_e32 v5, 0x80, v1
                                        ; implicit-def: $vgpr74
	s_mov_b32 s10, exec_lo
	s_delay_alu instid0(VALU_DEP_2)
	v_cmpx_gt_u64_e32 0x47600001, v[2:3]
	s_xor_b32 s29, exec_lo, s10
	s_cbranch_execz .LBB6_18262
; %bb.18253:                            ;   in Loop: Header=BB6_16763 Depth=2
	v_mov_b32_e32 v74, 0
	s_mov_b32 s40, exec_lo
	v_cmpx_ne_u32_e32 0, v0
	s_cbranch_execz .LBB6_18261
; %bb.18254:                            ;   in Loop: Header=BB6_16763 Depth=2
	v_bfe_u32 v6, v0, 23, 8
	v_or_b32_e32 v1, 0x800000, v54
	s_delay_alu instid0(VALU_DEP_2) | instskip(SKIP_2) | instid1(VALU_DEP_2)
	v_cmp_gt_u32_e64 s10, 0x72, v6
	v_sub_nc_u32_e32 v0, 0x71, v6
	v_cmp_eq_u32_e32 vcc_lo, 0, v6
	v_cndmask_b32_e64 v0, 0, v0, s10
	s_delay_alu instid0(VALU_DEP_1) | instskip(SKIP_1) | instid1(VALU_DEP_2)
	v_cndmask_b32_e64 v7, v0, 0x70, vcc_lo
	v_dual_cndmask_b32 v0, v1, v54 :: v_dual_mov_b32 v1, v55
	v_dual_add_nc_u32 v2, 21, v7 :: v_dual_add_nc_u32 v8, 20, v7
	s_delay_alu instid0(VALU_DEP_1) | instskip(NEXT) | instid1(VALU_DEP_2)
	v_lshlrev_b64_e64 v[2:3], v2, -1
	v_lshlrev_b64_e64 v[8:9], v8, 1
	s_delay_alu instid0(VALU_DEP_2) | instskip(SKIP_1) | instid1(VALU_DEP_4)
	v_bfi_b32 v2, v2, 0, v0
	v_lshrrev_b64 v[0:1], v7, v[0:1]
	v_bfi_b32 v3, v3, 0, 0
	s_delay_alu instid0(VALU_DEP_1) | instskip(NEXT) | instid1(VALU_DEP_3)
	v_cmp_eq_u64_e64 s10, v[2:3], v[8:9]
	v_mov_b64_e32 v[2:3], v[0:1]
	s_and_saveexec_b32 s41, s10
; %bb.18255:                            ;   in Loop: Header=BB6_16763 Depth=2
	v_bfe_u32 v2, v0, 21, 1
	v_mov_b32_e32 v3, v55
	s_delay_alu instid0(VALU_DEP_1) | instskip(NEXT) | instid1(VALU_DEP_1)
	v_add_nc_u64_e32 v[2:3], v[0:1], v[2:3]
	v_add_nc_u64_e32 v[2:3], -1, v[2:3]
; %bb.18256:                            ;   in Loop: Header=BB6_16763 Depth=2
	s_or_b32 exec_lo, exec_lo, s41
	v_add_nc_u32_e32 v1, 0xffffff81, v6
	v_lshrrev_b32_e32 v3, 23, v0
	s_mov_b32 s10, exec_lo
	s_delay_alu instid0(VALU_DEP_2) | instskip(NEXT) | instid1(VALU_DEP_1)
	v_cndmask_b32_e64 v1, v1, 0xffffff82, vcc_lo
	v_add3_u32 v3, v7, v1, v3
	v_and_b32_e32 v1, 0x1fffff, v2
                                        ; implicit-def: $vgpr2
	s_delay_alu instid0(VALU_DEP_1) | instskip(NEXT) | instid1(VALU_DEP_1)
	v_dual_add_nc_u32 v6, 14, v3 :: v_dual_add_nc_u32 v54, v1, v0
                                        ; implicit-def: $vgpr0_vgpr1
	v_cmpx_ne_u32_e32 0, v6
	s_xor_b32 s10, exec_lo, s10
; %bb.18257:                            ;   in Loop: Header=BB6_16763 Depth=2
	s_delay_alu instid0(VALU_DEP_2) | instskip(SKIP_1) | instid1(VALU_DEP_1)
	v_cmp_lt_u64_e32 vcc_lo, 0xffffff, v[54:55]
	v_add_nc_u32_e32 v0, 15, v3
	v_cndmask_b32_e32 v2, v6, v0, vcc_lo
	v_cndmask_b32_e64 v0, 0, 1, vcc_lo
	s_delay_alu instid0(VALU_DEP_1)
	v_lshrrev_b64 v[0:1], v0, v[54:55]
; %bb.18258:                            ;   in Loop: Header=BB6_16763 Depth=2
	s_and_not1_saveexec_b32 s10, s10
; %bb.18259:                            ;   in Loop: Header=BB6_16763 Depth=2
	v_mov_b64_e32 v[0:1], v[54:55]
	v_bfe_u32 v2, v54, 23, 1
; %bb.18260:                            ;   in Loop: Header=BB6_16763 Depth=2
	s_or_b32 exec_lo, exec_lo, s10
	s_delay_alu instid0(VALU_DEP_2) | instskip(NEXT) | instid1(VALU_DEP_2)
	v_lshrrev_b64 v[0:1], 21, v[0:1]
	v_cmp_gt_i32_e32 vcc_lo, 32, v2
	v_min_i32_e32 v3, 31, v2
	v_cmp_eq_u32_e64 s10, 0, v2
	s_delay_alu instid0(VALU_DEP_2) | instskip(SKIP_1) | instid1(VALU_DEP_2)
	v_dual_cndmask_b32 v1, 0, v1, vcc_lo :: v_dual_lshlrev_b32 v3, 2, v3
	v_cndmask_b32_e32 v0, 3, v0, vcc_lo
	v_and_b32_e32 v3, 0xfc, v3
	s_delay_alu instid0(VALU_DEP_2) | instskip(NEXT) | instid1(VALU_DEP_2)
	v_cmp_eq_u64_e32 vcc_lo, 0, v[0:1]
	v_and_or_b32 v0, v0, 3, v3
	s_and_b32 s10, s10, vcc_lo
	s_delay_alu instid0(VALU_DEP_1) | instid1(SALU_CYCLE_1)
	v_cndmask_b32_e64 v0, v0, 0, s10
	s_delay_alu instid0(VALU_DEP_1)
	v_or_b32_e32 v74, v0, v5
.LBB6_18261:                            ;   in Loop: Header=BB6_16763 Depth=2
	s_or_b32 exec_lo, exec_lo, s40
                                        ; implicit-def: $vgpr5
.LBB6_18262:                            ;   in Loop: Header=BB6_16763 Depth=2
	s_and_not1_saveexec_b32 s10, s29
; %bb.18263:                            ;   in Loop: Header=BB6_16763 Depth=2
	v_or_b32_e32 v74, 0x7b, v5
; %bb.18264:                            ;   in Loop: Header=BB6_16763 Depth=2
	s_or_b32 exec_lo, exec_lo, s10
                                        ; implicit-def: $vgpr0
                                        ; implicit-def: $vgpr1
.LBB6_18265:                            ;   in Loop: Header=BB6_16763 Depth=2
	s_and_not1_saveexec_b32 s10, s28
	s_cbranch_execz .LBB6_18271
; %bb.18266:                            ;   in Loop: Header=BB6_16763 Depth=2
	s_mov_b32 s28, exec_lo
                                        ; implicit-def: $vgpr74
	v_cmpx_ne_u64_e32 0, v[54:55]
	s_xor_b32 s28, exec_lo, s28
; %bb.18267:                            ;   in Loop: Header=BB6_16763 Depth=2
	v_or_b32_e32 v74, 0x7f, v1
                                        ; implicit-def: $vgpr0
; %bb.18268:                            ;   in Loop: Header=BB6_16763 Depth=2
	s_and_not1_saveexec_b32 s28, s28
; %bb.18269:                            ;   in Loop: Header=BB6_16763 Depth=2
	v_cmp_lt_i32_e32 vcc_lo, -1, v0
	v_cndmask_b32_e32 v74, 0xfc, v30, vcc_lo
; %bb.18270:                            ;   in Loop: Header=BB6_16763 Depth=2
	s_or_b32 exec_lo, exec_lo, s28
.LBB6_18271:                            ;   in Loop: Header=BB6_16763 Depth=2
	s_delay_alu instid0(SALU_CYCLE_1) | instskip(SKIP_2) | instid1(VALU_DEP_1)
	s_or_b32 exec_lo, exec_lo, s10
	v_dual_lshrrev_b32 v0, 16, v10 :: v_dual_mov_b32 v2, 0
	s_mov_b32 s10, exec_lo
	v_and_b32_e32 v1, 0xff, v0
	s_delay_alu instid0(VALU_DEP_1)
	v_cmpx_ne_u16_e32 0, v1
	s_cbranch_execz .LBB6_18281
; %bb.18272:                            ;   in Loop: Header=BB6_16763 Depth=2
	v_bfrev_b32_e32 v2, 1
	s_mov_b32 s28, exec_lo
	v_cmpx_ne_u16_e32 0x80, v1
	s_cbranch_execz .LBB6_18280
; %bb.18273:                            ;   in Loop: Header=BB6_16763 Depth=2
	v_and_b32_e32 v2, 0x7c0000, v10
	v_bfe_u32 v1, v10, 16, 2
	s_delay_alu instid0(VALU_DEP_2) | instskip(SKIP_1) | instid1(SALU_CYCLE_1)
	v_cmp_ne_u32_e32 vcc_lo, 0x7c0000, v2
                                        ; implicit-def: $vgpr2
	s_and_saveexec_b32 s29, vcc_lo
	s_xor_b32 s29, exec_lo, s29
	s_cbranch_execz .LBB6_18277
; %bb.18274:                            ;   in Loop: Header=BB6_16763 Depth=2
	v_bfe_u32 v2, v10, 18, 5
	s_mov_b32 s40, exec_lo
	s_delay_alu instid0(VALU_DEP_1)
	v_cmpx_eq_u32_e32 0, v2
; %bb.18275:                            ;   in Loop: Header=BB6_16763 Depth=2
	v_clz_i32_u32_e32 v1, v1
	s_delay_alu instid0(VALU_DEP_1) | instskip(NEXT) | instid1(VALU_DEP_1)
	v_min_u32_e32 v1, 32, v1
	v_subrev_nc_u32_e32 v2, 29, v1
	s_delay_alu instid0(VALU_DEP_1) | instskip(NEXT) | instid1(VALU_DEP_1)
	v_lshlrev_b64_e32 v[6:7], v2, v[0:1]
	v_dual_sub_nc_u32 v2, 30, v1 :: v_dual_bitop2_b32 v1, 3, v6 bitop3:0x40
; %bb.18276:                            ;   in Loop: Header=BB6_16763 Depth=2
	s_or_b32 exec_lo, exec_lo, s40
	v_lshlrev_b32_e32 v0, 24, v0
	s_delay_alu instid0(VALU_DEP_1) | instskip(NEXT) | instid1(VALU_DEP_1)
	v_and_b32_e32 v0, 0x80000000, v0
	v_lshl_add_u32 v0, v2, 23, v0
	s_delay_alu instid0(VALU_DEP_1) | instskip(NEXT) | instid1(VALU_DEP_1)
	v_lshl_or_b32 v0, v1, 21, v0
                                        ; implicit-def: $vgpr1
	v_add_nc_u32_e32 v2, 0x38000000, v0
                                        ; implicit-def: $vgpr0
.LBB6_18277:                            ;   in Loop: Header=BB6_16763 Depth=2
	s_and_not1_saveexec_b32 s29, s29
; %bb.18278:                            ;   in Loop: Header=BB6_16763 Depth=2
	v_bfe_i32 v0, v0, 0, 8
	s_delay_alu instid0(VALU_DEP_1) | instskip(SKIP_2) | instid1(VALU_DEP_2)
	v_cmp_lt_i16_e32 vcc_lo, -1, v0
	v_cndmask_b32_e32 v0, 0xff800000, v29, vcc_lo
	v_cmp_eq_u32_e32 vcc_lo, 0, v1
	v_cndmask_b32_e32 v2, 0x7f800001, v0, vcc_lo
; %bb.18279:                            ;   in Loop: Header=BB6_16763 Depth=2
	s_or_b32 exec_lo, exec_lo, s29
.LBB6_18280:                            ;   in Loop: Header=BB6_16763 Depth=2
	s_delay_alu instid0(SALU_CYCLE_1)
	s_or_b32 exec_lo, exec_lo, s28
.LBB6_18281:                            ;   in Loop: Header=BB6_16763 Depth=2
	s_delay_alu instid0(SALU_CYCLE_1) | instskip(NEXT) | instid1(VALU_DEP_1)
	s_or_b32 exec_lo, exec_lo, s10
	v_dual_mul_f32 v0, s27, v2 :: v_dual_mov_b32 v3, v55
                                        ; implicit-def: $vgpr75
	s_mov_b32 s10, exec_lo
	s_delay_alu instid0(VALU_DEP_1) | instskip(SKIP_2) | instid1(VALU_DEP_3)
	v_and_b32_e32 v2, 0x7f800000, v0
	v_and_b32_e32 v54, 0x7fffff, v0
	v_lshrrev_b32_e32 v1, 24, v0
	v_cmpx_ne_u64_e32 0x7f800000, v[2:3]
	s_xor_b32 s28, exec_lo, s10
	s_cbranch_execz .LBB6_18295
; %bb.18282:                            ;   in Loop: Header=BB6_16763 Depth=2
	v_and_b32_e32 v2, 0x7fffffff, v0
	v_mov_b32_e32 v3, v55
	v_and_b32_e32 v5, 0x80, v1
                                        ; implicit-def: $vgpr75
	s_mov_b32 s10, exec_lo
	s_delay_alu instid0(VALU_DEP_2)
	v_cmpx_gt_u64_e32 0x47600001, v[2:3]
	s_xor_b32 s29, exec_lo, s10
	s_cbranch_execz .LBB6_18292
; %bb.18283:                            ;   in Loop: Header=BB6_16763 Depth=2
	v_mov_b32_e32 v75, 0
	s_mov_b32 s40, exec_lo
	v_cmpx_ne_u32_e32 0, v0
	s_cbranch_execz .LBB6_18291
; %bb.18284:                            ;   in Loop: Header=BB6_16763 Depth=2
	v_bfe_u32 v6, v0, 23, 8
	v_or_b32_e32 v1, 0x800000, v54
	s_delay_alu instid0(VALU_DEP_2) | instskip(SKIP_2) | instid1(VALU_DEP_2)
	v_cmp_gt_u32_e64 s10, 0x72, v6
	v_sub_nc_u32_e32 v0, 0x71, v6
	v_cmp_eq_u32_e32 vcc_lo, 0, v6
	v_cndmask_b32_e64 v0, 0, v0, s10
	s_delay_alu instid0(VALU_DEP_1) | instskip(SKIP_1) | instid1(VALU_DEP_2)
	v_cndmask_b32_e64 v7, v0, 0x70, vcc_lo
	v_dual_cndmask_b32 v0, v1, v54 :: v_dual_mov_b32 v1, v55
	v_dual_add_nc_u32 v2, 21, v7 :: v_dual_add_nc_u32 v8, 20, v7
	s_delay_alu instid0(VALU_DEP_1) | instskip(NEXT) | instid1(VALU_DEP_2)
	v_lshlrev_b64_e64 v[2:3], v2, -1
	v_lshlrev_b64_e64 v[8:9], v8, 1
	s_delay_alu instid0(VALU_DEP_2) | instskip(SKIP_1) | instid1(VALU_DEP_4)
	v_bfi_b32 v2, v2, 0, v0
	v_lshrrev_b64 v[0:1], v7, v[0:1]
	v_bfi_b32 v3, v3, 0, 0
	s_delay_alu instid0(VALU_DEP_1) | instskip(NEXT) | instid1(VALU_DEP_3)
	v_cmp_eq_u64_e64 s10, v[2:3], v[8:9]
	v_mov_b64_e32 v[2:3], v[0:1]
	s_and_saveexec_b32 s41, s10
; %bb.18285:                            ;   in Loop: Header=BB6_16763 Depth=2
	v_bfe_u32 v2, v0, 21, 1
	v_mov_b32_e32 v3, v55
	s_delay_alu instid0(VALU_DEP_1) | instskip(NEXT) | instid1(VALU_DEP_1)
	v_add_nc_u64_e32 v[2:3], v[0:1], v[2:3]
	v_add_nc_u64_e32 v[2:3], -1, v[2:3]
; %bb.18286:                            ;   in Loop: Header=BB6_16763 Depth=2
	s_or_b32 exec_lo, exec_lo, s41
	v_add_nc_u32_e32 v1, 0xffffff81, v6
	v_lshrrev_b32_e32 v3, 23, v0
	s_mov_b32 s10, exec_lo
	s_delay_alu instid0(VALU_DEP_2) | instskip(NEXT) | instid1(VALU_DEP_1)
	v_cndmask_b32_e64 v1, v1, 0xffffff82, vcc_lo
	v_add3_u32 v3, v7, v1, v3
	v_and_b32_e32 v1, 0x1fffff, v2
                                        ; implicit-def: $vgpr2
	s_delay_alu instid0(VALU_DEP_1) | instskip(NEXT) | instid1(VALU_DEP_1)
	v_dual_add_nc_u32 v6, 14, v3 :: v_dual_add_nc_u32 v54, v1, v0
                                        ; implicit-def: $vgpr0_vgpr1
	v_cmpx_ne_u32_e32 0, v6
	s_xor_b32 s10, exec_lo, s10
; %bb.18287:                            ;   in Loop: Header=BB6_16763 Depth=2
	s_delay_alu instid0(VALU_DEP_2) | instskip(SKIP_1) | instid1(VALU_DEP_1)
	v_cmp_lt_u64_e32 vcc_lo, 0xffffff, v[54:55]
	v_add_nc_u32_e32 v0, 15, v3
	v_cndmask_b32_e32 v2, v6, v0, vcc_lo
	v_cndmask_b32_e64 v0, 0, 1, vcc_lo
	s_delay_alu instid0(VALU_DEP_1)
	v_lshrrev_b64 v[0:1], v0, v[54:55]
; %bb.18288:                            ;   in Loop: Header=BB6_16763 Depth=2
	s_and_not1_saveexec_b32 s10, s10
; %bb.18289:                            ;   in Loop: Header=BB6_16763 Depth=2
	v_mov_b64_e32 v[0:1], v[54:55]
	v_bfe_u32 v2, v54, 23, 1
; %bb.18290:                            ;   in Loop: Header=BB6_16763 Depth=2
	s_or_b32 exec_lo, exec_lo, s10
	s_delay_alu instid0(VALU_DEP_2) | instskip(NEXT) | instid1(VALU_DEP_2)
	v_lshrrev_b64 v[0:1], 21, v[0:1]
	v_cmp_gt_i32_e32 vcc_lo, 32, v2
	v_min_i32_e32 v3, 31, v2
	v_cmp_eq_u32_e64 s10, 0, v2
	s_delay_alu instid0(VALU_DEP_2) | instskip(SKIP_1) | instid1(VALU_DEP_2)
	v_dual_cndmask_b32 v1, 0, v1, vcc_lo :: v_dual_lshlrev_b32 v3, 2, v3
	v_cndmask_b32_e32 v0, 3, v0, vcc_lo
	v_and_b32_e32 v3, 0xfc, v3
	s_delay_alu instid0(VALU_DEP_2) | instskip(NEXT) | instid1(VALU_DEP_2)
	v_cmp_eq_u64_e32 vcc_lo, 0, v[0:1]
	v_and_or_b32 v0, v0, 3, v3
	s_and_b32 s10, s10, vcc_lo
	s_delay_alu instid0(VALU_DEP_1) | instid1(SALU_CYCLE_1)
	v_cndmask_b32_e64 v0, v0, 0, s10
	s_delay_alu instid0(VALU_DEP_1)
	v_or_b32_e32 v75, v0, v5
.LBB6_18291:                            ;   in Loop: Header=BB6_16763 Depth=2
	s_or_b32 exec_lo, exec_lo, s40
                                        ; implicit-def: $vgpr5
.LBB6_18292:                            ;   in Loop: Header=BB6_16763 Depth=2
	s_and_not1_saveexec_b32 s10, s29
; %bb.18293:                            ;   in Loop: Header=BB6_16763 Depth=2
	v_or_b32_e32 v75, 0x7b, v5
; %bb.18294:                            ;   in Loop: Header=BB6_16763 Depth=2
	s_or_b32 exec_lo, exec_lo, s10
                                        ; implicit-def: $vgpr0
                                        ; implicit-def: $vgpr1
.LBB6_18295:                            ;   in Loop: Header=BB6_16763 Depth=2
	s_and_not1_saveexec_b32 s10, s28
	s_cbranch_execz .LBB6_18301
; %bb.18296:                            ;   in Loop: Header=BB6_16763 Depth=2
	s_mov_b32 s28, exec_lo
                                        ; implicit-def: $vgpr75
	v_cmpx_ne_u64_e32 0, v[54:55]
	s_xor_b32 s28, exec_lo, s28
; %bb.18297:                            ;   in Loop: Header=BB6_16763 Depth=2
	v_or_b32_e32 v75, 0x7f, v1
                                        ; implicit-def: $vgpr0
; %bb.18298:                            ;   in Loop: Header=BB6_16763 Depth=2
	s_and_not1_saveexec_b32 s28, s28
; %bb.18299:                            ;   in Loop: Header=BB6_16763 Depth=2
	v_cmp_lt_i32_e32 vcc_lo, -1, v0
	v_cndmask_b32_e32 v75, 0xfc, v30, vcc_lo
; %bb.18300:                            ;   in Loop: Header=BB6_16763 Depth=2
	s_or_b32 exec_lo, exec_lo, s28
.LBB6_18301:                            ;   in Loop: Header=BB6_16763 Depth=2
	s_delay_alu instid0(SALU_CYCLE_1)
	s_or_b32 exec_lo, exec_lo, s10
	v_mov_b32_e32 v1, 0
	s_mov_b32 s10, exec_lo
	v_cmpx_lt_u32_e32 0xffffff, v10
	s_cbranch_execz .LBB6_18311
; %bb.18302:                            ;   in Loop: Header=BB6_16763 Depth=2
	v_lshrrev_b32_e32 v0, 24, v10
	v_bfrev_b32_e32 v1, 1
	s_mov_b32 s28, exec_lo
	s_delay_alu instid0(VALU_DEP_2)
	v_cmpx_ne_u32_e32 0x80, v0
	s_cbranch_execz .LBB6_18310
; %bb.18303:                            ;   in Loop: Header=BB6_16763 Depth=2
	v_and_b32_e32 v1, 0x7c000000, v10
	v_bfe_u32 v2, v10, 24, 2
	s_delay_alu instid0(VALU_DEP_2) | instskip(SKIP_1) | instid1(SALU_CYCLE_1)
	v_cmp_ne_u32_e32 vcc_lo, 0x7c000000, v1
                                        ; implicit-def: $vgpr1
	s_and_saveexec_b32 s29, vcc_lo
	s_xor_b32 s29, exec_lo, s29
	s_cbranch_execz .LBB6_18307
; %bb.18304:                            ;   in Loop: Header=BB6_16763 Depth=2
	v_bfe_u32 v1, v10, 26, 5
	s_mov_b32 s40, exec_lo
	s_delay_alu instid0(VALU_DEP_1)
	v_cmpx_eq_u32_e32 0, v1
; %bb.18305:                            ;   in Loop: Header=BB6_16763 Depth=2
	v_clz_i32_u32_e32 v1, v2
	s_delay_alu instid0(VALU_DEP_1) | instskip(NEXT) | instid1(VALU_DEP_1)
	v_min_u32_e32 v2, 32, v1
	v_subrev_nc_u32_e32 v1, 29, v2
	s_delay_alu instid0(VALU_DEP_1) | instskip(NEXT) | instid1(VALU_DEP_1)
	v_lshlrev_b64_e32 v[0:1], v1, v[0:1]
	v_dual_sub_nc_u32 v1, 30, v2 :: v_dual_bitop2_b32 v2, 3, v0 bitop3:0x40
; %bb.18306:                            ;   in Loop: Header=BB6_16763 Depth=2
	s_or_b32 exec_lo, exec_lo, s40
	v_and_b32_e32 v0, 0x80000000, v10
	s_delay_alu instid0(VALU_DEP_1) | instskip(NEXT) | instid1(VALU_DEP_1)
	v_lshl_add_u32 v0, v1, 23, v0
	v_lshl_or_b32 v0, v2, 21, v0
                                        ; implicit-def: $vgpr2
	s_delay_alu instid0(VALU_DEP_1)
	v_add_nc_u32_e32 v1, 0x38000000, v0
.LBB6_18307:                            ;   in Loop: Header=BB6_16763 Depth=2
	s_and_not1_saveexec_b32 s29, s29
; %bb.18308:                            ;   in Loop: Header=BB6_16763 Depth=2
	v_cmp_lt_i32_e32 vcc_lo, -1, v10
	v_cndmask_b32_e32 v0, 0xff800000, v29, vcc_lo
	v_cmp_eq_u32_e32 vcc_lo, 0, v2
	s_delay_alu instid0(VALU_DEP_2)
	v_cndmask_b32_e32 v1, 0x7f800001, v0, vcc_lo
; %bb.18309:                            ;   in Loop: Header=BB6_16763 Depth=2
	s_or_b32 exec_lo, exec_lo, s29
.LBB6_18310:                            ;   in Loop: Header=BB6_16763 Depth=2
	s_delay_alu instid0(SALU_CYCLE_1)
	s_or_b32 exec_lo, exec_lo, s28
.LBB6_18311:                            ;   in Loop: Header=BB6_16763 Depth=2
	s_delay_alu instid0(SALU_CYCLE_1) | instskip(NEXT) | instid1(VALU_DEP_1)
	s_or_b32 exec_lo, exec_lo, s10
	v_dual_mul_f32 v0, s27, v1 :: v_dual_mov_b32 v3, v55
                                        ; implicit-def: $vgpr76
	s_mov_b32 s10, exec_lo
	s_delay_alu instid0(VALU_DEP_1) | instskip(SKIP_2) | instid1(VALU_DEP_3)
	v_and_b32_e32 v2, 0x7f800000, v0
	v_and_b32_e32 v54, 0x7fffff, v0
	v_lshrrev_b32_e32 v1, 24, v0
	v_cmpx_ne_u64_e32 0x7f800000, v[2:3]
	s_xor_b32 s28, exec_lo, s10
	s_cbranch_execz .LBB6_18325
; %bb.18312:                            ;   in Loop: Header=BB6_16763 Depth=2
	v_and_b32_e32 v2, 0x7fffffff, v0
	v_mov_b32_e32 v3, v55
	v_and_b32_e32 v5, 0x80, v1
                                        ; implicit-def: $vgpr76
	s_mov_b32 s10, exec_lo
	s_delay_alu instid0(VALU_DEP_2)
	v_cmpx_gt_u64_e32 0x47600001, v[2:3]
	s_xor_b32 s29, exec_lo, s10
	s_cbranch_execz .LBB6_18322
; %bb.18313:                            ;   in Loop: Header=BB6_16763 Depth=2
	v_mov_b32_e32 v76, 0
	s_mov_b32 s40, exec_lo
	v_cmpx_ne_u32_e32 0, v0
	s_cbranch_execz .LBB6_18321
; %bb.18314:                            ;   in Loop: Header=BB6_16763 Depth=2
	v_bfe_u32 v6, v0, 23, 8
	v_or_b32_e32 v1, 0x800000, v54
	s_delay_alu instid0(VALU_DEP_2) | instskip(SKIP_2) | instid1(VALU_DEP_2)
	v_cmp_gt_u32_e64 s10, 0x72, v6
	v_sub_nc_u32_e32 v0, 0x71, v6
	v_cmp_eq_u32_e32 vcc_lo, 0, v6
	v_cndmask_b32_e64 v0, 0, v0, s10
	s_delay_alu instid0(VALU_DEP_1) | instskip(SKIP_1) | instid1(VALU_DEP_2)
	v_cndmask_b32_e64 v7, v0, 0x70, vcc_lo
	v_dual_cndmask_b32 v0, v1, v54 :: v_dual_mov_b32 v1, v55
	v_dual_add_nc_u32 v2, 21, v7 :: v_dual_add_nc_u32 v8, 20, v7
	s_delay_alu instid0(VALU_DEP_1) | instskip(NEXT) | instid1(VALU_DEP_2)
	v_lshlrev_b64_e64 v[2:3], v2, -1
	v_lshlrev_b64_e64 v[8:9], v8, 1
	s_delay_alu instid0(VALU_DEP_2) | instskip(SKIP_1) | instid1(VALU_DEP_4)
	v_bfi_b32 v2, v2, 0, v0
	v_lshrrev_b64 v[0:1], v7, v[0:1]
	v_bfi_b32 v3, v3, 0, 0
	s_delay_alu instid0(VALU_DEP_1) | instskip(NEXT) | instid1(VALU_DEP_3)
	v_cmp_eq_u64_e64 s10, v[2:3], v[8:9]
	v_mov_b64_e32 v[2:3], v[0:1]
	s_and_saveexec_b32 s41, s10
; %bb.18315:                            ;   in Loop: Header=BB6_16763 Depth=2
	v_bfe_u32 v2, v0, 21, 1
	v_mov_b32_e32 v3, v55
	s_delay_alu instid0(VALU_DEP_1) | instskip(NEXT) | instid1(VALU_DEP_1)
	v_add_nc_u64_e32 v[2:3], v[0:1], v[2:3]
	v_add_nc_u64_e32 v[2:3], -1, v[2:3]
; %bb.18316:                            ;   in Loop: Header=BB6_16763 Depth=2
	s_or_b32 exec_lo, exec_lo, s41
	v_add_nc_u32_e32 v1, 0xffffff81, v6
	v_lshrrev_b32_e32 v3, 23, v0
	s_mov_b32 s10, exec_lo
	s_delay_alu instid0(VALU_DEP_2) | instskip(NEXT) | instid1(VALU_DEP_1)
	v_cndmask_b32_e64 v1, v1, 0xffffff82, vcc_lo
	v_add3_u32 v3, v7, v1, v3
	v_and_b32_e32 v1, 0x1fffff, v2
                                        ; implicit-def: $vgpr2
	s_delay_alu instid0(VALU_DEP_1) | instskip(NEXT) | instid1(VALU_DEP_1)
	v_dual_add_nc_u32 v6, 14, v3 :: v_dual_add_nc_u32 v54, v1, v0
                                        ; implicit-def: $vgpr0_vgpr1
	v_cmpx_ne_u32_e32 0, v6
	s_xor_b32 s10, exec_lo, s10
; %bb.18317:                            ;   in Loop: Header=BB6_16763 Depth=2
	s_delay_alu instid0(VALU_DEP_2) | instskip(SKIP_1) | instid1(VALU_DEP_1)
	v_cmp_lt_u64_e32 vcc_lo, 0xffffff, v[54:55]
	v_add_nc_u32_e32 v0, 15, v3
	v_cndmask_b32_e32 v2, v6, v0, vcc_lo
	v_cndmask_b32_e64 v0, 0, 1, vcc_lo
	s_delay_alu instid0(VALU_DEP_1)
	v_lshrrev_b64 v[0:1], v0, v[54:55]
; %bb.18318:                            ;   in Loop: Header=BB6_16763 Depth=2
	s_and_not1_saveexec_b32 s10, s10
; %bb.18319:                            ;   in Loop: Header=BB6_16763 Depth=2
	v_mov_b64_e32 v[0:1], v[54:55]
	v_bfe_u32 v2, v54, 23, 1
; %bb.18320:                            ;   in Loop: Header=BB6_16763 Depth=2
	s_or_b32 exec_lo, exec_lo, s10
	s_delay_alu instid0(VALU_DEP_2) | instskip(NEXT) | instid1(VALU_DEP_2)
	v_lshrrev_b64 v[0:1], 21, v[0:1]
	v_cmp_gt_i32_e32 vcc_lo, 32, v2
	v_min_i32_e32 v3, 31, v2
	v_cmp_eq_u32_e64 s10, 0, v2
	s_delay_alu instid0(VALU_DEP_2) | instskip(SKIP_1) | instid1(VALU_DEP_2)
	v_dual_cndmask_b32 v1, 0, v1, vcc_lo :: v_dual_lshlrev_b32 v3, 2, v3
	v_cndmask_b32_e32 v0, 3, v0, vcc_lo
	v_and_b32_e32 v3, 0xfc, v3
	s_delay_alu instid0(VALU_DEP_2) | instskip(NEXT) | instid1(VALU_DEP_2)
	v_cmp_eq_u64_e32 vcc_lo, 0, v[0:1]
	v_and_or_b32 v0, v0, 3, v3
	s_and_b32 s10, s10, vcc_lo
	s_delay_alu instid0(VALU_DEP_1) | instid1(SALU_CYCLE_1)
	v_cndmask_b32_e64 v0, v0, 0, s10
	s_delay_alu instid0(VALU_DEP_1)
	v_or_b32_e32 v76, v0, v5
.LBB6_18321:                            ;   in Loop: Header=BB6_16763 Depth=2
	s_or_b32 exec_lo, exec_lo, s40
                                        ; implicit-def: $vgpr5
.LBB6_18322:                            ;   in Loop: Header=BB6_16763 Depth=2
	s_and_not1_saveexec_b32 s10, s29
; %bb.18323:                            ;   in Loop: Header=BB6_16763 Depth=2
	v_or_b32_e32 v76, 0x7b, v5
; %bb.18324:                            ;   in Loop: Header=BB6_16763 Depth=2
	s_or_b32 exec_lo, exec_lo, s10
                                        ; implicit-def: $vgpr0
                                        ; implicit-def: $vgpr1
.LBB6_18325:                            ;   in Loop: Header=BB6_16763 Depth=2
	s_and_not1_saveexec_b32 s10, s28
	s_cbranch_execz .LBB6_18331
; %bb.18326:                            ;   in Loop: Header=BB6_16763 Depth=2
	s_mov_b32 s28, exec_lo
                                        ; implicit-def: $vgpr76
	v_cmpx_ne_u64_e32 0, v[54:55]
	s_xor_b32 s28, exec_lo, s28
; %bb.18327:                            ;   in Loop: Header=BB6_16763 Depth=2
	v_or_b32_e32 v76, 0x7f, v1
                                        ; implicit-def: $vgpr0
; %bb.18328:                            ;   in Loop: Header=BB6_16763 Depth=2
	s_and_not1_saveexec_b32 s28, s28
; %bb.18329:                            ;   in Loop: Header=BB6_16763 Depth=2
	v_cmp_lt_i32_e32 vcc_lo, -1, v0
	v_cndmask_b32_e32 v76, 0xfc, v30, vcc_lo
; %bb.18330:                            ;   in Loop: Header=BB6_16763 Depth=2
	s_or_b32 exec_lo, exec_lo, s28
.LBB6_18331:                            ;   in Loop: Header=BB6_16763 Depth=2
	s_delay_alu instid0(SALU_CYCLE_1) | instskip(SKIP_3) | instid1(VALU_DEP_2)
	s_or_b32 exec_lo, exec_lo, s10
	v_and_b32_e32 v0, 0xff, v11
	v_dual_mov_b32 v54, v11 :: v_dual_mov_b32 v1, 0
	s_mov_b32 s10, exec_lo
	v_cmpx_ne_u16_e32 0, v0
	s_cbranch_execz .LBB6_18341
; %bb.18332:                            ;   in Loop: Header=BB6_16763 Depth=2
	v_bfrev_b32_e32 v1, 1
	s_mov_b32 s28, exec_lo
	v_cmpx_ne_u16_e32 0x80, v0
	s_cbranch_execz .LBB6_18340
; %bb.18333:                            ;   in Loop: Header=BB6_16763 Depth=2
	v_and_b32_e32 v1, 0x7c, v11
	v_and_b32_e32 v0, 3, v11
	s_delay_alu instid0(VALU_DEP_2) | instskip(SKIP_1) | instid1(SALU_CYCLE_1)
	v_cmp_ne_u32_e32 vcc_lo, 0x7c, v1
                                        ; implicit-def: $vgpr1
	s_and_saveexec_b32 s29, vcc_lo
	s_xor_b32 s29, exec_lo, s29
	s_cbranch_execz .LBB6_18337
; %bb.18334:                            ;   in Loop: Header=BB6_16763 Depth=2
	v_bfe_u32 v1, v11, 2, 5
	s_mov_b32 s40, exec_lo
	s_delay_alu instid0(VALU_DEP_1)
	v_cmpx_eq_u32_e32 0, v1
; %bb.18335:                            ;   in Loop: Header=BB6_16763 Depth=2
	v_clz_i32_u32_e32 v0, v0
	s_delay_alu instid0(VALU_DEP_1) | instskip(NEXT) | instid1(VALU_DEP_1)
	v_min_u32_e32 v2, 32, v0
	v_subrev_nc_u32_e32 v0, 29, v2
	s_delay_alu instid0(VALU_DEP_1) | instskip(NEXT) | instid1(VALU_DEP_1)
	v_lshlrev_b64_e32 v[0:1], v0, v[54:55]
	v_dual_sub_nc_u32 v1, 30, v2 :: v_dual_bitop2_b32 v0, 3, v0 bitop3:0x40
; %bb.18336:                            ;   in Loop: Header=BB6_16763 Depth=2
	s_or_b32 exec_lo, exec_lo, s40
	v_lshlrev_b32_e32 v2, 24, v11
	s_delay_alu instid0(VALU_DEP_1) | instskip(NEXT) | instid1(VALU_DEP_1)
	v_and_b32_e32 v2, 0x80000000, v2
	v_lshl_add_u32 v1, v1, 23, v2
	s_delay_alu instid0(VALU_DEP_1) | instskip(NEXT) | instid1(VALU_DEP_1)
	v_lshl_or_b32 v0, v0, 21, v1
	v_add_nc_u32_e32 v1, 0x38000000, v0
                                        ; implicit-def: $vgpr0
.LBB6_18337:                            ;   in Loop: Header=BB6_16763 Depth=2
	s_and_not1_saveexec_b32 s29, s29
; %bb.18338:                            ;   in Loop: Header=BB6_16763 Depth=2
	v_bfe_i32 v1, v11, 0, 8
	s_delay_alu instid0(VALU_DEP_1) | instskip(SKIP_2) | instid1(VALU_DEP_2)
	v_cmp_lt_i16_e32 vcc_lo, -1, v1
	v_cndmask_b32_e32 v1, 0xff800000, v29, vcc_lo
	v_cmp_eq_u32_e32 vcc_lo, 0, v0
	v_cndmask_b32_e32 v1, 0x7f800001, v1, vcc_lo
; %bb.18339:                            ;   in Loop: Header=BB6_16763 Depth=2
	s_or_b32 exec_lo, exec_lo, s29
.LBB6_18340:                            ;   in Loop: Header=BB6_16763 Depth=2
	s_delay_alu instid0(SALU_CYCLE_1)
	s_or_b32 exec_lo, exec_lo, s28
.LBB6_18341:                            ;   in Loop: Header=BB6_16763 Depth=2
	s_delay_alu instid0(SALU_CYCLE_1) | instskip(NEXT) | instid1(VALU_DEP_1)
	s_or_b32 exec_lo, exec_lo, s10
	v_dual_mul_f32 v2, s27, v1 :: v_dual_mov_b32 v7, v55
	v_mov_b32_e32 v1, v55
                                        ; implicit-def: $vgpr77
	s_mov_b32 s10, exec_lo
	s_delay_alu instid0(VALU_DEP_2) | instskip(SKIP_2) | instid1(VALU_DEP_3)
	v_and_b32_e32 v6, 0x7f800000, v2
	v_and_b32_e32 v0, 0x7fffff, v2
	v_lshrrev_b32_e32 v3, 24, v2
	v_cmpx_ne_u64_e32 0x7f800000, v[6:7]
	s_xor_b32 s28, exec_lo, s10
	s_cbranch_execz .LBB6_18355
; %bb.18342:                            ;   in Loop: Header=BB6_16763 Depth=2
	v_and_b32_e32 v6, 0x7fffffff, v2
	v_mov_b32_e32 v7, v55
	v_and_b32_e32 v5, 0x80, v3
                                        ; implicit-def: $vgpr77
	s_mov_b32 s10, exec_lo
	s_delay_alu instid0(VALU_DEP_2)
	v_cmpx_gt_u64_e32 0x47600001, v[6:7]
	s_xor_b32 s29, exec_lo, s10
	s_cbranch_execz .LBB6_18352
; %bb.18343:                            ;   in Loop: Header=BB6_16763 Depth=2
	v_mov_b32_e32 v77, 0
	s_mov_b32 s40, exec_lo
	v_cmpx_ne_u32_e32 0, v2
	s_cbranch_execz .LBB6_18351
; %bb.18344:                            ;   in Loop: Header=BB6_16763 Depth=2
	v_bfe_u32 v6, v2, 23, 8
	v_or_b32_e32 v3, 0x800000, v0
	s_delay_alu instid0(VALU_DEP_2) | instskip(SKIP_2) | instid1(VALU_DEP_2)
	v_cmp_gt_u32_e64 s10, 0x72, v6
	v_sub_nc_u32_e32 v2, 0x71, v6
	v_cmp_eq_u32_e32 vcc_lo, 0, v6
	v_dual_cndmask_b32 v2, 0, v2, s10 :: v_dual_cndmask_b32 v0, v3, v0, vcc_lo
	s_delay_alu instid0(VALU_DEP_1) | instskip(NEXT) | instid1(VALU_DEP_1)
	v_cndmask_b32_e64 v7, v2, 0x70, vcc_lo
	v_dual_add_nc_u32 v2, 21, v7 :: v_dual_add_nc_u32 v8, 20, v7
	s_delay_alu instid0(VALU_DEP_1) | instskip(NEXT) | instid1(VALU_DEP_2)
	v_lshlrev_b64_e64 v[2:3], v2, -1
	v_lshlrev_b64_e64 v[8:9], v8, 1
	s_delay_alu instid0(VALU_DEP_2) | instskip(SKIP_1) | instid1(VALU_DEP_4)
	v_bfi_b32 v2, v2, 0, v0
	v_lshrrev_b64 v[0:1], v7, v[0:1]
	v_bfi_b32 v3, v3, 0, 0
	s_delay_alu instid0(VALU_DEP_1) | instskip(NEXT) | instid1(VALU_DEP_3)
	v_cmp_eq_u64_e64 s10, v[2:3], v[8:9]
	v_mov_b64_e32 v[2:3], v[0:1]
	s_and_saveexec_b32 s41, s10
; %bb.18345:                            ;   in Loop: Header=BB6_16763 Depth=2
	v_bfe_u32 v2, v0, 21, 1
	v_mov_b32_e32 v3, v55
	s_delay_alu instid0(VALU_DEP_1) | instskip(NEXT) | instid1(VALU_DEP_1)
	v_add_nc_u64_e32 v[2:3], v[0:1], v[2:3]
	v_add_nc_u64_e32 v[2:3], -1, v[2:3]
; %bb.18346:                            ;   in Loop: Header=BB6_16763 Depth=2
	s_or_b32 exec_lo, exec_lo, s41
	v_add_nc_u32_e32 v1, 0xffffff81, v6
	v_lshrrev_b32_e32 v3, 23, v0
	s_mov_b32 s10, exec_lo
	s_delay_alu instid0(VALU_DEP_2) | instskip(NEXT) | instid1(VALU_DEP_1)
	v_cndmask_b32_e64 v1, v1, 0xffffff82, vcc_lo
	v_add3_u32 v6, v7, v1, v3
	v_and_b32_e32 v1, 0x1fffff, v2
                                        ; implicit-def: $vgpr2
	s_delay_alu instid0(VALU_DEP_1) | instskip(SKIP_1) | instid1(VALU_DEP_2)
	v_dual_add_nc_u32 v3, 14, v6 :: v_dual_add_nc_u32 v0, v1, v0
	v_mov_b32_e32 v1, v55
	v_cmpx_ne_u32_e32 0, v3
	s_xor_b32 s10, exec_lo, s10
; %bb.18347:                            ;   in Loop: Header=BB6_16763 Depth=2
	s_delay_alu instid0(VALU_DEP_2) | instskip(SKIP_1) | instid1(VALU_DEP_1)
	v_cmp_lt_u64_e32 vcc_lo, 0xffffff, v[0:1]
	v_add_nc_u32_e32 v2, 15, v6
	v_cndmask_b32_e32 v2, v3, v2, vcc_lo
	v_cndmask_b32_e64 v3, 0, 1, vcc_lo
	s_delay_alu instid0(VALU_DEP_1)
	v_lshrrev_b64 v[0:1], v3, v[0:1]
; %bb.18348:                            ;   in Loop: Header=BB6_16763 Depth=2
	s_and_not1_saveexec_b32 s10, s10
; %bb.18349:                            ;   in Loop: Header=BB6_16763 Depth=2
	s_delay_alu instid0(VALU_DEP_1)
	v_bfe_u32 v2, v0, 23, 1
; %bb.18350:                            ;   in Loop: Header=BB6_16763 Depth=2
	s_or_b32 exec_lo, exec_lo, s10
	s_delay_alu instid0(VALU_DEP_2) | instskip(NEXT) | instid1(VALU_DEP_2)
	v_lshrrev_b64 v[0:1], 21, v[0:1]
	v_cmp_gt_i32_e32 vcc_lo, 32, v2
	v_min_i32_e32 v3, 31, v2
	v_cmp_eq_u32_e64 s10, 0, v2
	s_delay_alu instid0(VALU_DEP_2) | instskip(SKIP_1) | instid1(VALU_DEP_2)
	v_dual_cndmask_b32 v1, 0, v1, vcc_lo :: v_dual_lshlrev_b32 v3, 2, v3
	v_cndmask_b32_e32 v0, 3, v0, vcc_lo
	v_and_b32_e32 v3, 0xfc, v3
	s_delay_alu instid0(VALU_DEP_2) | instskip(NEXT) | instid1(VALU_DEP_2)
	v_cmp_eq_u64_e32 vcc_lo, 0, v[0:1]
	v_and_or_b32 v0, v0, 3, v3
	s_and_b32 s10, s10, vcc_lo
	s_delay_alu instid0(VALU_DEP_1) | instid1(SALU_CYCLE_1)
	v_cndmask_b32_e64 v0, v0, 0, s10
	s_delay_alu instid0(VALU_DEP_1)
	v_or_b32_e32 v77, v0, v5
.LBB6_18351:                            ;   in Loop: Header=BB6_16763 Depth=2
	s_or_b32 exec_lo, exec_lo, s40
                                        ; implicit-def: $vgpr5
.LBB6_18352:                            ;   in Loop: Header=BB6_16763 Depth=2
	s_and_not1_saveexec_b32 s10, s29
; %bb.18353:                            ;   in Loop: Header=BB6_16763 Depth=2
	v_or_b32_e32 v77, 0x7b, v5
; %bb.18354:                            ;   in Loop: Header=BB6_16763 Depth=2
	s_or_b32 exec_lo, exec_lo, s10
                                        ; implicit-def: $vgpr2
                                        ; implicit-def: $vgpr0_vgpr1
                                        ; implicit-def: $vgpr3
.LBB6_18355:                            ;   in Loop: Header=BB6_16763 Depth=2
	s_and_not1_saveexec_b32 s10, s28
	s_cbranch_execz .LBB6_18361
; %bb.18356:                            ;   in Loop: Header=BB6_16763 Depth=2
	s_mov_b32 s28, exec_lo
                                        ; implicit-def: $vgpr77
	v_cmpx_ne_u64_e32 0, v[0:1]
	s_xor_b32 s28, exec_lo, s28
; %bb.18357:                            ;   in Loop: Header=BB6_16763 Depth=2
	v_or_b32_e32 v77, 0x7f, v3
                                        ; implicit-def: $vgpr2
; %bb.18358:                            ;   in Loop: Header=BB6_16763 Depth=2
	s_and_not1_saveexec_b32 s28, s28
; %bb.18359:                            ;   in Loop: Header=BB6_16763 Depth=2
	v_cmp_lt_i32_e32 vcc_lo, -1, v2
	v_cndmask_b32_e32 v77, 0xfc, v30, vcc_lo
; %bb.18360:                            ;   in Loop: Header=BB6_16763 Depth=2
	s_or_b32 exec_lo, exec_lo, s28
.LBB6_18361:                            ;   in Loop: Header=BB6_16763 Depth=2
	s_delay_alu instid0(SALU_CYCLE_1) | instskip(SKIP_3) | instid1(VALU_DEP_2)
	s_or_b32 exec_lo, exec_lo, s10
	v_lshrrev_b16 v0, 8, v54
	v_mov_b32_e32 v2, 0
	s_mov_b32 s10, exec_lo
	v_cmpx_ne_u16_e32 0, v0
	s_cbranch_execz .LBB6_18371
; %bb.18362:                            ;   in Loop: Header=BB6_16763 Depth=2
	v_bfrev_b32_e32 v2, 1
	s_mov_b32 s28, exec_lo
	v_cmpx_ne_u16_e32 0x80, v0
	s_cbranch_execz .LBB6_18370
; %bb.18363:                            ;   in Loop: Header=BB6_16763 Depth=2
	v_and_b32_e32 v3, 0xffff, v0
	s_delay_alu instid0(VALU_DEP_1) | instskip(SKIP_1) | instid1(VALU_DEP_2)
	v_and_b32_e32 v2, 0x7c, v3
	v_and_b32_e32 v1, 3, v3
	v_cmp_ne_u32_e32 vcc_lo, 0x7c, v2
                                        ; implicit-def: $vgpr2
	s_and_saveexec_b32 s29, vcc_lo
	s_delay_alu instid0(SALU_CYCLE_1)
	s_xor_b32 s29, exec_lo, s29
	s_cbranch_execz .LBB6_18367
; %bb.18364:                            ;   in Loop: Header=BB6_16763 Depth=2
	v_bfe_u32 v2, v3, 2, 5
	s_mov_b32 s40, exec_lo
	s_delay_alu instid0(VALU_DEP_1)
	v_cmpx_eq_u32_e32 0, v2
	s_cbranch_execz .LBB6_18366
; %bb.18365:                            ;   in Loop: Header=BB6_16763 Depth=2
	v_clz_i32_u32_e32 v1, v1
	s_delay_alu instid0(VALU_DEP_1) | instskip(SKIP_1) | instid1(VALU_DEP_2)
	v_min_u32_e32 v2, 32, v1
	v_mov_b32_e32 v1, v55
	v_subrev_nc_u32_e32 v3, 29, v2
	v_sub_nc_u32_e32 v2, 30, v2
	s_delay_alu instid0(VALU_DEP_2) | instskip(NEXT) | instid1(VALU_DEP_1)
	v_lshlrev_b64_e32 v[0:1], v3, v[0:1]
	v_and_b32_e32 v1, 3, v0
.LBB6_18366:                            ;   in Loop: Header=BB6_16763 Depth=2
	s_or_b32 exec_lo, exec_lo, s40
	v_lshlrev_b32_e32 v0, 16, v54
	s_delay_alu instid0(VALU_DEP_1) | instskip(NEXT) | instid1(VALU_DEP_1)
	v_and_b32_e32 v0, 0x80000000, v0
	v_lshl_add_u32 v0, v2, 23, v0
	s_delay_alu instid0(VALU_DEP_1) | instskip(NEXT) | instid1(VALU_DEP_1)
	v_lshl_or_b32 v0, v1, 21, v0
                                        ; implicit-def: $vgpr1
	v_add_nc_u32_e32 v2, 0x38000000, v0
.LBB6_18367:                            ;   in Loop: Header=BB6_16763 Depth=2
	s_and_not1_saveexec_b32 s29, s29
; %bb.18368:                            ;   in Loop: Header=BB6_16763 Depth=2
	v_cmp_lt_i16_e32 vcc_lo, -1, v54
	v_cndmask_b32_e32 v0, 0xff800000, v29, vcc_lo
	v_cmp_eq_u32_e32 vcc_lo, 0, v1
	s_delay_alu instid0(VALU_DEP_2)
	v_cndmask_b32_e32 v2, 0x7f800001, v0, vcc_lo
; %bb.18369:                            ;   in Loop: Header=BB6_16763 Depth=2
	s_or_b32 exec_lo, exec_lo, s29
.LBB6_18370:                            ;   in Loop: Header=BB6_16763 Depth=2
	s_delay_alu instid0(SALU_CYCLE_1)
	s_or_b32 exec_lo, exec_lo, s28
.LBB6_18371:                            ;   in Loop: Header=BB6_16763 Depth=2
	s_delay_alu instid0(SALU_CYCLE_1) | instskip(NEXT) | instid1(VALU_DEP_1)
	s_or_b32 exec_lo, exec_lo, s10
	v_dual_mul_f32 v0, s27, v2 :: v_dual_mov_b32 v3, v55
                                        ; implicit-def: $vgpr78
	s_mov_b32 s10, exec_lo
	s_delay_alu instid0(VALU_DEP_1) | instskip(SKIP_2) | instid1(VALU_DEP_3)
	v_and_b32_e32 v2, 0x7f800000, v0
	v_and_b32_e32 v54, 0x7fffff, v0
	v_lshrrev_b32_e32 v1, 24, v0
	v_cmpx_ne_u64_e32 0x7f800000, v[2:3]
	s_xor_b32 s28, exec_lo, s10
	s_cbranch_execz .LBB6_18385
; %bb.18372:                            ;   in Loop: Header=BB6_16763 Depth=2
	v_and_b32_e32 v2, 0x7fffffff, v0
	v_mov_b32_e32 v3, v55
	v_and_b32_e32 v5, 0x80, v1
                                        ; implicit-def: $vgpr78
	s_mov_b32 s10, exec_lo
	s_delay_alu instid0(VALU_DEP_2)
	v_cmpx_gt_u64_e32 0x47600001, v[2:3]
	s_xor_b32 s29, exec_lo, s10
	s_cbranch_execz .LBB6_18382
; %bb.18373:                            ;   in Loop: Header=BB6_16763 Depth=2
	v_mov_b32_e32 v78, 0
	s_mov_b32 s40, exec_lo
	v_cmpx_ne_u32_e32 0, v0
	s_cbranch_execz .LBB6_18381
; %bb.18374:                            ;   in Loop: Header=BB6_16763 Depth=2
	v_bfe_u32 v6, v0, 23, 8
	v_or_b32_e32 v1, 0x800000, v54
	s_delay_alu instid0(VALU_DEP_2) | instskip(SKIP_2) | instid1(VALU_DEP_2)
	v_cmp_gt_u32_e64 s10, 0x72, v6
	v_sub_nc_u32_e32 v0, 0x71, v6
	v_cmp_eq_u32_e32 vcc_lo, 0, v6
	v_cndmask_b32_e64 v0, 0, v0, s10
	s_delay_alu instid0(VALU_DEP_1) | instskip(SKIP_1) | instid1(VALU_DEP_2)
	v_cndmask_b32_e64 v7, v0, 0x70, vcc_lo
	v_dual_cndmask_b32 v0, v1, v54 :: v_dual_mov_b32 v1, v55
	v_dual_add_nc_u32 v2, 21, v7 :: v_dual_add_nc_u32 v8, 20, v7
	s_delay_alu instid0(VALU_DEP_1) | instskip(NEXT) | instid1(VALU_DEP_2)
	v_lshlrev_b64_e64 v[2:3], v2, -1
	v_lshlrev_b64_e64 v[8:9], v8, 1
	s_delay_alu instid0(VALU_DEP_2) | instskip(SKIP_1) | instid1(VALU_DEP_4)
	v_bfi_b32 v2, v2, 0, v0
	v_lshrrev_b64 v[0:1], v7, v[0:1]
	v_bfi_b32 v3, v3, 0, 0
	s_delay_alu instid0(VALU_DEP_1) | instskip(NEXT) | instid1(VALU_DEP_3)
	v_cmp_eq_u64_e64 s10, v[2:3], v[8:9]
	v_mov_b64_e32 v[2:3], v[0:1]
	s_and_saveexec_b32 s41, s10
; %bb.18375:                            ;   in Loop: Header=BB6_16763 Depth=2
	v_bfe_u32 v2, v0, 21, 1
	v_mov_b32_e32 v3, v55
	s_delay_alu instid0(VALU_DEP_1) | instskip(NEXT) | instid1(VALU_DEP_1)
	v_add_nc_u64_e32 v[2:3], v[0:1], v[2:3]
	v_add_nc_u64_e32 v[2:3], -1, v[2:3]
; %bb.18376:                            ;   in Loop: Header=BB6_16763 Depth=2
	s_or_b32 exec_lo, exec_lo, s41
	v_add_nc_u32_e32 v1, 0xffffff81, v6
	v_lshrrev_b32_e32 v3, 23, v0
	s_mov_b32 s10, exec_lo
	s_delay_alu instid0(VALU_DEP_2) | instskip(NEXT) | instid1(VALU_DEP_1)
	v_cndmask_b32_e64 v1, v1, 0xffffff82, vcc_lo
	v_add3_u32 v6, v7, v1, v3
	v_and_b32_e32 v1, 0x1fffff, v2
                                        ; implicit-def: $vgpr2
	s_delay_alu instid0(VALU_DEP_1) | instskip(NEXT) | instid1(VALU_DEP_1)
	v_dual_add_nc_u32 v3, 14, v6 :: v_dual_add_nc_u32 v54, v1, v0
                                        ; implicit-def: $vgpr0_vgpr1
	v_cmpx_ne_u32_e32 0, v3
	s_xor_b32 s10, exec_lo, s10
; %bb.18377:                            ;   in Loop: Header=BB6_16763 Depth=2
	s_delay_alu instid0(VALU_DEP_2) | instskip(SKIP_1) | instid1(VALU_DEP_1)
	v_cmp_lt_u64_e32 vcc_lo, 0xffffff, v[54:55]
	v_add_nc_u32_e32 v0, 15, v6
	v_cndmask_b32_e32 v2, v3, v0, vcc_lo
	v_cndmask_b32_e64 v0, 0, 1, vcc_lo
	s_delay_alu instid0(VALU_DEP_1)
	v_lshrrev_b64 v[0:1], v0, v[54:55]
; %bb.18378:                            ;   in Loop: Header=BB6_16763 Depth=2
	s_and_not1_saveexec_b32 s10, s10
; %bb.18379:                            ;   in Loop: Header=BB6_16763 Depth=2
	v_mov_b64_e32 v[0:1], v[54:55]
	v_bfe_u32 v2, v54, 23, 1
; %bb.18380:                            ;   in Loop: Header=BB6_16763 Depth=2
	s_or_b32 exec_lo, exec_lo, s10
	s_delay_alu instid0(VALU_DEP_2) | instskip(NEXT) | instid1(VALU_DEP_2)
	v_lshrrev_b64 v[0:1], 21, v[0:1]
	v_cmp_gt_i32_e32 vcc_lo, 32, v2
	v_min_i32_e32 v3, 31, v2
	v_cmp_eq_u32_e64 s10, 0, v2
	s_delay_alu instid0(VALU_DEP_2) | instskip(SKIP_1) | instid1(VALU_DEP_2)
	v_dual_cndmask_b32 v1, 0, v1, vcc_lo :: v_dual_lshlrev_b32 v3, 2, v3
	v_cndmask_b32_e32 v0, 3, v0, vcc_lo
	v_and_b32_e32 v3, 0xfc, v3
	s_delay_alu instid0(VALU_DEP_2) | instskip(NEXT) | instid1(VALU_DEP_2)
	v_cmp_eq_u64_e32 vcc_lo, 0, v[0:1]
	v_and_or_b32 v0, v0, 3, v3
	s_and_b32 s10, s10, vcc_lo
	s_delay_alu instid0(VALU_DEP_1) | instid1(SALU_CYCLE_1)
	v_cndmask_b32_e64 v0, v0, 0, s10
	s_delay_alu instid0(VALU_DEP_1)
	v_or_b32_e32 v78, v0, v5
.LBB6_18381:                            ;   in Loop: Header=BB6_16763 Depth=2
	s_or_b32 exec_lo, exec_lo, s40
                                        ; implicit-def: $vgpr5
.LBB6_18382:                            ;   in Loop: Header=BB6_16763 Depth=2
	s_and_not1_saveexec_b32 s10, s29
; %bb.18383:                            ;   in Loop: Header=BB6_16763 Depth=2
	v_or_b32_e32 v78, 0x7b, v5
; %bb.18384:                            ;   in Loop: Header=BB6_16763 Depth=2
	s_or_b32 exec_lo, exec_lo, s10
                                        ; implicit-def: $vgpr0
                                        ; implicit-def: $vgpr1
.LBB6_18385:                            ;   in Loop: Header=BB6_16763 Depth=2
	s_and_not1_saveexec_b32 s10, s28
	s_cbranch_execz .LBB6_18391
; %bb.18386:                            ;   in Loop: Header=BB6_16763 Depth=2
	s_mov_b32 s28, exec_lo
                                        ; implicit-def: $vgpr78
	v_cmpx_ne_u64_e32 0, v[54:55]
	s_xor_b32 s28, exec_lo, s28
; %bb.18387:                            ;   in Loop: Header=BB6_16763 Depth=2
	v_or_b32_e32 v78, 0x7f, v1
                                        ; implicit-def: $vgpr0
; %bb.18388:                            ;   in Loop: Header=BB6_16763 Depth=2
	s_and_not1_saveexec_b32 s28, s28
; %bb.18389:                            ;   in Loop: Header=BB6_16763 Depth=2
	v_cmp_lt_i32_e32 vcc_lo, -1, v0
	v_cndmask_b32_e32 v78, 0xfc, v30, vcc_lo
; %bb.18390:                            ;   in Loop: Header=BB6_16763 Depth=2
	s_or_b32 exec_lo, exec_lo, s28
.LBB6_18391:                            ;   in Loop: Header=BB6_16763 Depth=2
	s_delay_alu instid0(SALU_CYCLE_1) | instskip(SKIP_2) | instid1(VALU_DEP_1)
	s_or_b32 exec_lo, exec_lo, s10
	v_dual_lshrrev_b32 v0, 16, v11 :: v_dual_mov_b32 v2, 0
	s_mov_b32 s10, exec_lo
	v_and_b32_e32 v1, 0xff, v0
	s_delay_alu instid0(VALU_DEP_1)
	v_cmpx_ne_u16_e32 0, v1
	s_cbranch_execz .LBB6_18401
; %bb.18392:                            ;   in Loop: Header=BB6_16763 Depth=2
	v_bfrev_b32_e32 v2, 1
	s_mov_b32 s28, exec_lo
	v_cmpx_ne_u16_e32 0x80, v1
	s_cbranch_execz .LBB6_18400
; %bb.18393:                            ;   in Loop: Header=BB6_16763 Depth=2
	v_and_b32_e32 v2, 0x7c0000, v11
	v_bfe_u32 v1, v11, 16, 2
	s_delay_alu instid0(VALU_DEP_2) | instskip(SKIP_1) | instid1(SALU_CYCLE_1)
	v_cmp_ne_u32_e32 vcc_lo, 0x7c0000, v2
                                        ; implicit-def: $vgpr2
	s_and_saveexec_b32 s29, vcc_lo
	s_xor_b32 s29, exec_lo, s29
	s_cbranch_execz .LBB6_18397
; %bb.18394:                            ;   in Loop: Header=BB6_16763 Depth=2
	v_bfe_u32 v2, v11, 18, 5
	s_mov_b32 s40, exec_lo
	s_delay_alu instid0(VALU_DEP_1)
	v_cmpx_eq_u32_e32 0, v2
; %bb.18395:                            ;   in Loop: Header=BB6_16763 Depth=2
	v_clz_i32_u32_e32 v1, v1
	s_delay_alu instid0(VALU_DEP_1) | instskip(NEXT) | instid1(VALU_DEP_1)
	v_min_u32_e32 v1, 32, v1
	v_subrev_nc_u32_e32 v2, 29, v1
	s_delay_alu instid0(VALU_DEP_1) | instskip(NEXT) | instid1(VALU_DEP_1)
	v_lshlrev_b64_e32 v[6:7], v2, v[0:1]
	v_dual_sub_nc_u32 v2, 30, v1 :: v_dual_bitop2_b32 v1, 3, v6 bitop3:0x40
; %bb.18396:                            ;   in Loop: Header=BB6_16763 Depth=2
	s_or_b32 exec_lo, exec_lo, s40
	v_lshlrev_b32_e32 v0, 24, v0
	s_delay_alu instid0(VALU_DEP_1) | instskip(NEXT) | instid1(VALU_DEP_1)
	v_and_b32_e32 v0, 0x80000000, v0
	v_lshl_add_u32 v0, v2, 23, v0
	s_delay_alu instid0(VALU_DEP_1) | instskip(NEXT) | instid1(VALU_DEP_1)
	v_lshl_or_b32 v0, v1, 21, v0
                                        ; implicit-def: $vgpr1
	v_add_nc_u32_e32 v2, 0x38000000, v0
                                        ; implicit-def: $vgpr0
.LBB6_18397:                            ;   in Loop: Header=BB6_16763 Depth=2
	s_and_not1_saveexec_b32 s29, s29
; %bb.18398:                            ;   in Loop: Header=BB6_16763 Depth=2
	v_bfe_i32 v0, v0, 0, 8
	s_delay_alu instid0(VALU_DEP_1) | instskip(SKIP_2) | instid1(VALU_DEP_2)
	v_cmp_lt_i16_e32 vcc_lo, -1, v0
	v_cndmask_b32_e32 v0, 0xff800000, v29, vcc_lo
	v_cmp_eq_u32_e32 vcc_lo, 0, v1
	v_cndmask_b32_e32 v2, 0x7f800001, v0, vcc_lo
; %bb.18399:                            ;   in Loop: Header=BB6_16763 Depth=2
	s_or_b32 exec_lo, exec_lo, s29
.LBB6_18400:                            ;   in Loop: Header=BB6_16763 Depth=2
	s_delay_alu instid0(SALU_CYCLE_1)
	s_or_b32 exec_lo, exec_lo, s28
.LBB6_18401:                            ;   in Loop: Header=BB6_16763 Depth=2
	s_delay_alu instid0(SALU_CYCLE_1) | instskip(NEXT) | instid1(VALU_DEP_1)
	s_or_b32 exec_lo, exec_lo, s10
	v_dual_mul_f32 v0, s27, v2 :: v_dual_mov_b32 v3, v55
                                        ; implicit-def: $vgpr79
	s_mov_b32 s10, exec_lo
	s_delay_alu instid0(VALU_DEP_1) | instskip(SKIP_2) | instid1(VALU_DEP_3)
	v_and_b32_e32 v2, 0x7f800000, v0
	v_and_b32_e32 v54, 0x7fffff, v0
	v_lshrrev_b32_e32 v1, 24, v0
	v_cmpx_ne_u64_e32 0x7f800000, v[2:3]
	s_xor_b32 s28, exec_lo, s10
	s_cbranch_execz .LBB6_18415
; %bb.18402:                            ;   in Loop: Header=BB6_16763 Depth=2
	v_and_b32_e32 v2, 0x7fffffff, v0
	v_mov_b32_e32 v3, v55
	v_and_b32_e32 v5, 0x80, v1
                                        ; implicit-def: $vgpr79
	s_mov_b32 s10, exec_lo
	s_delay_alu instid0(VALU_DEP_2)
	v_cmpx_gt_u64_e32 0x47600001, v[2:3]
	s_xor_b32 s29, exec_lo, s10
	s_cbranch_execz .LBB6_18412
; %bb.18403:                            ;   in Loop: Header=BB6_16763 Depth=2
	v_mov_b32_e32 v79, 0
	s_mov_b32 s40, exec_lo
	v_cmpx_ne_u32_e32 0, v0
	s_cbranch_execz .LBB6_18411
; %bb.18404:                            ;   in Loop: Header=BB6_16763 Depth=2
	v_bfe_u32 v6, v0, 23, 8
	v_or_b32_e32 v1, 0x800000, v54
	s_delay_alu instid0(VALU_DEP_2) | instskip(SKIP_2) | instid1(VALU_DEP_2)
	v_cmp_gt_u32_e64 s10, 0x72, v6
	v_sub_nc_u32_e32 v0, 0x71, v6
	v_cmp_eq_u32_e32 vcc_lo, 0, v6
	v_cndmask_b32_e64 v0, 0, v0, s10
	s_delay_alu instid0(VALU_DEP_1) | instskip(SKIP_1) | instid1(VALU_DEP_2)
	v_cndmask_b32_e64 v7, v0, 0x70, vcc_lo
	v_dual_cndmask_b32 v0, v1, v54 :: v_dual_mov_b32 v1, v55
	v_dual_add_nc_u32 v2, 21, v7 :: v_dual_add_nc_u32 v8, 20, v7
	s_delay_alu instid0(VALU_DEP_1) | instskip(NEXT) | instid1(VALU_DEP_2)
	v_lshlrev_b64_e64 v[2:3], v2, -1
	v_lshlrev_b64_e64 v[8:9], v8, 1
	s_delay_alu instid0(VALU_DEP_2) | instskip(SKIP_1) | instid1(VALU_DEP_4)
	v_bfi_b32 v2, v2, 0, v0
	v_lshrrev_b64 v[0:1], v7, v[0:1]
	v_bfi_b32 v3, v3, 0, 0
	s_delay_alu instid0(VALU_DEP_1) | instskip(NEXT) | instid1(VALU_DEP_3)
	v_cmp_eq_u64_e64 s10, v[2:3], v[8:9]
	v_mov_b64_e32 v[2:3], v[0:1]
	s_and_saveexec_b32 s41, s10
; %bb.18405:                            ;   in Loop: Header=BB6_16763 Depth=2
	v_bfe_u32 v2, v0, 21, 1
	v_mov_b32_e32 v3, v55
	s_delay_alu instid0(VALU_DEP_1) | instskip(NEXT) | instid1(VALU_DEP_1)
	v_add_nc_u64_e32 v[2:3], v[0:1], v[2:3]
	v_add_nc_u64_e32 v[2:3], -1, v[2:3]
; %bb.18406:                            ;   in Loop: Header=BB6_16763 Depth=2
	s_or_b32 exec_lo, exec_lo, s41
	v_add_nc_u32_e32 v1, 0xffffff81, v6
	v_lshrrev_b32_e32 v3, 23, v0
	s_mov_b32 s10, exec_lo
	s_delay_alu instid0(VALU_DEP_2) | instskip(NEXT) | instid1(VALU_DEP_1)
	v_cndmask_b32_e64 v1, v1, 0xffffff82, vcc_lo
	v_add3_u32 v6, v7, v1, v3
	v_and_b32_e32 v1, 0x1fffff, v2
                                        ; implicit-def: $vgpr2
	s_delay_alu instid0(VALU_DEP_1) | instskip(NEXT) | instid1(VALU_DEP_1)
	v_dual_add_nc_u32 v3, 14, v6 :: v_dual_add_nc_u32 v54, v1, v0
                                        ; implicit-def: $vgpr0_vgpr1
	v_cmpx_ne_u32_e32 0, v3
	s_xor_b32 s10, exec_lo, s10
; %bb.18407:                            ;   in Loop: Header=BB6_16763 Depth=2
	s_delay_alu instid0(VALU_DEP_2) | instskip(SKIP_1) | instid1(VALU_DEP_1)
	v_cmp_lt_u64_e32 vcc_lo, 0xffffff, v[54:55]
	v_add_nc_u32_e32 v0, 15, v6
	v_cndmask_b32_e32 v2, v3, v0, vcc_lo
	v_cndmask_b32_e64 v0, 0, 1, vcc_lo
	s_delay_alu instid0(VALU_DEP_1)
	v_lshrrev_b64 v[0:1], v0, v[54:55]
; %bb.18408:                            ;   in Loop: Header=BB6_16763 Depth=2
	s_and_not1_saveexec_b32 s10, s10
; %bb.18409:                            ;   in Loop: Header=BB6_16763 Depth=2
	v_mov_b64_e32 v[0:1], v[54:55]
	v_bfe_u32 v2, v54, 23, 1
; %bb.18410:                            ;   in Loop: Header=BB6_16763 Depth=2
	s_or_b32 exec_lo, exec_lo, s10
	s_delay_alu instid0(VALU_DEP_2) | instskip(NEXT) | instid1(VALU_DEP_2)
	v_lshrrev_b64 v[0:1], 21, v[0:1]
	v_cmp_gt_i32_e32 vcc_lo, 32, v2
	v_min_i32_e32 v3, 31, v2
	v_cmp_eq_u32_e64 s10, 0, v2
	s_delay_alu instid0(VALU_DEP_2) | instskip(SKIP_1) | instid1(VALU_DEP_2)
	v_dual_cndmask_b32 v1, 0, v1, vcc_lo :: v_dual_lshlrev_b32 v3, 2, v3
	v_cndmask_b32_e32 v0, 3, v0, vcc_lo
	v_and_b32_e32 v3, 0xfc, v3
	s_delay_alu instid0(VALU_DEP_2) | instskip(NEXT) | instid1(VALU_DEP_2)
	v_cmp_eq_u64_e32 vcc_lo, 0, v[0:1]
	v_and_or_b32 v0, v0, 3, v3
	s_and_b32 s10, s10, vcc_lo
	s_delay_alu instid0(VALU_DEP_1) | instid1(SALU_CYCLE_1)
	v_cndmask_b32_e64 v0, v0, 0, s10
	s_delay_alu instid0(VALU_DEP_1)
	v_or_b32_e32 v79, v0, v5
.LBB6_18411:                            ;   in Loop: Header=BB6_16763 Depth=2
	s_or_b32 exec_lo, exec_lo, s40
                                        ; implicit-def: $vgpr5
.LBB6_18412:                            ;   in Loop: Header=BB6_16763 Depth=2
	s_and_not1_saveexec_b32 s10, s29
; %bb.18413:                            ;   in Loop: Header=BB6_16763 Depth=2
	v_or_b32_e32 v79, 0x7b, v5
; %bb.18414:                            ;   in Loop: Header=BB6_16763 Depth=2
	s_or_b32 exec_lo, exec_lo, s10
                                        ; implicit-def: $vgpr0
                                        ; implicit-def: $vgpr1
.LBB6_18415:                            ;   in Loop: Header=BB6_16763 Depth=2
	s_and_not1_saveexec_b32 s10, s28
	s_cbranch_execz .LBB6_18421
; %bb.18416:                            ;   in Loop: Header=BB6_16763 Depth=2
	s_mov_b32 s28, exec_lo
                                        ; implicit-def: $vgpr79
	v_cmpx_ne_u64_e32 0, v[54:55]
	s_xor_b32 s28, exec_lo, s28
; %bb.18417:                            ;   in Loop: Header=BB6_16763 Depth=2
	v_or_b32_e32 v79, 0x7f, v1
                                        ; implicit-def: $vgpr0
; %bb.18418:                            ;   in Loop: Header=BB6_16763 Depth=2
	s_and_not1_saveexec_b32 s28, s28
; %bb.18419:                            ;   in Loop: Header=BB6_16763 Depth=2
	v_cmp_lt_i32_e32 vcc_lo, -1, v0
	v_cndmask_b32_e32 v79, 0xfc, v30, vcc_lo
; %bb.18420:                            ;   in Loop: Header=BB6_16763 Depth=2
	s_or_b32 exec_lo, exec_lo, s28
.LBB6_18421:                            ;   in Loop: Header=BB6_16763 Depth=2
	s_delay_alu instid0(SALU_CYCLE_1)
	s_or_b32 exec_lo, exec_lo, s10
	v_mov_b32_e32 v1, 0
	s_mov_b32 s10, exec_lo
	v_cmpx_lt_u64_e64 s[12:13], v[10:11]
	s_cbranch_execz .LBB6_18431
; %bb.18422:                            ;   in Loop: Header=BB6_16763 Depth=2
	v_lshrrev_b32_e32 v0, 24, v11
	v_bfrev_b32_e32 v1, 1
	s_mov_b32 s28, exec_lo
	s_delay_alu instid0(VALU_DEP_2)
	v_cmpx_ne_u32_e32 0x80, v0
	s_cbranch_execz .LBB6_18430
; %bb.18423:                            ;   in Loop: Header=BB6_16763 Depth=2
	v_and_b32_e32 v1, 0x7c000000, v11
	v_bfe_u32 v2, v11, 24, 2
	s_delay_alu instid0(VALU_DEP_2) | instskip(SKIP_1) | instid1(SALU_CYCLE_1)
	v_cmp_ne_u32_e32 vcc_lo, 0x7c000000, v1
                                        ; implicit-def: $vgpr1
	s_and_saveexec_b32 s29, vcc_lo
	s_xor_b32 s29, exec_lo, s29
	s_cbranch_execz .LBB6_18427
; %bb.18424:                            ;   in Loop: Header=BB6_16763 Depth=2
	v_bfe_u32 v1, v11, 26, 5
	s_mov_b32 s40, exec_lo
	s_delay_alu instid0(VALU_DEP_1)
	v_cmpx_eq_u32_e32 0, v1
; %bb.18425:                            ;   in Loop: Header=BB6_16763 Depth=2
	v_clz_i32_u32_e32 v1, v2
	s_delay_alu instid0(VALU_DEP_1) | instskip(NEXT) | instid1(VALU_DEP_1)
	v_min_u32_e32 v2, 32, v1
	v_subrev_nc_u32_e32 v1, 29, v2
	s_delay_alu instid0(VALU_DEP_1) | instskip(NEXT) | instid1(VALU_DEP_1)
	v_lshlrev_b64_e32 v[0:1], v1, v[0:1]
	v_dual_sub_nc_u32 v1, 30, v2 :: v_dual_bitop2_b32 v2, 3, v0 bitop3:0x40
; %bb.18426:                            ;   in Loop: Header=BB6_16763 Depth=2
	s_or_b32 exec_lo, exec_lo, s40
	v_and_b32_e32 v0, 0x80000000, v11
	s_delay_alu instid0(VALU_DEP_1) | instskip(NEXT) | instid1(VALU_DEP_1)
	v_lshl_add_u32 v0, v1, 23, v0
	v_lshl_or_b32 v0, v2, 21, v0
                                        ; implicit-def: $vgpr2
	s_delay_alu instid0(VALU_DEP_1)
	v_add_nc_u32_e32 v1, 0x38000000, v0
.LBB6_18427:                            ;   in Loop: Header=BB6_16763 Depth=2
	s_and_not1_saveexec_b32 s29, s29
; %bb.18428:                            ;   in Loop: Header=BB6_16763 Depth=2
	v_cmp_lt_i64_e32 vcc_lo, -1, v[10:11]
	v_cndmask_b32_e32 v0, 0xff800000, v29, vcc_lo
	v_cmp_eq_u32_e32 vcc_lo, 0, v2
	s_delay_alu instid0(VALU_DEP_2)
	v_cndmask_b32_e32 v1, 0x7f800001, v0, vcc_lo
; %bb.18429:                            ;   in Loop: Header=BB6_16763 Depth=2
	s_or_b32 exec_lo, exec_lo, s29
.LBB6_18430:                            ;   in Loop: Header=BB6_16763 Depth=2
	s_delay_alu instid0(SALU_CYCLE_1)
	s_or_b32 exec_lo, exec_lo, s28
.LBB6_18431:                            ;   in Loop: Header=BB6_16763 Depth=2
	s_delay_alu instid0(SALU_CYCLE_1) | instskip(NEXT) | instid1(VALU_DEP_1)
	s_or_b32 exec_lo, exec_lo, s10
	v_dual_mul_f32 v0, s27, v1 :: v_dual_mov_b32 v3, v55
                                        ; implicit-def: $vgpr88
	s_mov_b32 s10, exec_lo
	s_delay_alu instid0(VALU_DEP_1) | instskip(SKIP_2) | instid1(VALU_DEP_3)
	v_and_b32_e32 v2, 0x7f800000, v0
	v_and_b32_e32 v54, 0x7fffff, v0
	v_lshrrev_b32_e32 v1, 24, v0
	v_cmpx_ne_u64_e32 0x7f800000, v[2:3]
	s_xor_b32 s28, exec_lo, s10
	s_cbranch_execz .LBB6_18445
; %bb.18432:                            ;   in Loop: Header=BB6_16763 Depth=2
	v_and_b32_e32 v2, 0x7fffffff, v0
	v_mov_b32_e32 v3, v55
	v_and_b32_e32 v5, 0x80, v1
                                        ; implicit-def: $vgpr88
	s_mov_b32 s10, exec_lo
	s_delay_alu instid0(VALU_DEP_2)
	v_cmpx_gt_u64_e32 0x47600001, v[2:3]
	s_xor_b32 s29, exec_lo, s10
	s_cbranch_execz .LBB6_18442
; %bb.18433:                            ;   in Loop: Header=BB6_16763 Depth=2
	v_mov_b32_e32 v88, 0
	s_mov_b32 s40, exec_lo
	v_cmpx_ne_u32_e32 0, v0
	s_cbranch_execz .LBB6_18441
; %bb.18434:                            ;   in Loop: Header=BB6_16763 Depth=2
	v_bfe_u32 v6, v0, 23, 8
	v_or_b32_e32 v1, 0x800000, v54
	s_delay_alu instid0(VALU_DEP_2) | instskip(SKIP_2) | instid1(VALU_DEP_2)
	v_cmp_gt_u32_e64 s10, 0x72, v6
	v_sub_nc_u32_e32 v0, 0x71, v6
	v_cmp_eq_u32_e32 vcc_lo, 0, v6
	v_cndmask_b32_e64 v0, 0, v0, s10
	s_delay_alu instid0(VALU_DEP_1) | instskip(SKIP_1) | instid1(VALU_DEP_2)
	v_cndmask_b32_e64 v7, v0, 0x70, vcc_lo
	v_dual_cndmask_b32 v0, v1, v54 :: v_dual_mov_b32 v1, v55
	v_dual_add_nc_u32 v2, 21, v7 :: v_dual_add_nc_u32 v8, 20, v7
	s_delay_alu instid0(VALU_DEP_1) | instskip(NEXT) | instid1(VALU_DEP_2)
	v_lshlrev_b64_e64 v[2:3], v2, -1
	v_lshlrev_b64_e64 v[8:9], v8, 1
	s_delay_alu instid0(VALU_DEP_2) | instskip(SKIP_1) | instid1(VALU_DEP_4)
	v_bfi_b32 v2, v2, 0, v0
	v_lshrrev_b64 v[0:1], v7, v[0:1]
	v_bfi_b32 v3, v3, 0, 0
	s_delay_alu instid0(VALU_DEP_1) | instskip(NEXT) | instid1(VALU_DEP_3)
	v_cmp_eq_u64_e64 s10, v[2:3], v[8:9]
	v_mov_b64_e32 v[2:3], v[0:1]
	s_and_saveexec_b32 s41, s10
; %bb.18435:                            ;   in Loop: Header=BB6_16763 Depth=2
	v_bfe_u32 v2, v0, 21, 1
	v_mov_b32_e32 v3, v55
	s_delay_alu instid0(VALU_DEP_1) | instskip(NEXT) | instid1(VALU_DEP_1)
	v_add_nc_u64_e32 v[2:3], v[0:1], v[2:3]
	v_add_nc_u64_e32 v[2:3], -1, v[2:3]
; %bb.18436:                            ;   in Loop: Header=BB6_16763 Depth=2
	s_or_b32 exec_lo, exec_lo, s41
	v_add_nc_u32_e32 v1, 0xffffff81, v6
	v_lshrrev_b32_e32 v3, 23, v0
	s_mov_b32 s10, exec_lo
	s_delay_alu instid0(VALU_DEP_2) | instskip(NEXT) | instid1(VALU_DEP_1)
	v_cndmask_b32_e64 v1, v1, 0xffffff82, vcc_lo
	v_add3_u32 v6, v7, v1, v3
	v_and_b32_e32 v1, 0x1fffff, v2
                                        ; implicit-def: $vgpr2
	s_delay_alu instid0(VALU_DEP_1) | instskip(NEXT) | instid1(VALU_DEP_1)
	v_dual_add_nc_u32 v3, 14, v6 :: v_dual_add_nc_u32 v54, v1, v0
                                        ; implicit-def: $vgpr0_vgpr1
	v_cmpx_ne_u32_e32 0, v3
	s_xor_b32 s10, exec_lo, s10
; %bb.18437:                            ;   in Loop: Header=BB6_16763 Depth=2
	s_delay_alu instid0(VALU_DEP_2) | instskip(SKIP_1) | instid1(VALU_DEP_1)
	v_cmp_lt_u64_e32 vcc_lo, 0xffffff, v[54:55]
	v_add_nc_u32_e32 v0, 15, v6
	v_cndmask_b32_e32 v2, v3, v0, vcc_lo
	v_cndmask_b32_e64 v0, 0, 1, vcc_lo
	s_delay_alu instid0(VALU_DEP_1)
	v_lshrrev_b64 v[0:1], v0, v[54:55]
; %bb.18438:                            ;   in Loop: Header=BB6_16763 Depth=2
	s_and_not1_saveexec_b32 s10, s10
; %bb.18439:                            ;   in Loop: Header=BB6_16763 Depth=2
	v_mov_b64_e32 v[0:1], v[54:55]
	v_bfe_u32 v2, v54, 23, 1
; %bb.18440:                            ;   in Loop: Header=BB6_16763 Depth=2
	s_or_b32 exec_lo, exec_lo, s10
	s_delay_alu instid0(VALU_DEP_2) | instskip(NEXT) | instid1(VALU_DEP_2)
	v_lshrrev_b64 v[0:1], 21, v[0:1]
	v_cmp_gt_i32_e32 vcc_lo, 32, v2
	v_min_i32_e32 v3, 31, v2
	v_cmp_eq_u32_e64 s10, 0, v2
	s_delay_alu instid0(VALU_DEP_2) | instskip(SKIP_1) | instid1(VALU_DEP_2)
	v_dual_cndmask_b32 v1, 0, v1, vcc_lo :: v_dual_lshlrev_b32 v3, 2, v3
	v_cndmask_b32_e32 v0, 3, v0, vcc_lo
	v_and_b32_e32 v3, 0xfc, v3
	s_delay_alu instid0(VALU_DEP_2) | instskip(NEXT) | instid1(VALU_DEP_2)
	v_cmp_eq_u64_e32 vcc_lo, 0, v[0:1]
	v_and_or_b32 v0, v0, 3, v3
	s_and_b32 s10, s10, vcc_lo
	s_delay_alu instid0(VALU_DEP_1) | instid1(SALU_CYCLE_1)
	v_cndmask_b32_e64 v0, v0, 0, s10
	s_delay_alu instid0(VALU_DEP_1)
	v_or_b32_e32 v88, v0, v5
.LBB6_18441:                            ;   in Loop: Header=BB6_16763 Depth=2
	s_or_b32 exec_lo, exec_lo, s40
                                        ; implicit-def: $vgpr5
.LBB6_18442:                            ;   in Loop: Header=BB6_16763 Depth=2
	s_and_not1_saveexec_b32 s10, s29
; %bb.18443:                            ;   in Loop: Header=BB6_16763 Depth=2
	v_or_b32_e32 v88, 0x7b, v5
; %bb.18444:                            ;   in Loop: Header=BB6_16763 Depth=2
	s_or_b32 exec_lo, exec_lo, s10
                                        ; implicit-def: $vgpr0
                                        ; implicit-def: $vgpr1
.LBB6_18445:                            ;   in Loop: Header=BB6_16763 Depth=2
	s_and_not1_saveexec_b32 s10, s28
	s_cbranch_execz .LBB6_18451
; %bb.18446:                            ;   in Loop: Header=BB6_16763 Depth=2
	s_mov_b32 s28, exec_lo
                                        ; implicit-def: $vgpr88
	v_cmpx_ne_u64_e32 0, v[54:55]
	s_xor_b32 s28, exec_lo, s28
; %bb.18447:                            ;   in Loop: Header=BB6_16763 Depth=2
	v_or_b32_e32 v88, 0x7f, v1
                                        ; implicit-def: $vgpr0
; %bb.18448:                            ;   in Loop: Header=BB6_16763 Depth=2
	s_and_not1_saveexec_b32 s28, s28
; %bb.18449:                            ;   in Loop: Header=BB6_16763 Depth=2
	v_cmp_lt_i32_e32 vcc_lo, -1, v0
	v_cndmask_b32_e32 v88, 0xfc, v30, vcc_lo
; %bb.18450:                            ;   in Loop: Header=BB6_16763 Depth=2
	s_or_b32 exec_lo, exec_lo, s28
.LBB6_18451:                            ;   in Loop: Header=BB6_16763 Depth=2
	s_delay_alu instid0(SALU_CYCLE_1) | instskip(SKIP_1) | instid1(VALU_DEP_1)
	s_or_b32 exec_lo, exec_lo, s10
	v_and_b32_e32 v0, 0xff, v12
	v_cmp_ne_u16_e32 vcc_lo, 0, v0
	v_mov_b32_e32 v0, 0
	s_and_saveexec_b32 s10, vcc_lo
	s_cbranch_execz .LBB6_18461
; %bb.18452:                            ;   in Loop: Header=BB6_16763 Depth=2
	v_bfe_i32 v2, v12, 0, 8
	v_bfrev_b32_e32 v0, 1
	s_mov_b32 s28, exec_lo
	s_delay_alu instid0(VALU_DEP_2)
	v_cmpx_ne_u16_e32 0xff80, v2
	s_cbranch_execz .LBB6_18460
; %bb.18453:                            ;   in Loop: Header=BB6_16763 Depth=2
	v_and_b32_e32 v0, 0x7c, v12
	v_and_b32_e32 v1, 3, v12
	s_delay_alu instid0(VALU_DEP_2) | instskip(SKIP_1) | instid1(SALU_CYCLE_1)
	v_cmp_ne_u32_e32 vcc_lo, 0x7c, v0
                                        ; implicit-def: $vgpr0
	s_and_saveexec_b32 s29, vcc_lo
	s_xor_b32 s29, exec_lo, s29
	s_cbranch_execz .LBB6_18457
; %bb.18454:                            ;   in Loop: Header=BB6_16763 Depth=2
	v_bfe_u32 v0, v12, 2, 5
	s_mov_b32 s40, exec_lo
	s_delay_alu instid0(VALU_DEP_1)
	v_cmpx_eq_u32_e32 0, v0
; %bb.18455:                            ;   in Loop: Header=BB6_16763 Depth=2
	v_clz_i32_u32_e32 v0, v1
	s_delay_alu instid0(VALU_DEP_1) | instskip(NEXT) | instid1(VALU_DEP_1)
	v_min_u32_e32 v0, 32, v0
	v_subrev_nc_u32_e32 v1, 29, v0
	s_delay_alu instid0(VALU_DEP_1) | instskip(NEXT) | instid1(VALU_DEP_1)
	v_lshlrev_b64_e32 v[2:3], v1, v[12:13]
	v_dual_sub_nc_u32 v0, 30, v0 :: v_dual_bitop2_b32 v1, 3, v2 bitop3:0x40
; %bb.18456:                            ;   in Loop: Header=BB6_16763 Depth=2
	s_or_b32 exec_lo, exec_lo, s40
	v_lshlrev_b32_e32 v2, 24, v12
	s_delay_alu instid0(VALU_DEP_1) | instskip(NEXT) | instid1(VALU_DEP_1)
	v_and_b32_e32 v2, 0x80000000, v2
	v_lshl_add_u32 v0, v0, 23, v2
                                        ; implicit-def: $vgpr2
	s_delay_alu instid0(VALU_DEP_1) | instskip(NEXT) | instid1(VALU_DEP_1)
	v_lshl_or_b32 v0, v1, 21, v0
                                        ; implicit-def: $vgpr1
	v_add_nc_u32_e32 v0, 0x38000000, v0
.LBB6_18457:                            ;   in Loop: Header=BB6_16763 Depth=2
	s_and_not1_saveexec_b32 s29, s29
; %bb.18458:                            ;   in Loop: Header=BB6_16763 Depth=2
	v_cmp_lt_i16_e32 vcc_lo, -1, v2
	v_cndmask_b32_e32 v0, 0xff800000, v29, vcc_lo
	v_cmp_eq_u32_e32 vcc_lo, 0, v1
	s_delay_alu instid0(VALU_DEP_2)
	v_cndmask_b32_e32 v0, 0x7f800001, v0, vcc_lo
; %bb.18459:                            ;   in Loop: Header=BB6_16763 Depth=2
	s_or_b32 exec_lo, exec_lo, s29
.LBB6_18460:                            ;   in Loop: Header=BB6_16763 Depth=2
	s_delay_alu instid0(SALU_CYCLE_1)
	s_or_b32 exec_lo, exec_lo, s28
.LBB6_18461:                            ;   in Loop: Header=BB6_16763 Depth=2
	s_delay_alu instid0(SALU_CYCLE_1) | instskip(NEXT) | instid1(VALU_DEP_1)
	s_or_b32 exec_lo, exec_lo, s10
	v_dual_mul_f32 v0, s27, v0 :: v_dual_mov_b32 v3, v55
                                        ; implicit-def: $vgpr89
	s_mov_b32 s10, exec_lo
	s_delay_alu instid0(VALU_DEP_1) | instskip(SKIP_2) | instid1(VALU_DEP_3)
	v_and_b32_e32 v2, 0x7f800000, v0
	v_and_b32_e32 v54, 0x7fffff, v0
	v_lshrrev_b32_e32 v1, 24, v0
	v_cmpx_ne_u64_e32 0x7f800000, v[2:3]
	s_xor_b32 s28, exec_lo, s10
	s_cbranch_execz .LBB6_18475
; %bb.18462:                            ;   in Loop: Header=BB6_16763 Depth=2
	v_and_b32_e32 v2, 0x7fffffff, v0
	v_mov_b32_e32 v3, v55
	v_and_b32_e32 v5, 0x80, v1
                                        ; implicit-def: $vgpr89
	s_mov_b32 s10, exec_lo
	s_delay_alu instid0(VALU_DEP_2)
	v_cmpx_gt_u64_e32 0x47600001, v[2:3]
	s_xor_b32 s29, exec_lo, s10
	s_cbranch_execz .LBB6_18472
; %bb.18463:                            ;   in Loop: Header=BB6_16763 Depth=2
	v_mov_b32_e32 v89, 0
	s_mov_b32 s40, exec_lo
	v_cmpx_ne_u32_e32 0, v0
	s_cbranch_execz .LBB6_18471
; %bb.18464:                            ;   in Loop: Header=BB6_16763 Depth=2
	v_bfe_u32 v6, v0, 23, 8
	v_or_b32_e32 v1, 0x800000, v54
	s_delay_alu instid0(VALU_DEP_2) | instskip(SKIP_2) | instid1(VALU_DEP_2)
	v_cmp_gt_u32_e64 s10, 0x72, v6
	v_sub_nc_u32_e32 v0, 0x71, v6
	v_cmp_eq_u32_e32 vcc_lo, 0, v6
	v_cndmask_b32_e64 v0, 0, v0, s10
	s_delay_alu instid0(VALU_DEP_1) | instskip(SKIP_1) | instid1(VALU_DEP_2)
	v_cndmask_b32_e64 v7, v0, 0x70, vcc_lo
	v_dual_cndmask_b32 v0, v1, v54 :: v_dual_mov_b32 v1, v55
	v_dual_add_nc_u32 v2, 21, v7 :: v_dual_add_nc_u32 v8, 20, v7
	s_delay_alu instid0(VALU_DEP_1) | instskip(NEXT) | instid1(VALU_DEP_2)
	v_lshlrev_b64_e64 v[2:3], v2, -1
	v_lshlrev_b64_e64 v[8:9], v8, 1
	s_delay_alu instid0(VALU_DEP_2) | instskip(SKIP_1) | instid1(VALU_DEP_4)
	v_bfi_b32 v2, v2, 0, v0
	v_lshrrev_b64 v[0:1], v7, v[0:1]
	v_bfi_b32 v3, v3, 0, 0
	s_delay_alu instid0(VALU_DEP_1) | instskip(NEXT) | instid1(VALU_DEP_3)
	v_cmp_eq_u64_e64 s10, v[2:3], v[8:9]
	v_mov_b64_e32 v[2:3], v[0:1]
	s_and_saveexec_b32 s41, s10
; %bb.18465:                            ;   in Loop: Header=BB6_16763 Depth=2
	v_bfe_u32 v2, v0, 21, 1
	v_mov_b32_e32 v3, v55
	s_delay_alu instid0(VALU_DEP_1) | instskip(NEXT) | instid1(VALU_DEP_1)
	v_add_nc_u64_e32 v[2:3], v[0:1], v[2:3]
	v_add_nc_u64_e32 v[2:3], -1, v[2:3]
; %bb.18466:                            ;   in Loop: Header=BB6_16763 Depth=2
	s_or_b32 exec_lo, exec_lo, s41
	v_add_nc_u32_e32 v1, 0xffffff81, v6
	v_lshrrev_b32_e32 v3, 23, v0
	s_mov_b32 s10, exec_lo
	s_delay_alu instid0(VALU_DEP_2) | instskip(NEXT) | instid1(VALU_DEP_1)
	v_cndmask_b32_e64 v1, v1, 0xffffff82, vcc_lo
	v_add3_u32 v6, v7, v1, v3
	v_and_b32_e32 v1, 0x1fffff, v2
                                        ; implicit-def: $vgpr2
	s_delay_alu instid0(VALU_DEP_1) | instskip(NEXT) | instid1(VALU_DEP_1)
	v_dual_add_nc_u32 v3, 14, v6 :: v_dual_add_nc_u32 v54, v1, v0
                                        ; implicit-def: $vgpr0_vgpr1
	v_cmpx_ne_u32_e32 0, v3
	s_xor_b32 s10, exec_lo, s10
; %bb.18467:                            ;   in Loop: Header=BB6_16763 Depth=2
	s_delay_alu instid0(VALU_DEP_2) | instskip(SKIP_1) | instid1(VALU_DEP_1)
	v_cmp_lt_u64_e32 vcc_lo, 0xffffff, v[54:55]
	v_add_nc_u32_e32 v0, 15, v6
	v_cndmask_b32_e32 v2, v3, v0, vcc_lo
	v_cndmask_b32_e64 v0, 0, 1, vcc_lo
	s_delay_alu instid0(VALU_DEP_1)
	v_lshrrev_b64 v[0:1], v0, v[54:55]
; %bb.18468:                            ;   in Loop: Header=BB6_16763 Depth=2
	s_and_not1_saveexec_b32 s10, s10
; %bb.18469:                            ;   in Loop: Header=BB6_16763 Depth=2
	v_mov_b64_e32 v[0:1], v[54:55]
	v_bfe_u32 v2, v54, 23, 1
; %bb.18470:                            ;   in Loop: Header=BB6_16763 Depth=2
	s_or_b32 exec_lo, exec_lo, s10
	s_delay_alu instid0(VALU_DEP_2) | instskip(NEXT) | instid1(VALU_DEP_2)
	v_lshrrev_b64 v[0:1], 21, v[0:1]
	v_cmp_gt_i32_e32 vcc_lo, 32, v2
	v_min_i32_e32 v3, 31, v2
	v_cmp_eq_u32_e64 s10, 0, v2
	s_delay_alu instid0(VALU_DEP_2) | instskip(SKIP_1) | instid1(VALU_DEP_2)
	v_dual_cndmask_b32 v1, 0, v1, vcc_lo :: v_dual_lshlrev_b32 v3, 2, v3
	v_cndmask_b32_e32 v0, 3, v0, vcc_lo
	v_and_b32_e32 v3, 0xfc, v3
	s_delay_alu instid0(VALU_DEP_2) | instskip(NEXT) | instid1(VALU_DEP_2)
	v_cmp_eq_u64_e32 vcc_lo, 0, v[0:1]
	v_and_or_b32 v0, v0, 3, v3
	s_and_b32 s10, s10, vcc_lo
	s_delay_alu instid0(VALU_DEP_1) | instid1(SALU_CYCLE_1)
	v_cndmask_b32_e64 v0, v0, 0, s10
	s_delay_alu instid0(VALU_DEP_1)
	v_or_b32_e32 v89, v0, v5
.LBB6_18471:                            ;   in Loop: Header=BB6_16763 Depth=2
	s_or_b32 exec_lo, exec_lo, s40
                                        ; implicit-def: $vgpr5
.LBB6_18472:                            ;   in Loop: Header=BB6_16763 Depth=2
	s_and_not1_saveexec_b32 s10, s29
; %bb.18473:                            ;   in Loop: Header=BB6_16763 Depth=2
	v_or_b32_e32 v89, 0x7b, v5
; %bb.18474:                            ;   in Loop: Header=BB6_16763 Depth=2
	s_or_b32 exec_lo, exec_lo, s10
                                        ; implicit-def: $vgpr0
                                        ; implicit-def: $vgpr1
.LBB6_18475:                            ;   in Loop: Header=BB6_16763 Depth=2
	s_and_not1_saveexec_b32 s10, s28
	s_cbranch_execz .LBB6_18481
; %bb.18476:                            ;   in Loop: Header=BB6_16763 Depth=2
	s_mov_b32 s28, exec_lo
                                        ; implicit-def: $vgpr89
	v_cmpx_ne_u64_e32 0, v[54:55]
	s_xor_b32 s28, exec_lo, s28
; %bb.18477:                            ;   in Loop: Header=BB6_16763 Depth=2
	v_or_b32_e32 v89, 0x7f, v1
                                        ; implicit-def: $vgpr0
; %bb.18478:                            ;   in Loop: Header=BB6_16763 Depth=2
	s_and_not1_saveexec_b32 s28, s28
; %bb.18479:                            ;   in Loop: Header=BB6_16763 Depth=2
	v_cmp_lt_i32_e32 vcc_lo, -1, v0
	v_cndmask_b32_e32 v89, 0xfc, v30, vcc_lo
; %bb.18480:                            ;   in Loop: Header=BB6_16763 Depth=2
	s_or_b32 exec_lo, exec_lo, s28
.LBB6_18481:                            ;   in Loop: Header=BB6_16763 Depth=2
	s_delay_alu instid0(SALU_CYCLE_1) | instskip(SKIP_3) | instid1(VALU_DEP_2)
	s_or_b32 exec_lo, exec_lo, s10
	v_lshrrev_b16 v0, 8, v12
	v_mov_b32_e32 v2, 0
	s_mov_b32 s10, exec_lo
	v_cmpx_ne_u16_e32 0, v0
	s_cbranch_execz .LBB6_18491
; %bb.18482:                            ;   in Loop: Header=BB6_16763 Depth=2
	v_bfrev_b32_e32 v2, 1
	s_mov_b32 s28, exec_lo
	v_cmpx_ne_u16_e32 0x80, v0
	s_cbranch_execz .LBB6_18490
; %bb.18483:                            ;   in Loop: Header=BB6_16763 Depth=2
	v_and_b32_e32 v3, 0xffff, v0
	s_delay_alu instid0(VALU_DEP_1) | instskip(SKIP_1) | instid1(VALU_DEP_2)
	v_and_b32_e32 v2, 0x7c, v3
	v_and_b32_e32 v1, 3, v3
	v_cmp_ne_u32_e32 vcc_lo, 0x7c, v2
                                        ; implicit-def: $vgpr2
	s_and_saveexec_b32 s29, vcc_lo
	s_delay_alu instid0(SALU_CYCLE_1)
	s_xor_b32 s29, exec_lo, s29
	s_cbranch_execz .LBB6_18487
; %bb.18484:                            ;   in Loop: Header=BB6_16763 Depth=2
	v_bfe_u32 v2, v3, 2, 5
	s_mov_b32 s40, exec_lo
	s_delay_alu instid0(VALU_DEP_1)
	v_cmpx_eq_u32_e32 0, v2
	s_cbranch_execz .LBB6_18486
; %bb.18485:                            ;   in Loop: Header=BB6_16763 Depth=2
	v_clz_i32_u32_e32 v1, v1
	s_delay_alu instid0(VALU_DEP_1) | instskip(SKIP_1) | instid1(VALU_DEP_2)
	v_min_u32_e32 v2, 32, v1
	v_mov_b32_e32 v1, v55
	v_subrev_nc_u32_e32 v3, 29, v2
	v_sub_nc_u32_e32 v2, 30, v2
	s_delay_alu instid0(VALU_DEP_2) | instskip(NEXT) | instid1(VALU_DEP_1)
	v_lshlrev_b64_e32 v[0:1], v3, v[0:1]
	v_and_b32_e32 v1, 3, v0
.LBB6_18486:                            ;   in Loop: Header=BB6_16763 Depth=2
	s_or_b32 exec_lo, exec_lo, s40
	v_lshlrev_b32_e32 v0, 16, v12
	s_delay_alu instid0(VALU_DEP_1) | instskip(NEXT) | instid1(VALU_DEP_1)
	v_and_b32_e32 v0, 0x80000000, v0
	v_lshl_add_u32 v0, v2, 23, v0
	s_delay_alu instid0(VALU_DEP_1) | instskip(NEXT) | instid1(VALU_DEP_1)
	v_lshl_or_b32 v0, v1, 21, v0
                                        ; implicit-def: $vgpr1
	v_add_nc_u32_e32 v2, 0x38000000, v0
.LBB6_18487:                            ;   in Loop: Header=BB6_16763 Depth=2
	s_and_not1_saveexec_b32 s29, s29
; %bb.18488:                            ;   in Loop: Header=BB6_16763 Depth=2
	v_cmp_lt_i16_e32 vcc_lo, -1, v12
	v_cndmask_b32_e32 v0, 0xff800000, v29, vcc_lo
	v_cmp_eq_u32_e32 vcc_lo, 0, v1
	s_delay_alu instid0(VALU_DEP_2)
	v_cndmask_b32_e32 v2, 0x7f800001, v0, vcc_lo
; %bb.18489:                            ;   in Loop: Header=BB6_16763 Depth=2
	s_or_b32 exec_lo, exec_lo, s29
.LBB6_18490:                            ;   in Loop: Header=BB6_16763 Depth=2
	s_delay_alu instid0(SALU_CYCLE_1)
	s_or_b32 exec_lo, exec_lo, s28
.LBB6_18491:                            ;   in Loop: Header=BB6_16763 Depth=2
	s_delay_alu instid0(SALU_CYCLE_1) | instskip(NEXT) | instid1(VALU_DEP_1)
	s_or_b32 exec_lo, exec_lo, s10
	v_dual_mul_f32 v0, s27, v2 :: v_dual_mov_b32 v3, v55
                                        ; implicit-def: $vgpr90
	s_mov_b32 s10, exec_lo
	s_delay_alu instid0(VALU_DEP_1) | instskip(SKIP_2) | instid1(VALU_DEP_3)
	v_and_b32_e32 v2, 0x7f800000, v0
	v_and_b32_e32 v54, 0x7fffff, v0
	v_lshrrev_b32_e32 v1, 24, v0
	v_cmpx_ne_u64_e32 0x7f800000, v[2:3]
	s_xor_b32 s28, exec_lo, s10
	s_cbranch_execz .LBB6_18505
; %bb.18492:                            ;   in Loop: Header=BB6_16763 Depth=2
	v_and_b32_e32 v2, 0x7fffffff, v0
	v_mov_b32_e32 v3, v55
	v_and_b32_e32 v5, 0x80, v1
                                        ; implicit-def: $vgpr90
	s_mov_b32 s10, exec_lo
	s_delay_alu instid0(VALU_DEP_2)
	v_cmpx_gt_u64_e32 0x47600001, v[2:3]
	s_xor_b32 s29, exec_lo, s10
	s_cbranch_execz .LBB6_18502
; %bb.18493:                            ;   in Loop: Header=BB6_16763 Depth=2
	v_mov_b32_e32 v90, 0
	s_mov_b32 s40, exec_lo
	v_cmpx_ne_u32_e32 0, v0
	s_cbranch_execz .LBB6_18501
; %bb.18494:                            ;   in Loop: Header=BB6_16763 Depth=2
	v_bfe_u32 v6, v0, 23, 8
	v_or_b32_e32 v1, 0x800000, v54
	s_delay_alu instid0(VALU_DEP_2) | instskip(SKIP_2) | instid1(VALU_DEP_2)
	v_cmp_gt_u32_e64 s10, 0x72, v6
	v_sub_nc_u32_e32 v0, 0x71, v6
	v_cmp_eq_u32_e32 vcc_lo, 0, v6
	v_cndmask_b32_e64 v0, 0, v0, s10
	s_delay_alu instid0(VALU_DEP_1) | instskip(SKIP_1) | instid1(VALU_DEP_2)
	v_cndmask_b32_e64 v7, v0, 0x70, vcc_lo
	v_dual_cndmask_b32 v0, v1, v54 :: v_dual_mov_b32 v1, v55
	v_dual_add_nc_u32 v2, 21, v7 :: v_dual_add_nc_u32 v8, 20, v7
	s_delay_alu instid0(VALU_DEP_1) | instskip(NEXT) | instid1(VALU_DEP_2)
	v_lshlrev_b64_e64 v[2:3], v2, -1
	v_lshlrev_b64_e64 v[8:9], v8, 1
	s_delay_alu instid0(VALU_DEP_2) | instskip(SKIP_1) | instid1(VALU_DEP_4)
	v_bfi_b32 v2, v2, 0, v0
	v_lshrrev_b64 v[0:1], v7, v[0:1]
	v_bfi_b32 v3, v3, 0, 0
	s_delay_alu instid0(VALU_DEP_1) | instskip(NEXT) | instid1(VALU_DEP_3)
	v_cmp_eq_u64_e64 s10, v[2:3], v[8:9]
	v_mov_b64_e32 v[2:3], v[0:1]
	s_and_saveexec_b32 s41, s10
; %bb.18495:                            ;   in Loop: Header=BB6_16763 Depth=2
	v_bfe_u32 v2, v0, 21, 1
	v_mov_b32_e32 v3, v55
	s_delay_alu instid0(VALU_DEP_1) | instskip(NEXT) | instid1(VALU_DEP_1)
	v_add_nc_u64_e32 v[2:3], v[0:1], v[2:3]
	v_add_nc_u64_e32 v[2:3], -1, v[2:3]
; %bb.18496:                            ;   in Loop: Header=BB6_16763 Depth=2
	s_or_b32 exec_lo, exec_lo, s41
	v_add_nc_u32_e32 v1, 0xffffff81, v6
	v_lshrrev_b32_e32 v3, 23, v0
	s_mov_b32 s10, exec_lo
	s_delay_alu instid0(VALU_DEP_2) | instskip(NEXT) | instid1(VALU_DEP_1)
	v_cndmask_b32_e64 v1, v1, 0xffffff82, vcc_lo
	v_add3_u32 v6, v7, v1, v3
	v_and_b32_e32 v1, 0x1fffff, v2
                                        ; implicit-def: $vgpr2
	s_delay_alu instid0(VALU_DEP_1) | instskip(NEXT) | instid1(VALU_DEP_1)
	v_dual_add_nc_u32 v3, 14, v6 :: v_dual_add_nc_u32 v54, v1, v0
                                        ; implicit-def: $vgpr0_vgpr1
	v_cmpx_ne_u32_e32 0, v3
	s_xor_b32 s10, exec_lo, s10
; %bb.18497:                            ;   in Loop: Header=BB6_16763 Depth=2
	s_delay_alu instid0(VALU_DEP_2) | instskip(SKIP_1) | instid1(VALU_DEP_1)
	v_cmp_lt_u64_e32 vcc_lo, 0xffffff, v[54:55]
	v_add_nc_u32_e32 v0, 15, v6
	v_cndmask_b32_e32 v2, v3, v0, vcc_lo
	v_cndmask_b32_e64 v0, 0, 1, vcc_lo
	s_delay_alu instid0(VALU_DEP_1)
	v_lshrrev_b64 v[0:1], v0, v[54:55]
; %bb.18498:                            ;   in Loop: Header=BB6_16763 Depth=2
	s_and_not1_saveexec_b32 s10, s10
; %bb.18499:                            ;   in Loop: Header=BB6_16763 Depth=2
	v_mov_b64_e32 v[0:1], v[54:55]
	v_bfe_u32 v2, v54, 23, 1
; %bb.18500:                            ;   in Loop: Header=BB6_16763 Depth=2
	s_or_b32 exec_lo, exec_lo, s10
	s_delay_alu instid0(VALU_DEP_2) | instskip(NEXT) | instid1(VALU_DEP_2)
	v_lshrrev_b64 v[0:1], 21, v[0:1]
	v_cmp_gt_i32_e32 vcc_lo, 32, v2
	v_min_i32_e32 v3, 31, v2
	v_cmp_eq_u32_e64 s10, 0, v2
	s_delay_alu instid0(VALU_DEP_2) | instskip(SKIP_1) | instid1(VALU_DEP_2)
	v_dual_cndmask_b32 v1, 0, v1, vcc_lo :: v_dual_lshlrev_b32 v3, 2, v3
	v_cndmask_b32_e32 v0, 3, v0, vcc_lo
	v_and_b32_e32 v3, 0xfc, v3
	s_delay_alu instid0(VALU_DEP_2) | instskip(NEXT) | instid1(VALU_DEP_2)
	v_cmp_eq_u64_e32 vcc_lo, 0, v[0:1]
	v_and_or_b32 v0, v0, 3, v3
	s_and_b32 s10, s10, vcc_lo
	s_delay_alu instid0(VALU_DEP_1) | instid1(SALU_CYCLE_1)
	v_cndmask_b32_e64 v0, v0, 0, s10
	s_delay_alu instid0(VALU_DEP_1)
	v_or_b32_e32 v90, v0, v5
.LBB6_18501:                            ;   in Loop: Header=BB6_16763 Depth=2
	s_or_b32 exec_lo, exec_lo, s40
                                        ; implicit-def: $vgpr5
.LBB6_18502:                            ;   in Loop: Header=BB6_16763 Depth=2
	s_and_not1_saveexec_b32 s10, s29
; %bb.18503:                            ;   in Loop: Header=BB6_16763 Depth=2
	v_or_b32_e32 v90, 0x7b, v5
; %bb.18504:                            ;   in Loop: Header=BB6_16763 Depth=2
	s_or_b32 exec_lo, exec_lo, s10
                                        ; implicit-def: $vgpr0
                                        ; implicit-def: $vgpr1
.LBB6_18505:                            ;   in Loop: Header=BB6_16763 Depth=2
	s_and_not1_saveexec_b32 s10, s28
	s_cbranch_execz .LBB6_18511
; %bb.18506:                            ;   in Loop: Header=BB6_16763 Depth=2
	s_mov_b32 s28, exec_lo
                                        ; implicit-def: $vgpr90
	v_cmpx_ne_u64_e32 0, v[54:55]
	s_xor_b32 s28, exec_lo, s28
; %bb.18507:                            ;   in Loop: Header=BB6_16763 Depth=2
	v_or_b32_e32 v90, 0x7f, v1
                                        ; implicit-def: $vgpr0
; %bb.18508:                            ;   in Loop: Header=BB6_16763 Depth=2
	s_and_not1_saveexec_b32 s28, s28
; %bb.18509:                            ;   in Loop: Header=BB6_16763 Depth=2
	v_cmp_lt_i32_e32 vcc_lo, -1, v0
	v_cndmask_b32_e32 v90, 0xfc, v30, vcc_lo
; %bb.18510:                            ;   in Loop: Header=BB6_16763 Depth=2
	s_or_b32 exec_lo, exec_lo, s28
.LBB6_18511:                            ;   in Loop: Header=BB6_16763 Depth=2
	s_delay_alu instid0(SALU_CYCLE_1) | instskip(SKIP_2) | instid1(VALU_DEP_1)
	s_or_b32 exec_lo, exec_lo, s10
	v_dual_mov_b32 v1, 0 :: v_dual_lshrrev_b32 v0, 16, v12
	s_mov_b32 s28, exec_lo
	v_and_b32_e32 v2, 0xff, v0
	s_delay_alu instid0(VALU_DEP_1)
	v_cmpx_ne_u16_e32 0, v2
	s_cbranch_execz .LBB6_18521
; %bb.18512:                            ;   in Loop: Header=BB6_16763 Depth=2
	v_bfrev_b32_e32 v1, 1
	s_mov_b32 s29, exec_lo
	v_cmpx_ne_u16_e32 0x80, v2
	s_cbranch_execz .LBB6_18520
; %bb.18513:                            ;   in Loop: Header=BB6_16763 Depth=2
	v_and_b32_e32 v1, 0x7c0000, v12
	v_bfe_u32 v2, v12, 16, 2
	s_delay_alu instid0(VALU_DEP_2) | instskip(SKIP_1) | instid1(SALU_CYCLE_1)
	v_cmp_ne_u32_e32 vcc_lo, 0x7c0000, v1
                                        ; implicit-def: $vgpr1
	s_and_saveexec_b32 s10, vcc_lo
	s_xor_b32 s10, exec_lo, s10
	s_cbranch_execz .LBB6_18517
; %bb.18514:                            ;   in Loop: Header=BB6_16763 Depth=2
	v_bfe_u32 v1, v12, 18, 5
	s_mov_b32 s40, exec_lo
	s_delay_alu instid0(VALU_DEP_1)
	v_cmpx_eq_u32_e32 0, v1
; %bb.18515:                            ;   in Loop: Header=BB6_16763 Depth=2
	v_clz_i32_u32_e32 v1, v2
	s_delay_alu instid0(VALU_DEP_1) | instskip(NEXT) | instid1(VALU_DEP_1)
	v_min_u32_e32 v1, 32, v1
	v_subrev_nc_u32_e32 v2, 29, v1
	s_delay_alu instid0(VALU_DEP_1) | instskip(NEXT) | instid1(VALU_DEP_1)
	v_lshlrev_b64_e32 v[2:3], v2, v[0:1]
	v_dual_sub_nc_u32 v1, 30, v1 :: v_dual_bitop2_b32 v2, 3, v2 bitop3:0x40
; %bb.18516:                            ;   in Loop: Header=BB6_16763 Depth=2
	s_or_b32 exec_lo, exec_lo, s40
	v_lshlrev_b32_e32 v0, 24, v0
	s_delay_alu instid0(VALU_DEP_1) | instskip(NEXT) | instid1(VALU_DEP_1)
	v_and_b32_e32 v0, 0x80000000, v0
	v_lshl_add_u32 v0, v1, 23, v0
	s_delay_alu instid0(VALU_DEP_1) | instskip(NEXT) | instid1(VALU_DEP_1)
	v_lshl_or_b32 v0, v2, 21, v0
                                        ; implicit-def: $vgpr2
	v_add_nc_u32_e32 v1, 0x38000000, v0
                                        ; implicit-def: $vgpr0
.LBB6_18517:                            ;   in Loop: Header=BB6_16763 Depth=2
	s_and_not1_saveexec_b32 s40, s10
; %bb.18518:                            ;   in Loop: Header=BB6_16763 Depth=2
	v_bfe_i32 v0, v0, 0, 8
	v_cmp_eq_u32_e32 vcc_lo, 0, v2
	s_delay_alu instid0(VALU_DEP_2) | instskip(NEXT) | instid1(VALU_DEP_1)
	v_cmp_lt_i16_e64 s10, -1, v0
	v_cndmask_b32_e64 v0, 0xff800000, v29, s10
	s_delay_alu instid0(VALU_DEP_1)
	v_cndmask_b32_e32 v1, 0x7f800001, v0, vcc_lo
; %bb.18519:                            ;   in Loop: Header=BB6_16763 Depth=2
	s_or_b32 exec_lo, exec_lo, s40
.LBB6_18520:                            ;   in Loop: Header=BB6_16763 Depth=2
	s_delay_alu instid0(SALU_CYCLE_1)
	s_or_b32 exec_lo, exec_lo, s29
.LBB6_18521:                            ;   in Loop: Header=BB6_16763 Depth=2
	s_delay_alu instid0(SALU_CYCLE_1) | instskip(NEXT) | instid1(VALU_DEP_1)
	s_or_b32 exec_lo, exec_lo, s28
	v_dual_mul_f32 v0, s27, v1 :: v_dual_mov_b32 v3, v55
                                        ; implicit-def: $vgpr91
	s_mov_b32 s10, exec_lo
	s_delay_alu instid0(VALU_DEP_1) | instskip(SKIP_2) | instid1(VALU_DEP_3)
	v_and_b32_e32 v2, 0x7f800000, v0
	v_and_b32_e32 v54, 0x7fffff, v0
	v_lshrrev_b32_e32 v1, 24, v0
	v_cmpx_ne_u64_e32 0x7f800000, v[2:3]
	s_xor_b32 s28, exec_lo, s10
	s_cbranch_execz .LBB6_18535
; %bb.18522:                            ;   in Loop: Header=BB6_16763 Depth=2
	v_and_b32_e32 v2, 0x7fffffff, v0
	v_mov_b32_e32 v3, v55
	v_and_b32_e32 v5, 0x80, v1
                                        ; implicit-def: $vgpr91
	s_mov_b32 s10, exec_lo
	s_delay_alu instid0(VALU_DEP_2)
	v_cmpx_gt_u64_e32 0x47600001, v[2:3]
	s_xor_b32 s29, exec_lo, s10
	s_cbranch_execz .LBB6_18532
; %bb.18523:                            ;   in Loop: Header=BB6_16763 Depth=2
	v_mov_b32_e32 v91, 0
	s_mov_b32 s40, exec_lo
	v_cmpx_ne_u32_e32 0, v0
	s_cbranch_execz .LBB6_18531
; %bb.18524:                            ;   in Loop: Header=BB6_16763 Depth=2
	v_bfe_u32 v6, v0, 23, 8
	v_or_b32_e32 v1, 0x800000, v54
	s_delay_alu instid0(VALU_DEP_2) | instskip(SKIP_2) | instid1(VALU_DEP_2)
	v_cmp_gt_u32_e64 s10, 0x72, v6
	v_sub_nc_u32_e32 v0, 0x71, v6
	v_cmp_eq_u32_e32 vcc_lo, 0, v6
	v_cndmask_b32_e64 v0, 0, v0, s10
	s_delay_alu instid0(VALU_DEP_1) | instskip(SKIP_1) | instid1(VALU_DEP_2)
	v_cndmask_b32_e64 v7, v0, 0x70, vcc_lo
	v_dual_cndmask_b32 v0, v1, v54 :: v_dual_mov_b32 v1, v55
	v_dual_add_nc_u32 v2, 21, v7 :: v_dual_add_nc_u32 v8, 20, v7
	s_delay_alu instid0(VALU_DEP_1) | instskip(NEXT) | instid1(VALU_DEP_2)
	v_lshlrev_b64_e64 v[2:3], v2, -1
	v_lshlrev_b64_e64 v[8:9], v8, 1
	s_delay_alu instid0(VALU_DEP_2) | instskip(SKIP_1) | instid1(VALU_DEP_4)
	v_bfi_b32 v2, v2, 0, v0
	v_lshrrev_b64 v[0:1], v7, v[0:1]
	v_bfi_b32 v3, v3, 0, 0
	s_delay_alu instid0(VALU_DEP_1) | instskip(NEXT) | instid1(VALU_DEP_3)
	v_cmp_eq_u64_e64 s10, v[2:3], v[8:9]
	v_mov_b64_e32 v[2:3], v[0:1]
	s_and_saveexec_b32 s41, s10
; %bb.18525:                            ;   in Loop: Header=BB6_16763 Depth=2
	v_bfe_u32 v2, v0, 21, 1
	v_mov_b32_e32 v3, v55
	s_delay_alu instid0(VALU_DEP_1) | instskip(NEXT) | instid1(VALU_DEP_1)
	v_add_nc_u64_e32 v[2:3], v[0:1], v[2:3]
	v_add_nc_u64_e32 v[2:3], -1, v[2:3]
; %bb.18526:                            ;   in Loop: Header=BB6_16763 Depth=2
	s_or_b32 exec_lo, exec_lo, s41
	v_add_nc_u32_e32 v1, 0xffffff81, v6
	v_lshrrev_b32_e32 v3, 23, v0
	s_mov_b32 s10, exec_lo
	s_delay_alu instid0(VALU_DEP_2) | instskip(NEXT) | instid1(VALU_DEP_1)
	v_cndmask_b32_e64 v1, v1, 0xffffff82, vcc_lo
	v_add3_u32 v6, v7, v1, v3
	v_and_b32_e32 v1, 0x1fffff, v2
                                        ; implicit-def: $vgpr2
	s_delay_alu instid0(VALU_DEP_1) | instskip(NEXT) | instid1(VALU_DEP_1)
	v_dual_add_nc_u32 v3, 14, v6 :: v_dual_add_nc_u32 v54, v1, v0
                                        ; implicit-def: $vgpr0_vgpr1
	v_cmpx_ne_u32_e32 0, v3
	s_xor_b32 s10, exec_lo, s10
; %bb.18527:                            ;   in Loop: Header=BB6_16763 Depth=2
	s_delay_alu instid0(VALU_DEP_2) | instskip(SKIP_1) | instid1(VALU_DEP_1)
	v_cmp_lt_u64_e32 vcc_lo, 0xffffff, v[54:55]
	v_add_nc_u32_e32 v0, 15, v6
	v_cndmask_b32_e32 v2, v3, v0, vcc_lo
	v_cndmask_b32_e64 v0, 0, 1, vcc_lo
	s_delay_alu instid0(VALU_DEP_1)
	v_lshrrev_b64 v[0:1], v0, v[54:55]
; %bb.18528:                            ;   in Loop: Header=BB6_16763 Depth=2
	s_and_not1_saveexec_b32 s10, s10
; %bb.18529:                            ;   in Loop: Header=BB6_16763 Depth=2
	v_mov_b64_e32 v[0:1], v[54:55]
	v_bfe_u32 v2, v54, 23, 1
; %bb.18530:                            ;   in Loop: Header=BB6_16763 Depth=2
	s_or_b32 exec_lo, exec_lo, s10
	s_delay_alu instid0(VALU_DEP_2) | instskip(NEXT) | instid1(VALU_DEP_2)
	v_lshrrev_b64 v[0:1], 21, v[0:1]
	v_cmp_gt_i32_e32 vcc_lo, 32, v2
	v_min_i32_e32 v3, 31, v2
	v_cmp_eq_u32_e64 s10, 0, v2
	s_delay_alu instid0(VALU_DEP_2) | instskip(SKIP_1) | instid1(VALU_DEP_2)
	v_dual_cndmask_b32 v1, 0, v1, vcc_lo :: v_dual_lshlrev_b32 v3, 2, v3
	v_cndmask_b32_e32 v0, 3, v0, vcc_lo
	v_and_b32_e32 v3, 0xfc, v3
	s_delay_alu instid0(VALU_DEP_2) | instskip(NEXT) | instid1(VALU_DEP_2)
	v_cmp_eq_u64_e32 vcc_lo, 0, v[0:1]
	v_and_or_b32 v0, v0, 3, v3
	s_and_b32 s10, s10, vcc_lo
	s_delay_alu instid0(VALU_DEP_1) | instid1(SALU_CYCLE_1)
	v_cndmask_b32_e64 v0, v0, 0, s10
	s_delay_alu instid0(VALU_DEP_1)
	v_or_b32_e32 v91, v0, v5
.LBB6_18531:                            ;   in Loop: Header=BB6_16763 Depth=2
	s_or_b32 exec_lo, exec_lo, s40
                                        ; implicit-def: $vgpr5
.LBB6_18532:                            ;   in Loop: Header=BB6_16763 Depth=2
	s_and_not1_saveexec_b32 s10, s29
; %bb.18533:                            ;   in Loop: Header=BB6_16763 Depth=2
	v_or_b32_e32 v91, 0x7b, v5
; %bb.18534:                            ;   in Loop: Header=BB6_16763 Depth=2
	s_or_b32 exec_lo, exec_lo, s10
                                        ; implicit-def: $vgpr0
                                        ; implicit-def: $vgpr1
.LBB6_18535:                            ;   in Loop: Header=BB6_16763 Depth=2
	s_and_not1_saveexec_b32 s10, s28
	s_cbranch_execz .LBB6_18541
; %bb.18536:                            ;   in Loop: Header=BB6_16763 Depth=2
	s_mov_b32 s28, exec_lo
                                        ; implicit-def: $vgpr91
	v_cmpx_ne_u64_e32 0, v[54:55]
	s_xor_b32 s28, exec_lo, s28
; %bb.18537:                            ;   in Loop: Header=BB6_16763 Depth=2
	v_or_b32_e32 v91, 0x7f, v1
                                        ; implicit-def: $vgpr0
; %bb.18538:                            ;   in Loop: Header=BB6_16763 Depth=2
	s_and_not1_saveexec_b32 s28, s28
; %bb.18539:                            ;   in Loop: Header=BB6_16763 Depth=2
	v_cmp_lt_i32_e32 vcc_lo, -1, v0
	v_cndmask_b32_e32 v91, 0xfc, v30, vcc_lo
; %bb.18540:                            ;   in Loop: Header=BB6_16763 Depth=2
	s_or_b32 exec_lo, exec_lo, s28
.LBB6_18541:                            ;   in Loop: Header=BB6_16763 Depth=2
	s_delay_alu instid0(SALU_CYCLE_1)
	s_or_b32 exec_lo, exec_lo, s10
	v_mov_b32_e32 v1, 0
	s_mov_b32 s28, exec_lo
	v_cmpx_lt_u32_e32 0xffffff, v12
	s_cbranch_execz .LBB6_18551
; %bb.18542:                            ;   in Loop: Header=BB6_16763 Depth=2
	v_lshrrev_b32_e32 v0, 24, v12
	v_bfrev_b32_e32 v1, 1
	s_mov_b32 s29, exec_lo
	s_delay_alu instid0(VALU_DEP_2)
	v_cmpx_ne_u32_e32 0x80, v0
	s_cbranch_execz .LBB6_18550
; %bb.18543:                            ;   in Loop: Header=BB6_16763 Depth=2
	v_and_b32_e32 v1, 0x7c000000, v12
	v_bfe_u32 v2, v12, 24, 2
	s_delay_alu instid0(VALU_DEP_2) | instskip(SKIP_1) | instid1(SALU_CYCLE_1)
	v_cmp_ne_u32_e32 vcc_lo, 0x7c000000, v1
                                        ; implicit-def: $vgpr1
	s_and_saveexec_b32 s10, vcc_lo
	s_xor_b32 s10, exec_lo, s10
	s_cbranch_execz .LBB6_18547
; %bb.18544:                            ;   in Loop: Header=BB6_16763 Depth=2
	v_bfe_u32 v1, v12, 26, 5
	s_mov_b32 s40, exec_lo
	s_delay_alu instid0(VALU_DEP_1)
	v_cmpx_eq_u32_e32 0, v1
; %bb.18545:                            ;   in Loop: Header=BB6_16763 Depth=2
	v_clz_i32_u32_e32 v1, v2
	s_delay_alu instid0(VALU_DEP_1) | instskip(NEXT) | instid1(VALU_DEP_1)
	v_min_u32_e32 v2, 32, v1
	v_subrev_nc_u32_e32 v1, 29, v2
	s_delay_alu instid0(VALU_DEP_1) | instskip(NEXT) | instid1(VALU_DEP_1)
	v_lshlrev_b64_e32 v[0:1], v1, v[0:1]
	v_dual_sub_nc_u32 v1, 30, v2 :: v_dual_bitop2_b32 v2, 3, v0 bitop3:0x40
; %bb.18546:                            ;   in Loop: Header=BB6_16763 Depth=2
	s_or_b32 exec_lo, exec_lo, s40
	v_and_b32_e32 v0, 0x80000000, v12
	s_delay_alu instid0(VALU_DEP_1) | instskip(NEXT) | instid1(VALU_DEP_1)
	v_lshl_add_u32 v0, v1, 23, v0
	v_lshl_or_b32 v0, v2, 21, v0
                                        ; implicit-def: $vgpr2
	s_delay_alu instid0(VALU_DEP_1)
	v_add_nc_u32_e32 v1, 0x38000000, v0
.LBB6_18547:                            ;   in Loop: Header=BB6_16763 Depth=2
	s_and_not1_saveexec_b32 s40, s10
; %bb.18548:                            ;   in Loop: Header=BB6_16763 Depth=2
	v_cmp_lt_i32_e64 s10, -1, v12
	v_cmp_eq_u32_e32 vcc_lo, 0, v2
	s_delay_alu instid0(VALU_DEP_2) | instskip(NEXT) | instid1(VALU_DEP_1)
	v_cndmask_b32_e64 v0, 0xff800000, v29, s10
	v_cndmask_b32_e32 v1, 0x7f800001, v0, vcc_lo
; %bb.18549:                            ;   in Loop: Header=BB6_16763 Depth=2
	s_or_b32 exec_lo, exec_lo, s40
.LBB6_18550:                            ;   in Loop: Header=BB6_16763 Depth=2
	s_delay_alu instid0(SALU_CYCLE_1)
	s_or_b32 exec_lo, exec_lo, s29
.LBB6_18551:                            ;   in Loop: Header=BB6_16763 Depth=2
	s_delay_alu instid0(SALU_CYCLE_1) | instskip(NEXT) | instid1(VALU_DEP_1)
	s_or_b32 exec_lo, exec_lo, s28
	v_dual_mul_f32 v0, s27, v1 :: v_dual_mov_b32 v3, v55
                                        ; implicit-def: $vgpr92
	s_mov_b32 s10, exec_lo
	s_delay_alu instid0(VALU_DEP_1) | instskip(SKIP_2) | instid1(VALU_DEP_3)
	v_and_b32_e32 v2, 0x7f800000, v0
	v_and_b32_e32 v54, 0x7fffff, v0
	v_lshrrev_b32_e32 v1, 24, v0
	v_cmpx_ne_u64_e32 0x7f800000, v[2:3]
	s_xor_b32 s28, exec_lo, s10
	s_cbranch_execz .LBB6_18565
; %bb.18552:                            ;   in Loop: Header=BB6_16763 Depth=2
	v_and_b32_e32 v2, 0x7fffffff, v0
	v_mov_b32_e32 v3, v55
	v_and_b32_e32 v5, 0x80, v1
                                        ; implicit-def: $vgpr92
	s_mov_b32 s10, exec_lo
	s_delay_alu instid0(VALU_DEP_2)
	v_cmpx_gt_u64_e32 0x47600001, v[2:3]
	s_xor_b32 s29, exec_lo, s10
	s_cbranch_execz .LBB6_18562
; %bb.18553:                            ;   in Loop: Header=BB6_16763 Depth=2
	v_mov_b32_e32 v92, 0
	s_mov_b32 s40, exec_lo
	v_cmpx_ne_u32_e32 0, v0
	s_cbranch_execz .LBB6_18561
; %bb.18554:                            ;   in Loop: Header=BB6_16763 Depth=2
	v_bfe_u32 v6, v0, 23, 8
	v_or_b32_e32 v1, 0x800000, v54
	s_delay_alu instid0(VALU_DEP_2) | instskip(SKIP_2) | instid1(VALU_DEP_2)
	v_cmp_gt_u32_e64 s10, 0x72, v6
	v_sub_nc_u32_e32 v0, 0x71, v6
	v_cmp_eq_u32_e32 vcc_lo, 0, v6
	v_cndmask_b32_e64 v0, 0, v0, s10
	s_delay_alu instid0(VALU_DEP_1) | instskip(SKIP_1) | instid1(VALU_DEP_2)
	v_cndmask_b32_e64 v7, v0, 0x70, vcc_lo
	v_dual_cndmask_b32 v0, v1, v54 :: v_dual_mov_b32 v1, v55
	v_dual_add_nc_u32 v2, 21, v7 :: v_dual_add_nc_u32 v8, 20, v7
	s_delay_alu instid0(VALU_DEP_1) | instskip(NEXT) | instid1(VALU_DEP_2)
	v_lshlrev_b64_e64 v[2:3], v2, -1
	v_lshlrev_b64_e64 v[8:9], v8, 1
	s_delay_alu instid0(VALU_DEP_2) | instskip(SKIP_1) | instid1(VALU_DEP_4)
	v_bfi_b32 v2, v2, 0, v0
	v_lshrrev_b64 v[0:1], v7, v[0:1]
	v_bfi_b32 v3, v3, 0, 0
	s_delay_alu instid0(VALU_DEP_1) | instskip(NEXT) | instid1(VALU_DEP_3)
	v_cmp_eq_u64_e64 s10, v[2:3], v[8:9]
	v_mov_b64_e32 v[2:3], v[0:1]
	s_and_saveexec_b32 s41, s10
; %bb.18555:                            ;   in Loop: Header=BB6_16763 Depth=2
	v_bfe_u32 v2, v0, 21, 1
	v_mov_b32_e32 v3, v55
	s_delay_alu instid0(VALU_DEP_1) | instskip(NEXT) | instid1(VALU_DEP_1)
	v_add_nc_u64_e32 v[2:3], v[0:1], v[2:3]
	v_add_nc_u64_e32 v[2:3], -1, v[2:3]
; %bb.18556:                            ;   in Loop: Header=BB6_16763 Depth=2
	s_or_b32 exec_lo, exec_lo, s41
	v_add_nc_u32_e32 v1, 0xffffff81, v6
	v_lshrrev_b32_e32 v3, 23, v0
	s_mov_b32 s10, exec_lo
	s_delay_alu instid0(VALU_DEP_2) | instskip(NEXT) | instid1(VALU_DEP_1)
	v_cndmask_b32_e64 v1, v1, 0xffffff82, vcc_lo
	v_add3_u32 v6, v7, v1, v3
	v_and_b32_e32 v1, 0x1fffff, v2
                                        ; implicit-def: $vgpr2
	s_delay_alu instid0(VALU_DEP_1) | instskip(NEXT) | instid1(VALU_DEP_1)
	v_dual_add_nc_u32 v3, 14, v6 :: v_dual_add_nc_u32 v54, v1, v0
                                        ; implicit-def: $vgpr0_vgpr1
	v_cmpx_ne_u32_e32 0, v3
	s_xor_b32 s10, exec_lo, s10
; %bb.18557:                            ;   in Loop: Header=BB6_16763 Depth=2
	s_delay_alu instid0(VALU_DEP_2) | instskip(SKIP_1) | instid1(VALU_DEP_1)
	v_cmp_lt_u64_e32 vcc_lo, 0xffffff, v[54:55]
	v_add_nc_u32_e32 v0, 15, v6
	v_cndmask_b32_e32 v2, v3, v0, vcc_lo
	v_cndmask_b32_e64 v0, 0, 1, vcc_lo
	s_delay_alu instid0(VALU_DEP_1)
	v_lshrrev_b64 v[0:1], v0, v[54:55]
; %bb.18558:                            ;   in Loop: Header=BB6_16763 Depth=2
	s_and_not1_saveexec_b32 s10, s10
; %bb.18559:                            ;   in Loop: Header=BB6_16763 Depth=2
	v_mov_b64_e32 v[0:1], v[54:55]
	v_bfe_u32 v2, v54, 23, 1
; %bb.18560:                            ;   in Loop: Header=BB6_16763 Depth=2
	s_or_b32 exec_lo, exec_lo, s10
	s_delay_alu instid0(VALU_DEP_2) | instskip(NEXT) | instid1(VALU_DEP_2)
	v_lshrrev_b64 v[0:1], 21, v[0:1]
	v_cmp_gt_i32_e32 vcc_lo, 32, v2
	v_min_i32_e32 v3, 31, v2
	v_cmp_eq_u32_e64 s10, 0, v2
	s_delay_alu instid0(VALU_DEP_2) | instskip(SKIP_1) | instid1(VALU_DEP_2)
	v_dual_cndmask_b32 v1, 0, v1, vcc_lo :: v_dual_lshlrev_b32 v3, 2, v3
	v_cndmask_b32_e32 v0, 3, v0, vcc_lo
	v_and_b32_e32 v3, 0xfc, v3
	s_delay_alu instid0(VALU_DEP_2) | instskip(NEXT) | instid1(VALU_DEP_2)
	v_cmp_eq_u64_e32 vcc_lo, 0, v[0:1]
	v_and_or_b32 v0, v0, 3, v3
	s_and_b32 s10, s10, vcc_lo
	s_delay_alu instid0(VALU_DEP_1) | instid1(SALU_CYCLE_1)
	v_cndmask_b32_e64 v0, v0, 0, s10
	s_delay_alu instid0(VALU_DEP_1)
	v_or_b32_e32 v92, v0, v5
.LBB6_18561:                            ;   in Loop: Header=BB6_16763 Depth=2
	s_or_b32 exec_lo, exec_lo, s40
                                        ; implicit-def: $vgpr5
.LBB6_18562:                            ;   in Loop: Header=BB6_16763 Depth=2
	s_and_not1_saveexec_b32 s10, s29
; %bb.18563:                            ;   in Loop: Header=BB6_16763 Depth=2
	v_or_b32_e32 v92, 0x7b, v5
; %bb.18564:                            ;   in Loop: Header=BB6_16763 Depth=2
	s_or_b32 exec_lo, exec_lo, s10
                                        ; implicit-def: $vgpr0
                                        ; implicit-def: $vgpr1
.LBB6_18565:                            ;   in Loop: Header=BB6_16763 Depth=2
	s_and_not1_saveexec_b32 s10, s28
	s_cbranch_execz .LBB6_18571
; %bb.18566:                            ;   in Loop: Header=BB6_16763 Depth=2
	s_mov_b32 s28, exec_lo
                                        ; implicit-def: $vgpr92
	v_cmpx_ne_u64_e32 0, v[54:55]
	s_xor_b32 s28, exec_lo, s28
; %bb.18567:                            ;   in Loop: Header=BB6_16763 Depth=2
	v_or_b32_e32 v92, 0x7f, v1
                                        ; implicit-def: $vgpr0
; %bb.18568:                            ;   in Loop: Header=BB6_16763 Depth=2
	s_and_not1_saveexec_b32 s28, s28
; %bb.18569:                            ;   in Loop: Header=BB6_16763 Depth=2
	v_cmp_lt_i32_e32 vcc_lo, -1, v0
	v_cndmask_b32_e32 v92, 0xfc, v30, vcc_lo
; %bb.18570:                            ;   in Loop: Header=BB6_16763 Depth=2
	s_or_b32 exec_lo, exec_lo, s28
.LBB6_18571:                            ;   in Loop: Header=BB6_16763 Depth=2
	s_delay_alu instid0(SALU_CYCLE_1) | instskip(SKIP_3) | instid1(VALU_DEP_2)
	s_or_b32 exec_lo, exec_lo, s10
	v_and_b32_e32 v1, 0xff, v13
	v_dual_mov_b32 v54, v13 :: v_dual_mov_b32 v0, 0
	s_mov_b32 s28, exec_lo
	v_cmpx_ne_u16_e32 0, v1
	s_cbranch_execz .LBB6_18581
; %bb.18572:                            ;   in Loop: Header=BB6_16763 Depth=2
	v_bfrev_b32_e32 v0, 1
	s_mov_b32 s29, exec_lo
	v_cmpx_ne_u16_e32 0x80, v1
	s_cbranch_execz .LBB6_18580
; %bb.18573:                            ;   in Loop: Header=BB6_16763 Depth=2
	v_and_b32_e32 v0, 0x7c, v13
	v_and_b32_e32 v1, 3, v13
	s_delay_alu instid0(VALU_DEP_2) | instskip(SKIP_1) | instid1(SALU_CYCLE_1)
	v_cmp_ne_u32_e32 vcc_lo, 0x7c, v0
                                        ; implicit-def: $vgpr0
	s_and_saveexec_b32 s10, vcc_lo
	s_xor_b32 s10, exec_lo, s10
	s_cbranch_execz .LBB6_18577
; %bb.18574:                            ;   in Loop: Header=BB6_16763 Depth=2
	v_bfe_u32 v0, v13, 2, 5
	s_mov_b32 s40, exec_lo
	s_delay_alu instid0(VALU_DEP_1)
	v_cmpx_eq_u32_e32 0, v0
; %bb.18575:                            ;   in Loop: Header=BB6_16763 Depth=2
	v_clz_i32_u32_e32 v0, v1
	s_delay_alu instid0(VALU_DEP_1) | instskip(NEXT) | instid1(VALU_DEP_1)
	v_min_u32_e32 v0, 32, v0
	v_subrev_nc_u32_e32 v1, 29, v0
	s_delay_alu instid0(VALU_DEP_1) | instskip(NEXT) | instid1(VALU_DEP_1)
	v_lshlrev_b64_e32 v[2:3], v1, v[54:55]
	v_dual_sub_nc_u32 v0, 30, v0 :: v_dual_bitop2_b32 v1, 3, v2 bitop3:0x40
; %bb.18576:                            ;   in Loop: Header=BB6_16763 Depth=2
	s_or_b32 exec_lo, exec_lo, s40
	v_lshlrev_b32_e32 v2, 24, v13
	s_delay_alu instid0(VALU_DEP_1) | instskip(NEXT) | instid1(VALU_DEP_1)
	v_and_b32_e32 v2, 0x80000000, v2
	v_lshl_add_u32 v0, v0, 23, v2
	s_delay_alu instid0(VALU_DEP_1) | instskip(NEXT) | instid1(VALU_DEP_1)
	v_lshl_or_b32 v0, v1, 21, v0
                                        ; implicit-def: $vgpr1
	v_add_nc_u32_e32 v0, 0x38000000, v0
.LBB6_18577:                            ;   in Loop: Header=BB6_16763 Depth=2
	s_and_not1_saveexec_b32 s40, s10
; %bb.18578:                            ;   in Loop: Header=BB6_16763 Depth=2
	v_bfe_i32 v0, v13, 0, 8
	v_cmp_eq_u32_e32 vcc_lo, 0, v1
	s_delay_alu instid0(VALU_DEP_2) | instskip(NEXT) | instid1(VALU_DEP_1)
	v_cmp_lt_i16_e64 s10, -1, v0
	v_cndmask_b32_e64 v0, 0xff800000, v29, s10
	s_delay_alu instid0(VALU_DEP_1)
	v_cndmask_b32_e32 v0, 0x7f800001, v0, vcc_lo
; %bb.18579:                            ;   in Loop: Header=BB6_16763 Depth=2
	s_or_b32 exec_lo, exec_lo, s40
.LBB6_18580:                            ;   in Loop: Header=BB6_16763 Depth=2
	s_delay_alu instid0(SALU_CYCLE_1)
	s_or_b32 exec_lo, exec_lo, s29
.LBB6_18581:                            ;   in Loop: Header=BB6_16763 Depth=2
	s_delay_alu instid0(SALU_CYCLE_1) | instskip(NEXT) | instid1(VALU_DEP_1)
	s_or_b32 exec_lo, exec_lo, s28
	v_dual_mul_f32 v2, s27, v0 :: v_dual_mov_b32 v7, v55
	v_mov_b32_e32 v1, v55
                                        ; implicit-def: $vgpr93
	s_mov_b32 s10, exec_lo
	s_delay_alu instid0(VALU_DEP_2) | instskip(SKIP_2) | instid1(VALU_DEP_3)
	v_and_b32_e32 v6, 0x7f800000, v2
	v_and_b32_e32 v0, 0x7fffff, v2
	v_lshrrev_b32_e32 v3, 24, v2
	v_cmpx_ne_u64_e32 0x7f800000, v[6:7]
	s_xor_b32 s28, exec_lo, s10
	s_cbranch_execz .LBB6_18595
; %bb.18582:                            ;   in Loop: Header=BB6_16763 Depth=2
	v_and_b32_e32 v6, 0x7fffffff, v2
	v_mov_b32_e32 v7, v55
	v_and_b32_e32 v5, 0x80, v3
                                        ; implicit-def: $vgpr93
	s_mov_b32 s10, exec_lo
	s_delay_alu instid0(VALU_DEP_2)
	v_cmpx_gt_u64_e32 0x47600001, v[6:7]
	s_xor_b32 s29, exec_lo, s10
	s_cbranch_execz .LBB6_18592
; %bb.18583:                            ;   in Loop: Header=BB6_16763 Depth=2
	v_mov_b32_e32 v93, 0
	s_mov_b32 s40, exec_lo
	v_cmpx_ne_u32_e32 0, v2
	s_cbranch_execz .LBB6_18591
; %bb.18584:                            ;   in Loop: Header=BB6_16763 Depth=2
	v_bfe_u32 v6, v2, 23, 8
	v_or_b32_e32 v3, 0x800000, v0
	s_delay_alu instid0(VALU_DEP_2) | instskip(SKIP_2) | instid1(VALU_DEP_2)
	v_cmp_gt_u32_e64 s10, 0x72, v6
	v_sub_nc_u32_e32 v2, 0x71, v6
	v_cmp_eq_u32_e32 vcc_lo, 0, v6
	v_dual_cndmask_b32 v2, 0, v2, s10 :: v_dual_cndmask_b32 v0, v3, v0, vcc_lo
	s_delay_alu instid0(VALU_DEP_1) | instskip(NEXT) | instid1(VALU_DEP_1)
	v_cndmask_b32_e64 v7, v2, 0x70, vcc_lo
	v_dual_add_nc_u32 v2, 21, v7 :: v_dual_add_nc_u32 v8, 20, v7
	s_delay_alu instid0(VALU_DEP_1) | instskip(NEXT) | instid1(VALU_DEP_2)
	v_lshlrev_b64_e64 v[2:3], v2, -1
	v_lshlrev_b64_e64 v[8:9], v8, 1
	s_delay_alu instid0(VALU_DEP_2) | instskip(SKIP_1) | instid1(VALU_DEP_4)
	v_bfi_b32 v2, v2, 0, v0
	v_lshrrev_b64 v[0:1], v7, v[0:1]
	v_bfi_b32 v3, v3, 0, 0
	s_delay_alu instid0(VALU_DEP_1) | instskip(NEXT) | instid1(VALU_DEP_3)
	v_cmp_eq_u64_e64 s10, v[2:3], v[8:9]
	v_mov_b64_e32 v[2:3], v[0:1]
	s_and_saveexec_b32 s41, s10
; %bb.18585:                            ;   in Loop: Header=BB6_16763 Depth=2
	v_bfe_u32 v2, v0, 21, 1
	v_mov_b32_e32 v3, v55
	s_delay_alu instid0(VALU_DEP_1) | instskip(NEXT) | instid1(VALU_DEP_1)
	v_add_nc_u64_e32 v[2:3], v[0:1], v[2:3]
	v_add_nc_u64_e32 v[2:3], -1, v[2:3]
; %bb.18586:                            ;   in Loop: Header=BB6_16763 Depth=2
	s_or_b32 exec_lo, exec_lo, s41
	v_add_nc_u32_e32 v1, 0xffffff81, v6
	v_lshrrev_b32_e32 v3, 23, v0
	s_mov_b32 s10, exec_lo
	s_delay_alu instid0(VALU_DEP_2) | instskip(NEXT) | instid1(VALU_DEP_1)
	v_cndmask_b32_e64 v1, v1, 0xffffff82, vcc_lo
	v_add3_u32 v6, v7, v1, v3
	v_and_b32_e32 v1, 0x1fffff, v2
                                        ; implicit-def: $vgpr2
	s_delay_alu instid0(VALU_DEP_1) | instskip(SKIP_1) | instid1(VALU_DEP_2)
	v_dual_add_nc_u32 v3, 14, v6 :: v_dual_add_nc_u32 v0, v1, v0
	v_mov_b32_e32 v1, v55
	v_cmpx_ne_u32_e32 0, v3
	s_xor_b32 s10, exec_lo, s10
; %bb.18587:                            ;   in Loop: Header=BB6_16763 Depth=2
	s_delay_alu instid0(VALU_DEP_2) | instskip(SKIP_1) | instid1(VALU_DEP_1)
	v_cmp_lt_u64_e32 vcc_lo, 0xffffff, v[0:1]
	v_add_nc_u32_e32 v2, 15, v6
	v_cndmask_b32_e32 v2, v3, v2, vcc_lo
	v_cndmask_b32_e64 v3, 0, 1, vcc_lo
	s_delay_alu instid0(VALU_DEP_1)
	v_lshrrev_b64 v[0:1], v3, v[0:1]
; %bb.18588:                            ;   in Loop: Header=BB6_16763 Depth=2
	s_and_not1_saveexec_b32 s10, s10
; %bb.18589:                            ;   in Loop: Header=BB6_16763 Depth=2
	s_delay_alu instid0(VALU_DEP_1)
	v_bfe_u32 v2, v0, 23, 1
; %bb.18590:                            ;   in Loop: Header=BB6_16763 Depth=2
	s_or_b32 exec_lo, exec_lo, s10
	s_delay_alu instid0(VALU_DEP_2) | instskip(NEXT) | instid1(VALU_DEP_2)
	v_lshrrev_b64 v[0:1], 21, v[0:1]
	v_cmp_gt_i32_e32 vcc_lo, 32, v2
	v_min_i32_e32 v3, 31, v2
	v_cmp_eq_u32_e64 s10, 0, v2
	s_delay_alu instid0(VALU_DEP_2) | instskip(SKIP_1) | instid1(VALU_DEP_2)
	v_dual_cndmask_b32 v1, 0, v1, vcc_lo :: v_dual_lshlrev_b32 v3, 2, v3
	v_cndmask_b32_e32 v0, 3, v0, vcc_lo
	v_and_b32_e32 v3, 0xfc, v3
	s_delay_alu instid0(VALU_DEP_2) | instskip(NEXT) | instid1(VALU_DEP_2)
	v_cmp_eq_u64_e32 vcc_lo, 0, v[0:1]
	v_and_or_b32 v0, v0, 3, v3
	s_and_b32 s10, s10, vcc_lo
	s_delay_alu instid0(VALU_DEP_1) | instid1(SALU_CYCLE_1)
	v_cndmask_b32_e64 v0, v0, 0, s10
	s_delay_alu instid0(VALU_DEP_1)
	v_or_b32_e32 v93, v0, v5
.LBB6_18591:                            ;   in Loop: Header=BB6_16763 Depth=2
	s_or_b32 exec_lo, exec_lo, s40
                                        ; implicit-def: $vgpr5
.LBB6_18592:                            ;   in Loop: Header=BB6_16763 Depth=2
	s_and_not1_saveexec_b32 s10, s29
; %bb.18593:                            ;   in Loop: Header=BB6_16763 Depth=2
	v_or_b32_e32 v93, 0x7b, v5
; %bb.18594:                            ;   in Loop: Header=BB6_16763 Depth=2
	s_or_b32 exec_lo, exec_lo, s10
                                        ; implicit-def: $vgpr2
                                        ; implicit-def: $vgpr0_vgpr1
                                        ; implicit-def: $vgpr3
.LBB6_18595:                            ;   in Loop: Header=BB6_16763 Depth=2
	s_and_not1_saveexec_b32 s10, s28
	s_cbranch_execz .LBB6_18601
; %bb.18596:                            ;   in Loop: Header=BB6_16763 Depth=2
	s_mov_b32 s28, exec_lo
                                        ; implicit-def: $vgpr93
	v_cmpx_ne_u64_e32 0, v[0:1]
	s_xor_b32 s28, exec_lo, s28
; %bb.18597:                            ;   in Loop: Header=BB6_16763 Depth=2
	v_or_b32_e32 v93, 0x7f, v3
                                        ; implicit-def: $vgpr2
; %bb.18598:                            ;   in Loop: Header=BB6_16763 Depth=2
	s_and_not1_saveexec_b32 s28, s28
; %bb.18599:                            ;   in Loop: Header=BB6_16763 Depth=2
	v_cmp_lt_i32_e32 vcc_lo, -1, v2
	v_cndmask_b32_e32 v93, 0xfc, v30, vcc_lo
; %bb.18600:                            ;   in Loop: Header=BB6_16763 Depth=2
	s_or_b32 exec_lo, exec_lo, s28
.LBB6_18601:                            ;   in Loop: Header=BB6_16763 Depth=2
	s_delay_alu instid0(SALU_CYCLE_1) | instskip(SKIP_3) | instid1(VALU_DEP_2)
	s_or_b32 exec_lo, exec_lo, s10
	v_lshrrev_b16 v0, 8, v54
	v_mov_b32_e32 v1, 0
	s_mov_b32 s28, exec_lo
	v_cmpx_ne_u16_e32 0, v0
	s_cbranch_execz .LBB6_18611
; %bb.18602:                            ;   in Loop: Header=BB6_16763 Depth=2
	v_bfrev_b32_e32 v1, 1
	s_mov_b32 s29, exec_lo
	v_cmpx_ne_u16_e32 0x80, v0
	s_cbranch_execz .LBB6_18610
; %bb.18603:                            ;   in Loop: Header=BB6_16763 Depth=2
	v_and_b32_e32 v3, 0xffff, v0
	s_delay_alu instid0(VALU_DEP_1) | instskip(SKIP_1) | instid1(VALU_DEP_2)
	v_and_b32_e32 v1, 0x7c, v3
	v_and_b32_e32 v2, 3, v3
	v_cmp_ne_u32_e32 vcc_lo, 0x7c, v1
                                        ; implicit-def: $vgpr1
	s_and_saveexec_b32 s10, vcc_lo
	s_delay_alu instid0(SALU_CYCLE_1)
	s_xor_b32 s10, exec_lo, s10
	s_cbranch_execz .LBB6_18607
; %bb.18604:                            ;   in Loop: Header=BB6_16763 Depth=2
	v_bfe_u32 v1, v3, 2, 5
	s_mov_b32 s40, exec_lo
	s_delay_alu instid0(VALU_DEP_1)
	v_cmpx_eq_u32_e32 0, v1
; %bb.18605:                            ;   in Loop: Header=BB6_16763 Depth=2
	v_clz_i32_u32_e32 v1, v2
	s_delay_alu instid0(VALU_DEP_1) | instskip(SKIP_1) | instid1(VALU_DEP_2)
	v_min_u32_e32 v2, 32, v1
	v_mov_b32_e32 v1, v55
	v_subrev_nc_u32_e32 v3, 29, v2
	s_delay_alu instid0(VALU_DEP_1) | instskip(NEXT) | instid1(VALU_DEP_1)
	v_lshlrev_b64_e32 v[0:1], v3, v[0:1]
	v_dual_sub_nc_u32 v1, 30, v2 :: v_dual_bitop2_b32 v2, 3, v0 bitop3:0x40
; %bb.18606:                            ;   in Loop: Header=BB6_16763 Depth=2
	s_or_b32 exec_lo, exec_lo, s40
	v_lshlrev_b32_e32 v0, 16, v54
	s_delay_alu instid0(VALU_DEP_1) | instskip(NEXT) | instid1(VALU_DEP_1)
	v_and_b32_e32 v0, 0x80000000, v0
	v_lshl_add_u32 v0, v1, 23, v0
	s_delay_alu instid0(VALU_DEP_1) | instskip(NEXT) | instid1(VALU_DEP_1)
	v_lshl_or_b32 v0, v2, 21, v0
                                        ; implicit-def: $vgpr2
	v_add_nc_u32_e32 v1, 0x38000000, v0
.LBB6_18607:                            ;   in Loop: Header=BB6_16763 Depth=2
	s_and_not1_saveexec_b32 s40, s10
; %bb.18608:                            ;   in Loop: Header=BB6_16763 Depth=2
	v_cmp_lt_i16_e64 s10, -1, v54
	v_cmp_eq_u32_e32 vcc_lo, 0, v2
	s_delay_alu instid0(VALU_DEP_2) | instskip(NEXT) | instid1(VALU_DEP_1)
	v_cndmask_b32_e64 v0, 0xff800000, v29, s10
	v_cndmask_b32_e32 v1, 0x7f800001, v0, vcc_lo
; %bb.18609:                            ;   in Loop: Header=BB6_16763 Depth=2
	s_or_b32 exec_lo, exec_lo, s40
.LBB6_18610:                            ;   in Loop: Header=BB6_16763 Depth=2
	s_delay_alu instid0(SALU_CYCLE_1)
	s_or_b32 exec_lo, exec_lo, s29
.LBB6_18611:                            ;   in Loop: Header=BB6_16763 Depth=2
	s_delay_alu instid0(SALU_CYCLE_1) | instskip(NEXT) | instid1(VALU_DEP_1)
	s_or_b32 exec_lo, exec_lo, s28
	v_dual_mul_f32 v0, s27, v1 :: v_dual_mov_b32 v3, v55
                                        ; implicit-def: $vgpr94
	s_mov_b32 s10, exec_lo
	s_delay_alu instid0(VALU_DEP_1) | instskip(SKIP_2) | instid1(VALU_DEP_3)
	v_and_b32_e32 v2, 0x7f800000, v0
	v_and_b32_e32 v54, 0x7fffff, v0
	v_lshrrev_b32_e32 v1, 24, v0
	v_cmpx_ne_u64_e32 0x7f800000, v[2:3]
	s_xor_b32 s28, exec_lo, s10
	s_cbranch_execz .LBB6_18625
; %bb.18612:                            ;   in Loop: Header=BB6_16763 Depth=2
	v_and_b32_e32 v2, 0x7fffffff, v0
	v_mov_b32_e32 v3, v55
	v_and_b32_e32 v5, 0x80, v1
                                        ; implicit-def: $vgpr94
	s_mov_b32 s10, exec_lo
	s_delay_alu instid0(VALU_DEP_2)
	v_cmpx_gt_u64_e32 0x47600001, v[2:3]
	s_xor_b32 s29, exec_lo, s10
	s_cbranch_execz .LBB6_18622
; %bb.18613:                            ;   in Loop: Header=BB6_16763 Depth=2
	v_mov_b32_e32 v94, 0
	s_mov_b32 s40, exec_lo
	v_cmpx_ne_u32_e32 0, v0
	s_cbranch_execz .LBB6_18621
; %bb.18614:                            ;   in Loop: Header=BB6_16763 Depth=2
	v_bfe_u32 v6, v0, 23, 8
	v_or_b32_e32 v1, 0x800000, v54
	s_delay_alu instid0(VALU_DEP_2) | instskip(SKIP_2) | instid1(VALU_DEP_2)
	v_cmp_gt_u32_e64 s10, 0x72, v6
	v_sub_nc_u32_e32 v0, 0x71, v6
	v_cmp_eq_u32_e32 vcc_lo, 0, v6
	v_cndmask_b32_e64 v0, 0, v0, s10
	s_delay_alu instid0(VALU_DEP_1) | instskip(SKIP_1) | instid1(VALU_DEP_2)
	v_cndmask_b32_e64 v7, v0, 0x70, vcc_lo
	v_dual_cndmask_b32 v0, v1, v54 :: v_dual_mov_b32 v1, v55
	v_dual_add_nc_u32 v2, 21, v7 :: v_dual_add_nc_u32 v8, 20, v7
	s_delay_alu instid0(VALU_DEP_1) | instskip(NEXT) | instid1(VALU_DEP_2)
	v_lshlrev_b64_e64 v[2:3], v2, -1
	v_lshlrev_b64_e64 v[8:9], v8, 1
	s_delay_alu instid0(VALU_DEP_2) | instskip(SKIP_1) | instid1(VALU_DEP_4)
	v_bfi_b32 v2, v2, 0, v0
	v_lshrrev_b64 v[0:1], v7, v[0:1]
	v_bfi_b32 v3, v3, 0, 0
	s_delay_alu instid0(VALU_DEP_1) | instskip(NEXT) | instid1(VALU_DEP_3)
	v_cmp_eq_u64_e64 s10, v[2:3], v[8:9]
	v_mov_b64_e32 v[2:3], v[0:1]
	s_and_saveexec_b32 s41, s10
; %bb.18615:                            ;   in Loop: Header=BB6_16763 Depth=2
	v_bfe_u32 v2, v0, 21, 1
	v_mov_b32_e32 v3, v55
	s_delay_alu instid0(VALU_DEP_1) | instskip(NEXT) | instid1(VALU_DEP_1)
	v_add_nc_u64_e32 v[2:3], v[0:1], v[2:3]
	v_add_nc_u64_e32 v[2:3], -1, v[2:3]
; %bb.18616:                            ;   in Loop: Header=BB6_16763 Depth=2
	s_or_b32 exec_lo, exec_lo, s41
	v_add_nc_u32_e32 v1, 0xffffff81, v6
	v_lshrrev_b32_e32 v3, 23, v0
	s_mov_b32 s10, exec_lo
	s_delay_alu instid0(VALU_DEP_2) | instskip(NEXT) | instid1(VALU_DEP_1)
	v_cndmask_b32_e64 v1, v1, 0xffffff82, vcc_lo
	v_add3_u32 v6, v7, v1, v3
	v_and_b32_e32 v1, 0x1fffff, v2
                                        ; implicit-def: $vgpr2
	s_delay_alu instid0(VALU_DEP_1) | instskip(NEXT) | instid1(VALU_DEP_1)
	v_dual_add_nc_u32 v3, 14, v6 :: v_dual_add_nc_u32 v54, v1, v0
                                        ; implicit-def: $vgpr0_vgpr1
	v_cmpx_ne_u32_e32 0, v3
	s_xor_b32 s10, exec_lo, s10
; %bb.18617:                            ;   in Loop: Header=BB6_16763 Depth=2
	s_delay_alu instid0(VALU_DEP_2) | instskip(SKIP_1) | instid1(VALU_DEP_1)
	v_cmp_lt_u64_e32 vcc_lo, 0xffffff, v[54:55]
	v_add_nc_u32_e32 v0, 15, v6
	v_cndmask_b32_e32 v2, v3, v0, vcc_lo
	v_cndmask_b32_e64 v0, 0, 1, vcc_lo
	s_delay_alu instid0(VALU_DEP_1)
	v_lshrrev_b64 v[0:1], v0, v[54:55]
; %bb.18618:                            ;   in Loop: Header=BB6_16763 Depth=2
	s_and_not1_saveexec_b32 s10, s10
; %bb.18619:                            ;   in Loop: Header=BB6_16763 Depth=2
	v_mov_b64_e32 v[0:1], v[54:55]
	v_bfe_u32 v2, v54, 23, 1
; %bb.18620:                            ;   in Loop: Header=BB6_16763 Depth=2
	s_or_b32 exec_lo, exec_lo, s10
	s_delay_alu instid0(VALU_DEP_2) | instskip(NEXT) | instid1(VALU_DEP_2)
	v_lshrrev_b64 v[0:1], 21, v[0:1]
	v_cmp_gt_i32_e32 vcc_lo, 32, v2
	v_min_i32_e32 v3, 31, v2
	v_cmp_eq_u32_e64 s10, 0, v2
	s_delay_alu instid0(VALU_DEP_2) | instskip(SKIP_1) | instid1(VALU_DEP_2)
	v_dual_cndmask_b32 v1, 0, v1, vcc_lo :: v_dual_lshlrev_b32 v3, 2, v3
	v_cndmask_b32_e32 v0, 3, v0, vcc_lo
	v_and_b32_e32 v3, 0xfc, v3
	s_delay_alu instid0(VALU_DEP_2) | instskip(NEXT) | instid1(VALU_DEP_2)
	v_cmp_eq_u64_e32 vcc_lo, 0, v[0:1]
	v_and_or_b32 v0, v0, 3, v3
	s_and_b32 s10, s10, vcc_lo
	s_delay_alu instid0(VALU_DEP_1) | instid1(SALU_CYCLE_1)
	v_cndmask_b32_e64 v0, v0, 0, s10
	s_delay_alu instid0(VALU_DEP_1)
	v_or_b32_e32 v94, v0, v5
.LBB6_18621:                            ;   in Loop: Header=BB6_16763 Depth=2
	s_or_b32 exec_lo, exec_lo, s40
                                        ; implicit-def: $vgpr5
.LBB6_18622:                            ;   in Loop: Header=BB6_16763 Depth=2
	s_and_not1_saveexec_b32 s10, s29
; %bb.18623:                            ;   in Loop: Header=BB6_16763 Depth=2
	v_or_b32_e32 v94, 0x7b, v5
; %bb.18624:                            ;   in Loop: Header=BB6_16763 Depth=2
	s_or_b32 exec_lo, exec_lo, s10
                                        ; implicit-def: $vgpr0
                                        ; implicit-def: $vgpr1
.LBB6_18625:                            ;   in Loop: Header=BB6_16763 Depth=2
	s_and_not1_saveexec_b32 s10, s28
	s_cbranch_execz .LBB6_18631
; %bb.18626:                            ;   in Loop: Header=BB6_16763 Depth=2
	s_mov_b32 s28, exec_lo
                                        ; implicit-def: $vgpr94
	v_cmpx_ne_u64_e32 0, v[54:55]
	s_xor_b32 s28, exec_lo, s28
; %bb.18627:                            ;   in Loop: Header=BB6_16763 Depth=2
	v_or_b32_e32 v94, 0x7f, v1
                                        ; implicit-def: $vgpr0
; %bb.18628:                            ;   in Loop: Header=BB6_16763 Depth=2
	s_and_not1_saveexec_b32 s28, s28
; %bb.18629:                            ;   in Loop: Header=BB6_16763 Depth=2
	v_cmp_lt_i32_e32 vcc_lo, -1, v0
	v_cndmask_b32_e32 v94, 0xfc, v30, vcc_lo
; %bb.18630:                            ;   in Loop: Header=BB6_16763 Depth=2
	s_or_b32 exec_lo, exec_lo, s28
.LBB6_18631:                            ;   in Loop: Header=BB6_16763 Depth=2
	s_delay_alu instid0(SALU_CYCLE_1) | instskip(SKIP_2) | instid1(VALU_DEP_1)
	s_or_b32 exec_lo, exec_lo, s10
	v_dual_mov_b32 v1, 0 :: v_dual_lshrrev_b32 v0, 16, v13
	s_mov_b32 s28, exec_lo
	v_and_b32_e32 v2, 0xff, v0
	s_delay_alu instid0(VALU_DEP_1)
	v_cmpx_ne_u16_e32 0, v2
	s_cbranch_execz .LBB6_18641
; %bb.18632:                            ;   in Loop: Header=BB6_16763 Depth=2
	v_bfrev_b32_e32 v1, 1
	s_mov_b32 s29, exec_lo
	v_cmpx_ne_u16_e32 0x80, v2
	s_cbranch_execz .LBB6_18640
; %bb.18633:                            ;   in Loop: Header=BB6_16763 Depth=2
	v_and_b32_e32 v1, 0x7c0000, v13
	v_bfe_u32 v2, v13, 16, 2
	s_delay_alu instid0(VALU_DEP_2) | instskip(SKIP_1) | instid1(SALU_CYCLE_1)
	v_cmp_ne_u32_e32 vcc_lo, 0x7c0000, v1
                                        ; implicit-def: $vgpr1
	s_and_saveexec_b32 s10, vcc_lo
	s_xor_b32 s10, exec_lo, s10
	s_cbranch_execz .LBB6_18637
; %bb.18634:                            ;   in Loop: Header=BB6_16763 Depth=2
	v_bfe_u32 v1, v13, 18, 5
	s_mov_b32 s40, exec_lo
	s_delay_alu instid0(VALU_DEP_1)
	v_cmpx_eq_u32_e32 0, v1
; %bb.18635:                            ;   in Loop: Header=BB6_16763 Depth=2
	v_clz_i32_u32_e32 v1, v2
	s_delay_alu instid0(VALU_DEP_1) | instskip(NEXT) | instid1(VALU_DEP_1)
	v_min_u32_e32 v1, 32, v1
	v_subrev_nc_u32_e32 v2, 29, v1
	s_delay_alu instid0(VALU_DEP_1) | instskip(NEXT) | instid1(VALU_DEP_1)
	v_lshlrev_b64_e32 v[2:3], v2, v[0:1]
	v_dual_sub_nc_u32 v1, 30, v1 :: v_dual_bitop2_b32 v2, 3, v2 bitop3:0x40
; %bb.18636:                            ;   in Loop: Header=BB6_16763 Depth=2
	s_or_b32 exec_lo, exec_lo, s40
	v_lshlrev_b32_e32 v0, 24, v0
	s_delay_alu instid0(VALU_DEP_1) | instskip(NEXT) | instid1(VALU_DEP_1)
	v_and_b32_e32 v0, 0x80000000, v0
	v_lshl_add_u32 v0, v1, 23, v0
	s_delay_alu instid0(VALU_DEP_1) | instskip(NEXT) | instid1(VALU_DEP_1)
	v_lshl_or_b32 v0, v2, 21, v0
                                        ; implicit-def: $vgpr2
	v_add_nc_u32_e32 v1, 0x38000000, v0
                                        ; implicit-def: $vgpr0
.LBB6_18637:                            ;   in Loop: Header=BB6_16763 Depth=2
	s_and_not1_saveexec_b32 s40, s10
; %bb.18638:                            ;   in Loop: Header=BB6_16763 Depth=2
	v_bfe_i32 v0, v0, 0, 8
	v_cmp_eq_u32_e32 vcc_lo, 0, v2
	s_delay_alu instid0(VALU_DEP_2) | instskip(NEXT) | instid1(VALU_DEP_1)
	v_cmp_lt_i16_e64 s10, -1, v0
	v_cndmask_b32_e64 v0, 0xff800000, v29, s10
	s_delay_alu instid0(VALU_DEP_1)
	v_cndmask_b32_e32 v1, 0x7f800001, v0, vcc_lo
; %bb.18639:                            ;   in Loop: Header=BB6_16763 Depth=2
	s_or_b32 exec_lo, exec_lo, s40
.LBB6_18640:                            ;   in Loop: Header=BB6_16763 Depth=2
	s_delay_alu instid0(SALU_CYCLE_1)
	s_or_b32 exec_lo, exec_lo, s29
.LBB6_18641:                            ;   in Loop: Header=BB6_16763 Depth=2
	s_delay_alu instid0(SALU_CYCLE_1) | instskip(NEXT) | instid1(VALU_DEP_1)
	s_or_b32 exec_lo, exec_lo, s28
	v_dual_mul_f32 v0, s27, v1 :: v_dual_mov_b32 v3, v55
                                        ; implicit-def: $vgpr95
	s_mov_b32 s10, exec_lo
	s_delay_alu instid0(VALU_DEP_1) | instskip(SKIP_2) | instid1(VALU_DEP_3)
	v_and_b32_e32 v2, 0x7f800000, v0
	v_and_b32_e32 v54, 0x7fffff, v0
	v_lshrrev_b32_e32 v1, 24, v0
	v_cmpx_ne_u64_e32 0x7f800000, v[2:3]
	s_xor_b32 s28, exec_lo, s10
	s_cbranch_execz .LBB6_18655
; %bb.18642:                            ;   in Loop: Header=BB6_16763 Depth=2
	v_and_b32_e32 v2, 0x7fffffff, v0
	v_mov_b32_e32 v3, v55
	v_and_b32_e32 v5, 0x80, v1
                                        ; implicit-def: $vgpr95
	s_mov_b32 s10, exec_lo
	s_delay_alu instid0(VALU_DEP_2)
	v_cmpx_gt_u64_e32 0x47600001, v[2:3]
	s_xor_b32 s29, exec_lo, s10
	s_cbranch_execz .LBB6_18652
; %bb.18643:                            ;   in Loop: Header=BB6_16763 Depth=2
	v_mov_b32_e32 v95, 0
	s_mov_b32 s40, exec_lo
	v_cmpx_ne_u32_e32 0, v0
	s_cbranch_execz .LBB6_18651
; %bb.18644:                            ;   in Loop: Header=BB6_16763 Depth=2
	v_bfe_u32 v6, v0, 23, 8
	v_or_b32_e32 v1, 0x800000, v54
	s_delay_alu instid0(VALU_DEP_2) | instskip(SKIP_2) | instid1(VALU_DEP_2)
	v_cmp_gt_u32_e64 s10, 0x72, v6
	v_sub_nc_u32_e32 v0, 0x71, v6
	v_cmp_eq_u32_e32 vcc_lo, 0, v6
	v_cndmask_b32_e64 v0, 0, v0, s10
	s_delay_alu instid0(VALU_DEP_1) | instskip(SKIP_1) | instid1(VALU_DEP_2)
	v_cndmask_b32_e64 v7, v0, 0x70, vcc_lo
	v_dual_cndmask_b32 v0, v1, v54 :: v_dual_mov_b32 v1, v55
	v_dual_add_nc_u32 v2, 21, v7 :: v_dual_add_nc_u32 v8, 20, v7
	s_delay_alu instid0(VALU_DEP_1) | instskip(NEXT) | instid1(VALU_DEP_2)
	v_lshlrev_b64_e64 v[2:3], v2, -1
	v_lshlrev_b64_e64 v[8:9], v8, 1
	s_delay_alu instid0(VALU_DEP_2) | instskip(SKIP_1) | instid1(VALU_DEP_4)
	v_bfi_b32 v2, v2, 0, v0
	v_lshrrev_b64 v[0:1], v7, v[0:1]
	v_bfi_b32 v3, v3, 0, 0
	s_delay_alu instid0(VALU_DEP_1) | instskip(NEXT) | instid1(VALU_DEP_3)
	v_cmp_eq_u64_e64 s10, v[2:3], v[8:9]
	v_mov_b64_e32 v[2:3], v[0:1]
	s_and_saveexec_b32 s41, s10
; %bb.18645:                            ;   in Loop: Header=BB6_16763 Depth=2
	v_bfe_u32 v2, v0, 21, 1
	v_mov_b32_e32 v3, v55
	s_delay_alu instid0(VALU_DEP_1) | instskip(NEXT) | instid1(VALU_DEP_1)
	v_add_nc_u64_e32 v[2:3], v[0:1], v[2:3]
	v_add_nc_u64_e32 v[2:3], -1, v[2:3]
; %bb.18646:                            ;   in Loop: Header=BB6_16763 Depth=2
	s_or_b32 exec_lo, exec_lo, s41
	v_add_nc_u32_e32 v1, 0xffffff81, v6
	v_lshrrev_b32_e32 v3, 23, v0
	s_mov_b32 s10, exec_lo
	s_delay_alu instid0(VALU_DEP_2) | instskip(NEXT) | instid1(VALU_DEP_1)
	v_cndmask_b32_e64 v1, v1, 0xffffff82, vcc_lo
	v_add3_u32 v6, v7, v1, v3
	v_and_b32_e32 v1, 0x1fffff, v2
                                        ; implicit-def: $vgpr2
	s_delay_alu instid0(VALU_DEP_1) | instskip(NEXT) | instid1(VALU_DEP_1)
	v_dual_add_nc_u32 v3, 14, v6 :: v_dual_add_nc_u32 v54, v1, v0
                                        ; implicit-def: $vgpr0_vgpr1
	v_cmpx_ne_u32_e32 0, v3
	s_xor_b32 s10, exec_lo, s10
; %bb.18647:                            ;   in Loop: Header=BB6_16763 Depth=2
	s_delay_alu instid0(VALU_DEP_2) | instskip(SKIP_1) | instid1(VALU_DEP_1)
	v_cmp_lt_u64_e32 vcc_lo, 0xffffff, v[54:55]
	v_add_nc_u32_e32 v0, 15, v6
	v_cndmask_b32_e32 v2, v3, v0, vcc_lo
	v_cndmask_b32_e64 v0, 0, 1, vcc_lo
	s_delay_alu instid0(VALU_DEP_1)
	v_lshrrev_b64 v[0:1], v0, v[54:55]
; %bb.18648:                            ;   in Loop: Header=BB6_16763 Depth=2
	s_and_not1_saveexec_b32 s10, s10
; %bb.18649:                            ;   in Loop: Header=BB6_16763 Depth=2
	v_mov_b64_e32 v[0:1], v[54:55]
	v_bfe_u32 v2, v54, 23, 1
; %bb.18650:                            ;   in Loop: Header=BB6_16763 Depth=2
	s_or_b32 exec_lo, exec_lo, s10
	s_delay_alu instid0(VALU_DEP_2) | instskip(NEXT) | instid1(VALU_DEP_2)
	v_lshrrev_b64 v[0:1], 21, v[0:1]
	v_cmp_gt_i32_e32 vcc_lo, 32, v2
	v_min_i32_e32 v3, 31, v2
	v_cmp_eq_u32_e64 s10, 0, v2
	s_delay_alu instid0(VALU_DEP_2) | instskip(SKIP_1) | instid1(VALU_DEP_2)
	v_dual_cndmask_b32 v1, 0, v1, vcc_lo :: v_dual_lshlrev_b32 v3, 2, v3
	v_cndmask_b32_e32 v0, 3, v0, vcc_lo
	v_and_b32_e32 v3, 0xfc, v3
	s_delay_alu instid0(VALU_DEP_2) | instskip(NEXT) | instid1(VALU_DEP_2)
	v_cmp_eq_u64_e32 vcc_lo, 0, v[0:1]
	v_and_or_b32 v0, v0, 3, v3
	s_and_b32 s10, s10, vcc_lo
	s_delay_alu instid0(VALU_DEP_1) | instid1(SALU_CYCLE_1)
	v_cndmask_b32_e64 v0, v0, 0, s10
	s_delay_alu instid0(VALU_DEP_1)
	v_or_b32_e32 v95, v0, v5
.LBB6_18651:                            ;   in Loop: Header=BB6_16763 Depth=2
	s_or_b32 exec_lo, exec_lo, s40
                                        ; implicit-def: $vgpr5
.LBB6_18652:                            ;   in Loop: Header=BB6_16763 Depth=2
	s_and_not1_saveexec_b32 s10, s29
; %bb.18653:                            ;   in Loop: Header=BB6_16763 Depth=2
	v_or_b32_e32 v95, 0x7b, v5
; %bb.18654:                            ;   in Loop: Header=BB6_16763 Depth=2
	s_or_b32 exec_lo, exec_lo, s10
                                        ; implicit-def: $vgpr0
                                        ; implicit-def: $vgpr1
.LBB6_18655:                            ;   in Loop: Header=BB6_16763 Depth=2
	s_and_not1_saveexec_b32 s10, s28
	s_cbranch_execz .LBB6_18661
; %bb.18656:                            ;   in Loop: Header=BB6_16763 Depth=2
	s_mov_b32 s28, exec_lo
                                        ; implicit-def: $vgpr95
	v_cmpx_ne_u64_e32 0, v[54:55]
	s_xor_b32 s28, exec_lo, s28
; %bb.18657:                            ;   in Loop: Header=BB6_16763 Depth=2
	v_or_b32_e32 v95, 0x7f, v1
                                        ; implicit-def: $vgpr0
; %bb.18658:                            ;   in Loop: Header=BB6_16763 Depth=2
	s_and_not1_saveexec_b32 s28, s28
; %bb.18659:                            ;   in Loop: Header=BB6_16763 Depth=2
	v_cmp_lt_i32_e32 vcc_lo, -1, v0
	v_cndmask_b32_e32 v95, 0xfc, v30, vcc_lo
; %bb.18660:                            ;   in Loop: Header=BB6_16763 Depth=2
	s_or_b32 exec_lo, exec_lo, s28
.LBB6_18661:                            ;   in Loop: Header=BB6_16763 Depth=2
	s_delay_alu instid0(SALU_CYCLE_1)
	s_or_b32 exec_lo, exec_lo, s10
	v_mov_b32_e32 v1, 0
	s_mov_b32 s28, exec_lo
	v_cmpx_lt_u64_e64 s[12:13], v[12:13]
	s_cbranch_execz .LBB6_18671
; %bb.18662:                            ;   in Loop: Header=BB6_16763 Depth=2
	v_lshrrev_b32_e32 v0, 24, v13
	v_bfrev_b32_e32 v1, 1
	s_mov_b32 s29, exec_lo
	s_delay_alu instid0(VALU_DEP_2)
	v_cmpx_ne_u32_e32 0x80, v0
	s_cbranch_execz .LBB6_18670
; %bb.18663:                            ;   in Loop: Header=BB6_16763 Depth=2
	v_and_b32_e32 v1, 0x7c000000, v13
	v_bfe_u32 v2, v13, 24, 2
	s_delay_alu instid0(VALU_DEP_2) | instskip(SKIP_1) | instid1(SALU_CYCLE_1)
	v_cmp_ne_u32_e32 vcc_lo, 0x7c000000, v1
                                        ; implicit-def: $vgpr1
	s_and_saveexec_b32 s10, vcc_lo
	s_xor_b32 s10, exec_lo, s10
	s_cbranch_execz .LBB6_18667
; %bb.18664:                            ;   in Loop: Header=BB6_16763 Depth=2
	v_bfe_u32 v1, v13, 26, 5
	s_mov_b32 s40, exec_lo
	s_delay_alu instid0(VALU_DEP_1)
	v_cmpx_eq_u32_e32 0, v1
; %bb.18665:                            ;   in Loop: Header=BB6_16763 Depth=2
	v_clz_i32_u32_e32 v1, v2
	s_delay_alu instid0(VALU_DEP_1) | instskip(NEXT) | instid1(VALU_DEP_1)
	v_min_u32_e32 v2, 32, v1
	v_subrev_nc_u32_e32 v1, 29, v2
	s_delay_alu instid0(VALU_DEP_1) | instskip(NEXT) | instid1(VALU_DEP_1)
	v_lshlrev_b64_e32 v[0:1], v1, v[0:1]
	v_dual_sub_nc_u32 v1, 30, v2 :: v_dual_bitop2_b32 v2, 3, v0 bitop3:0x40
; %bb.18666:                            ;   in Loop: Header=BB6_16763 Depth=2
	s_or_b32 exec_lo, exec_lo, s40
	v_and_b32_e32 v0, 0x80000000, v13
                                        ; implicit-def: $vgpr12_vgpr13
	s_delay_alu instid0(VALU_DEP_1) | instskip(NEXT) | instid1(VALU_DEP_1)
	v_lshl_add_u32 v0, v1, 23, v0
	v_lshl_or_b32 v0, v2, 21, v0
                                        ; implicit-def: $vgpr2
	s_delay_alu instid0(VALU_DEP_1)
	v_add_nc_u32_e32 v1, 0x38000000, v0
.LBB6_18667:                            ;   in Loop: Header=BB6_16763 Depth=2
	s_and_not1_saveexec_b32 s40, s10
; %bb.18668:                            ;   in Loop: Header=BB6_16763 Depth=2
	v_cmp_lt_i64_e64 s10, -1, v[12:13]
	v_cmp_eq_u32_e32 vcc_lo, 0, v2
	s_delay_alu instid0(VALU_DEP_2) | instskip(NEXT) | instid1(VALU_DEP_1)
	v_cndmask_b32_e64 v0, 0xff800000, v29, s10
	v_cndmask_b32_e32 v1, 0x7f800001, v0, vcc_lo
; %bb.18669:                            ;   in Loop: Header=BB6_16763 Depth=2
	s_or_b32 exec_lo, exec_lo, s40
.LBB6_18670:                            ;   in Loop: Header=BB6_16763 Depth=2
	s_delay_alu instid0(SALU_CYCLE_1)
	s_or_b32 exec_lo, exec_lo, s29
.LBB6_18671:                            ;   in Loop: Header=BB6_16763 Depth=2
	s_delay_alu instid0(SALU_CYCLE_1) | instskip(NEXT) | instid1(VALU_DEP_1)
	s_or_b32 exec_lo, exec_lo, s28
	v_dual_mul_f32 v0, s27, v1 :: v_dual_mov_b32 v3, v55
                                        ; implicit-def: $vgpr104
	s_mov_b32 s10, exec_lo
	s_delay_alu instid0(VALU_DEP_1) | instskip(SKIP_2) | instid1(VALU_DEP_3)
	v_and_b32_e32 v2, 0x7f800000, v0
	v_and_b32_e32 v54, 0x7fffff, v0
	v_lshrrev_b32_e32 v1, 24, v0
	v_cmpx_ne_u64_e32 0x7f800000, v[2:3]
	s_xor_b32 s28, exec_lo, s10
	s_cbranch_execz .LBB6_18685
; %bb.18672:                            ;   in Loop: Header=BB6_16763 Depth=2
	v_and_b32_e32 v2, 0x7fffffff, v0
	v_mov_b32_e32 v3, v55
	v_and_b32_e32 v5, 0x80, v1
                                        ; implicit-def: $vgpr104
	s_mov_b32 s10, exec_lo
	s_delay_alu instid0(VALU_DEP_2)
	v_cmpx_gt_u64_e32 0x47600001, v[2:3]
	s_xor_b32 s29, exec_lo, s10
	s_cbranch_execz .LBB6_18682
; %bb.18673:                            ;   in Loop: Header=BB6_16763 Depth=2
	v_mov_b32_e32 v104, 0
	s_mov_b32 s40, exec_lo
	v_cmpx_ne_u32_e32 0, v0
	s_cbranch_execz .LBB6_18681
; %bb.18674:                            ;   in Loop: Header=BB6_16763 Depth=2
	v_bfe_u32 v6, v0, 23, 8
	v_or_b32_e32 v1, 0x800000, v54
	s_delay_alu instid0(VALU_DEP_2) | instskip(SKIP_2) | instid1(VALU_DEP_2)
	v_cmp_gt_u32_e64 s10, 0x72, v6
	v_sub_nc_u32_e32 v0, 0x71, v6
	v_cmp_eq_u32_e32 vcc_lo, 0, v6
	v_cndmask_b32_e64 v0, 0, v0, s10
	s_delay_alu instid0(VALU_DEP_1) | instskip(SKIP_1) | instid1(VALU_DEP_2)
	v_cndmask_b32_e64 v7, v0, 0x70, vcc_lo
	v_dual_cndmask_b32 v0, v1, v54 :: v_dual_mov_b32 v1, v55
	v_dual_add_nc_u32 v2, 21, v7 :: v_dual_add_nc_u32 v8, 20, v7
	s_delay_alu instid0(VALU_DEP_1) | instskip(NEXT) | instid1(VALU_DEP_2)
	v_lshlrev_b64_e64 v[2:3], v2, -1
	v_lshlrev_b64_e64 v[8:9], v8, 1
	s_delay_alu instid0(VALU_DEP_2) | instskip(SKIP_1) | instid1(VALU_DEP_4)
	v_bfi_b32 v2, v2, 0, v0
	v_lshrrev_b64 v[0:1], v7, v[0:1]
	v_bfi_b32 v3, v3, 0, 0
	s_delay_alu instid0(VALU_DEP_1) | instskip(NEXT) | instid1(VALU_DEP_3)
	v_cmp_eq_u64_e64 s10, v[2:3], v[8:9]
	v_mov_b64_e32 v[2:3], v[0:1]
	s_and_saveexec_b32 s41, s10
; %bb.18675:                            ;   in Loop: Header=BB6_16763 Depth=2
	v_bfe_u32 v2, v0, 21, 1
	v_mov_b32_e32 v3, v55
	s_delay_alu instid0(VALU_DEP_1) | instskip(NEXT) | instid1(VALU_DEP_1)
	v_add_nc_u64_e32 v[2:3], v[0:1], v[2:3]
	v_add_nc_u64_e32 v[2:3], -1, v[2:3]
; %bb.18676:                            ;   in Loop: Header=BB6_16763 Depth=2
	s_or_b32 exec_lo, exec_lo, s41
	v_add_nc_u32_e32 v1, 0xffffff81, v6
	v_lshrrev_b32_e32 v3, 23, v0
	s_mov_b32 s10, exec_lo
	s_delay_alu instid0(VALU_DEP_2) | instskip(NEXT) | instid1(VALU_DEP_1)
	v_cndmask_b32_e64 v1, v1, 0xffffff82, vcc_lo
	v_add3_u32 v6, v7, v1, v3
	v_and_b32_e32 v1, 0x1fffff, v2
                                        ; implicit-def: $vgpr2
	s_delay_alu instid0(VALU_DEP_1) | instskip(NEXT) | instid1(VALU_DEP_1)
	v_dual_add_nc_u32 v3, 14, v6 :: v_dual_add_nc_u32 v54, v1, v0
                                        ; implicit-def: $vgpr0_vgpr1
	v_cmpx_ne_u32_e32 0, v3
	s_xor_b32 s10, exec_lo, s10
; %bb.18677:                            ;   in Loop: Header=BB6_16763 Depth=2
	s_delay_alu instid0(VALU_DEP_2) | instskip(SKIP_1) | instid1(VALU_DEP_1)
	v_cmp_lt_u64_e32 vcc_lo, 0xffffff, v[54:55]
	v_add_nc_u32_e32 v0, 15, v6
	v_cndmask_b32_e32 v2, v3, v0, vcc_lo
	v_cndmask_b32_e64 v0, 0, 1, vcc_lo
	s_delay_alu instid0(VALU_DEP_1)
	v_lshrrev_b64 v[0:1], v0, v[54:55]
; %bb.18678:                            ;   in Loop: Header=BB6_16763 Depth=2
	s_and_not1_saveexec_b32 s10, s10
; %bb.18679:                            ;   in Loop: Header=BB6_16763 Depth=2
	v_mov_b64_e32 v[0:1], v[54:55]
	v_bfe_u32 v2, v54, 23, 1
; %bb.18680:                            ;   in Loop: Header=BB6_16763 Depth=2
	s_or_b32 exec_lo, exec_lo, s10
	s_delay_alu instid0(VALU_DEP_2) | instskip(NEXT) | instid1(VALU_DEP_2)
	v_lshrrev_b64 v[0:1], 21, v[0:1]
	v_cmp_gt_i32_e32 vcc_lo, 32, v2
	v_min_i32_e32 v3, 31, v2
	v_cmp_eq_u32_e64 s10, 0, v2
	s_delay_alu instid0(VALU_DEP_2) | instskip(SKIP_1) | instid1(VALU_DEP_2)
	v_dual_cndmask_b32 v1, 0, v1, vcc_lo :: v_dual_lshlrev_b32 v3, 2, v3
	v_cndmask_b32_e32 v0, 3, v0, vcc_lo
	v_and_b32_e32 v3, 0xfc, v3
	s_delay_alu instid0(VALU_DEP_2) | instskip(NEXT) | instid1(VALU_DEP_2)
	v_cmp_eq_u64_e32 vcc_lo, 0, v[0:1]
	v_and_or_b32 v0, v0, 3, v3
	s_and_b32 s10, s10, vcc_lo
	s_delay_alu instid0(VALU_DEP_1) | instid1(SALU_CYCLE_1)
	v_cndmask_b32_e64 v0, v0, 0, s10
	s_delay_alu instid0(VALU_DEP_1)
	v_or_b32_e32 v104, v0, v5
.LBB6_18681:                            ;   in Loop: Header=BB6_16763 Depth=2
	s_or_b32 exec_lo, exec_lo, s40
                                        ; implicit-def: $vgpr5
.LBB6_18682:                            ;   in Loop: Header=BB6_16763 Depth=2
	s_and_not1_saveexec_b32 s10, s29
; %bb.18683:                            ;   in Loop: Header=BB6_16763 Depth=2
	v_or_b32_e32 v104, 0x7b, v5
; %bb.18684:                            ;   in Loop: Header=BB6_16763 Depth=2
	s_or_b32 exec_lo, exec_lo, s10
                                        ; implicit-def: $vgpr0
                                        ; implicit-def: $vgpr1
.LBB6_18685:                            ;   in Loop: Header=BB6_16763 Depth=2
	s_and_not1_saveexec_b32 s10, s28
	s_cbranch_execz .LBB6_18691
; %bb.18686:                            ;   in Loop: Header=BB6_16763 Depth=2
	s_mov_b32 s28, exec_lo
                                        ; implicit-def: $vgpr104
	v_cmpx_ne_u64_e32 0, v[54:55]
	s_xor_b32 s28, exec_lo, s28
; %bb.18687:                            ;   in Loop: Header=BB6_16763 Depth=2
	v_or_b32_e32 v104, 0x7f, v1
                                        ; implicit-def: $vgpr0
; %bb.18688:                            ;   in Loop: Header=BB6_16763 Depth=2
	s_and_not1_saveexec_b32 s28, s28
; %bb.18689:                            ;   in Loop: Header=BB6_16763 Depth=2
	v_cmp_lt_i32_e32 vcc_lo, -1, v0
	v_cndmask_b32_e32 v104, 0xfc, v30, vcc_lo
; %bb.18690:                            ;   in Loop: Header=BB6_16763 Depth=2
	s_or_b32 exec_lo, exec_lo, s28
.LBB6_18691:                            ;   in Loop: Header=BB6_16763 Depth=2
	s_delay_alu instid0(SALU_CYCLE_1) | instskip(SKIP_3) | instid1(VALU_DEP_1)
	s_or_b32 exec_lo, exec_lo, s10
	global_load_b128 v[10:13], v[14:15], off offset:2048 th:TH_LOAD_NT
	s_wait_loadcnt 0x0
	v_and_b32_e32 v0, 0xff, v10
	v_cmp_ne_u16_e32 vcc_lo, 0, v0
	v_mov_b32_e32 v0, 0
	s_wait_xcnt 0x0
	s_and_saveexec_b32 s28, vcc_lo
	s_cbranch_execz .LBB6_18701
; %bb.18692:                            ;   in Loop: Header=BB6_16763 Depth=2
	v_bfe_i32 v2, v10, 0, 8
	v_bfrev_b32_e32 v0, 1
	s_mov_b32 s29, exec_lo
	s_delay_alu instid0(VALU_DEP_2)
	v_cmpx_ne_u16_e32 0xff80, v2
	s_cbranch_execz .LBB6_18700
; %bb.18693:                            ;   in Loop: Header=BB6_16763 Depth=2
	v_and_b32_e32 v0, 0x7c, v10
	v_and_b32_e32 v1, 3, v10
	s_delay_alu instid0(VALU_DEP_2) | instskip(SKIP_1) | instid1(SALU_CYCLE_1)
	v_cmp_ne_u32_e32 vcc_lo, 0x7c, v0
                                        ; implicit-def: $vgpr0
	s_and_saveexec_b32 s10, vcc_lo
	s_xor_b32 s10, exec_lo, s10
	s_cbranch_execz .LBB6_18697
; %bb.18694:                            ;   in Loop: Header=BB6_16763 Depth=2
	v_bfe_u32 v0, v10, 2, 5
	s_mov_b32 s40, exec_lo
	s_delay_alu instid0(VALU_DEP_1)
	v_cmpx_eq_u32_e32 0, v0
; %bb.18695:                            ;   in Loop: Header=BB6_16763 Depth=2
	v_clz_i32_u32_e32 v0, v1
	s_delay_alu instid0(VALU_DEP_1) | instskip(NEXT) | instid1(VALU_DEP_1)
	v_min_u32_e32 v0, 32, v0
	v_subrev_nc_u32_e32 v1, 29, v0
	s_delay_alu instid0(VALU_DEP_1) | instskip(NEXT) | instid1(VALU_DEP_1)
	v_lshlrev_b64_e32 v[2:3], v1, v[10:11]
	v_dual_sub_nc_u32 v0, 30, v0 :: v_dual_bitop2_b32 v1, 3, v2 bitop3:0x40
; %bb.18696:                            ;   in Loop: Header=BB6_16763 Depth=2
	s_or_b32 exec_lo, exec_lo, s40
	v_lshlrev_b32_e32 v2, 24, v10
	s_delay_alu instid0(VALU_DEP_1) | instskip(NEXT) | instid1(VALU_DEP_1)
	v_and_b32_e32 v2, 0x80000000, v2
	v_lshl_add_u32 v0, v0, 23, v2
                                        ; implicit-def: $vgpr2
	s_delay_alu instid0(VALU_DEP_1) | instskip(NEXT) | instid1(VALU_DEP_1)
	v_lshl_or_b32 v0, v1, 21, v0
                                        ; implicit-def: $vgpr1
	v_add_nc_u32_e32 v0, 0x38000000, v0
.LBB6_18697:                            ;   in Loop: Header=BB6_16763 Depth=2
	s_and_not1_saveexec_b32 s40, s10
; %bb.18698:                            ;   in Loop: Header=BB6_16763 Depth=2
	v_cmp_lt_i16_e64 s10, -1, v2
	v_cmp_eq_u32_e32 vcc_lo, 0, v1
	s_delay_alu instid0(VALU_DEP_2) | instskip(NEXT) | instid1(VALU_DEP_1)
	v_cndmask_b32_e64 v0, 0xff800000, v29, s10
	v_cndmask_b32_e32 v0, 0x7f800001, v0, vcc_lo
; %bb.18699:                            ;   in Loop: Header=BB6_16763 Depth=2
	s_or_b32 exec_lo, exec_lo, s40
.LBB6_18700:                            ;   in Loop: Header=BB6_16763 Depth=2
	s_delay_alu instid0(SALU_CYCLE_1)
	s_or_b32 exec_lo, exec_lo, s29
.LBB6_18701:                            ;   in Loop: Header=BB6_16763 Depth=2
	s_delay_alu instid0(SALU_CYCLE_1) | instskip(NEXT) | instid1(VALU_DEP_1)
	s_or_b32 exec_lo, exec_lo, s28
	v_dual_mul_f32 v0, s27, v0 :: v_dual_mov_b32 v3, v55
                                        ; implicit-def: $vgpr17
	s_mov_b32 s10, exec_lo
	s_delay_alu instid0(VALU_DEP_1) | instskip(SKIP_2) | instid1(VALU_DEP_3)
	v_and_b32_e32 v2, 0x7f800000, v0
	v_and_b32_e32 v54, 0x7fffff, v0
	v_lshrrev_b32_e32 v1, 24, v0
	v_cmpx_ne_u64_e32 0x7f800000, v[2:3]
	s_xor_b32 s28, exec_lo, s10
	s_cbranch_execz .LBB6_18715
; %bb.18702:                            ;   in Loop: Header=BB6_16763 Depth=2
	v_and_b32_e32 v2, 0x7fffffff, v0
	v_mov_b32_e32 v3, v55
	v_and_b32_e32 v5, 0x80, v1
                                        ; implicit-def: $vgpr17
	s_mov_b32 s10, exec_lo
	s_delay_alu instid0(VALU_DEP_2)
	v_cmpx_gt_u64_e32 0x47600001, v[2:3]
	s_xor_b32 s29, exec_lo, s10
	s_cbranch_execz .LBB6_18712
; %bb.18703:                            ;   in Loop: Header=BB6_16763 Depth=2
	v_mov_b32_e32 v17, 0
	s_mov_b32 s40, exec_lo
	v_cmpx_ne_u32_e32 0, v0
	s_cbranch_execz .LBB6_18711
; %bb.18704:                            ;   in Loop: Header=BB6_16763 Depth=2
	v_bfe_u32 v6, v0, 23, 8
	v_or_b32_e32 v1, 0x800000, v54
	s_delay_alu instid0(VALU_DEP_2) | instskip(SKIP_2) | instid1(VALU_DEP_2)
	v_cmp_gt_u32_e64 s10, 0x72, v6
	v_sub_nc_u32_e32 v0, 0x71, v6
	v_cmp_eq_u32_e32 vcc_lo, 0, v6
	v_cndmask_b32_e64 v0, 0, v0, s10
	s_delay_alu instid0(VALU_DEP_1) | instskip(SKIP_1) | instid1(VALU_DEP_2)
	v_cndmask_b32_e64 v7, v0, 0x70, vcc_lo
	v_dual_cndmask_b32 v0, v1, v54 :: v_dual_mov_b32 v1, v55
	v_dual_add_nc_u32 v2, 21, v7 :: v_dual_add_nc_u32 v8, 20, v7
	s_delay_alu instid0(VALU_DEP_1) | instskip(NEXT) | instid1(VALU_DEP_2)
	v_lshlrev_b64_e64 v[2:3], v2, -1
	v_lshlrev_b64_e64 v[8:9], v8, 1
	s_delay_alu instid0(VALU_DEP_2) | instskip(SKIP_1) | instid1(VALU_DEP_4)
	v_bfi_b32 v2, v2, 0, v0
	v_lshrrev_b64 v[0:1], v7, v[0:1]
	v_bfi_b32 v3, v3, 0, 0
	s_delay_alu instid0(VALU_DEP_1) | instskip(NEXT) | instid1(VALU_DEP_3)
	v_cmp_eq_u64_e64 s10, v[2:3], v[8:9]
	v_mov_b64_e32 v[2:3], v[0:1]
	s_and_saveexec_b32 s41, s10
; %bb.18705:                            ;   in Loop: Header=BB6_16763 Depth=2
	v_bfe_u32 v2, v0, 21, 1
	v_mov_b32_e32 v3, v55
	s_delay_alu instid0(VALU_DEP_1) | instskip(NEXT) | instid1(VALU_DEP_1)
	v_add_nc_u64_e32 v[2:3], v[0:1], v[2:3]
	v_add_nc_u64_e32 v[2:3], -1, v[2:3]
; %bb.18706:                            ;   in Loop: Header=BB6_16763 Depth=2
	s_or_b32 exec_lo, exec_lo, s41
	v_add_nc_u32_e32 v1, 0xffffff81, v6
	v_lshrrev_b32_e32 v3, 23, v0
	s_mov_b32 s10, exec_lo
	s_delay_alu instid0(VALU_DEP_2) | instskip(NEXT) | instid1(VALU_DEP_1)
	v_cndmask_b32_e64 v1, v1, 0xffffff82, vcc_lo
	v_add3_u32 v6, v7, v1, v3
	v_and_b32_e32 v1, 0x1fffff, v2
                                        ; implicit-def: $vgpr2
	s_delay_alu instid0(VALU_DEP_1) | instskip(NEXT) | instid1(VALU_DEP_1)
	v_dual_add_nc_u32 v3, 14, v6 :: v_dual_add_nc_u32 v54, v1, v0
                                        ; implicit-def: $vgpr0_vgpr1
	v_cmpx_ne_u32_e32 0, v3
	s_xor_b32 s10, exec_lo, s10
; %bb.18707:                            ;   in Loop: Header=BB6_16763 Depth=2
	s_delay_alu instid0(VALU_DEP_2) | instskip(SKIP_1) | instid1(VALU_DEP_1)
	v_cmp_lt_u64_e32 vcc_lo, 0xffffff, v[54:55]
	v_add_nc_u32_e32 v0, 15, v6
	v_cndmask_b32_e32 v2, v3, v0, vcc_lo
	v_cndmask_b32_e64 v0, 0, 1, vcc_lo
	s_delay_alu instid0(VALU_DEP_1)
	v_lshrrev_b64 v[0:1], v0, v[54:55]
; %bb.18708:                            ;   in Loop: Header=BB6_16763 Depth=2
	s_and_not1_saveexec_b32 s10, s10
; %bb.18709:                            ;   in Loop: Header=BB6_16763 Depth=2
	v_mov_b64_e32 v[0:1], v[54:55]
	v_bfe_u32 v2, v54, 23, 1
; %bb.18710:                            ;   in Loop: Header=BB6_16763 Depth=2
	s_or_b32 exec_lo, exec_lo, s10
	s_delay_alu instid0(VALU_DEP_2) | instskip(NEXT) | instid1(VALU_DEP_2)
	v_lshrrev_b64 v[0:1], 21, v[0:1]
	v_cmp_gt_i32_e32 vcc_lo, 32, v2
	v_min_i32_e32 v3, 31, v2
	v_cmp_eq_u32_e64 s10, 0, v2
	s_delay_alu instid0(VALU_DEP_2) | instskip(SKIP_1) | instid1(VALU_DEP_2)
	v_dual_cndmask_b32 v1, 0, v1, vcc_lo :: v_dual_lshlrev_b32 v3, 2, v3
	v_cndmask_b32_e32 v0, 3, v0, vcc_lo
	v_and_b32_e32 v3, 0xfc, v3
	s_delay_alu instid0(VALU_DEP_2) | instskip(NEXT) | instid1(VALU_DEP_2)
	v_cmp_eq_u64_e32 vcc_lo, 0, v[0:1]
	v_and_or_b32 v0, v0, 3, v3
	s_and_b32 s10, s10, vcc_lo
	s_delay_alu instid0(VALU_DEP_1) | instid1(SALU_CYCLE_1)
	v_cndmask_b32_e64 v0, v0, 0, s10
	s_delay_alu instid0(VALU_DEP_1)
	v_or_b32_e32 v17, v0, v5
.LBB6_18711:                            ;   in Loop: Header=BB6_16763 Depth=2
	s_or_b32 exec_lo, exec_lo, s40
                                        ; implicit-def: $vgpr5
.LBB6_18712:                            ;   in Loop: Header=BB6_16763 Depth=2
	s_and_not1_saveexec_b32 s10, s29
; %bb.18713:                            ;   in Loop: Header=BB6_16763 Depth=2
	v_or_b32_e32 v17, 0x7b, v5
; %bb.18714:                            ;   in Loop: Header=BB6_16763 Depth=2
	s_or_b32 exec_lo, exec_lo, s10
                                        ; implicit-def: $vgpr0
                                        ; implicit-def: $vgpr1
.LBB6_18715:                            ;   in Loop: Header=BB6_16763 Depth=2
	s_and_not1_saveexec_b32 s10, s28
	s_cbranch_execz .LBB6_18721
; %bb.18716:                            ;   in Loop: Header=BB6_16763 Depth=2
	s_mov_b32 s28, exec_lo
                                        ; implicit-def: $vgpr17
	v_cmpx_ne_u64_e32 0, v[54:55]
	s_xor_b32 s28, exec_lo, s28
; %bb.18717:                            ;   in Loop: Header=BB6_16763 Depth=2
	v_or_b32_e32 v17, 0x7f, v1
                                        ; implicit-def: $vgpr0
; %bb.18718:                            ;   in Loop: Header=BB6_16763 Depth=2
	s_and_not1_saveexec_b32 s28, s28
; %bb.18719:                            ;   in Loop: Header=BB6_16763 Depth=2
	v_cmp_lt_i32_e32 vcc_lo, -1, v0
	v_cndmask_b32_e32 v17, 0xfc, v30, vcc_lo
; %bb.18720:                            ;   in Loop: Header=BB6_16763 Depth=2
	s_or_b32 exec_lo, exec_lo, s28
.LBB6_18721:                            ;   in Loop: Header=BB6_16763 Depth=2
	s_delay_alu instid0(SALU_CYCLE_1) | instskip(SKIP_3) | instid1(VALU_DEP_2)
	s_or_b32 exec_lo, exec_lo, s10
	v_lshrrev_b16 v0, 8, v10
	v_mov_b32_e32 v1, 0
	s_mov_b32 s28, exec_lo
	v_cmpx_ne_u16_e32 0, v0
	s_cbranch_execz .LBB6_18731
; %bb.18722:                            ;   in Loop: Header=BB6_16763 Depth=2
	v_bfrev_b32_e32 v1, 1
	s_mov_b32 s29, exec_lo
	v_cmpx_ne_u16_e32 0x80, v0
	s_cbranch_execz .LBB6_18730
; %bb.18723:                            ;   in Loop: Header=BB6_16763 Depth=2
	v_and_b32_e32 v3, 0xffff, v0
	s_delay_alu instid0(VALU_DEP_1) | instskip(SKIP_1) | instid1(VALU_DEP_2)
	v_and_b32_e32 v1, 0x7c, v3
	v_and_b32_e32 v2, 3, v3
	v_cmp_ne_u32_e32 vcc_lo, 0x7c, v1
                                        ; implicit-def: $vgpr1
	s_and_saveexec_b32 s10, vcc_lo
	s_delay_alu instid0(SALU_CYCLE_1)
	s_xor_b32 s10, exec_lo, s10
	s_cbranch_execz .LBB6_18727
; %bb.18724:                            ;   in Loop: Header=BB6_16763 Depth=2
	v_bfe_u32 v1, v3, 2, 5
	s_mov_b32 s40, exec_lo
	s_delay_alu instid0(VALU_DEP_1)
	v_cmpx_eq_u32_e32 0, v1
; %bb.18725:                            ;   in Loop: Header=BB6_16763 Depth=2
	v_clz_i32_u32_e32 v1, v2
	s_delay_alu instid0(VALU_DEP_1) | instskip(SKIP_1) | instid1(VALU_DEP_2)
	v_min_u32_e32 v2, 32, v1
	v_mov_b32_e32 v1, v55
	v_subrev_nc_u32_e32 v3, 29, v2
	s_delay_alu instid0(VALU_DEP_1) | instskip(NEXT) | instid1(VALU_DEP_1)
	v_lshlrev_b64_e32 v[0:1], v3, v[0:1]
	v_dual_sub_nc_u32 v1, 30, v2 :: v_dual_bitop2_b32 v2, 3, v0 bitop3:0x40
; %bb.18726:                            ;   in Loop: Header=BB6_16763 Depth=2
	s_or_b32 exec_lo, exec_lo, s40
	v_lshlrev_b32_e32 v0, 16, v10
	s_delay_alu instid0(VALU_DEP_1) | instskip(NEXT) | instid1(VALU_DEP_1)
	v_and_b32_e32 v0, 0x80000000, v0
	v_lshl_add_u32 v0, v1, 23, v0
	s_delay_alu instid0(VALU_DEP_1) | instskip(NEXT) | instid1(VALU_DEP_1)
	v_lshl_or_b32 v0, v2, 21, v0
                                        ; implicit-def: $vgpr2
	v_add_nc_u32_e32 v1, 0x38000000, v0
.LBB6_18727:                            ;   in Loop: Header=BB6_16763 Depth=2
	s_and_not1_saveexec_b32 s40, s10
; %bb.18728:                            ;   in Loop: Header=BB6_16763 Depth=2
	v_cmp_lt_i16_e64 s10, -1, v10
	v_cmp_eq_u32_e32 vcc_lo, 0, v2
	s_delay_alu instid0(VALU_DEP_2) | instskip(NEXT) | instid1(VALU_DEP_1)
	v_cndmask_b32_e64 v0, 0xff800000, v29, s10
	v_cndmask_b32_e32 v1, 0x7f800001, v0, vcc_lo
; %bb.18729:                            ;   in Loop: Header=BB6_16763 Depth=2
	s_or_b32 exec_lo, exec_lo, s40
.LBB6_18730:                            ;   in Loop: Header=BB6_16763 Depth=2
	s_delay_alu instid0(SALU_CYCLE_1)
	s_or_b32 exec_lo, exec_lo, s29
.LBB6_18731:                            ;   in Loop: Header=BB6_16763 Depth=2
	s_delay_alu instid0(SALU_CYCLE_1) | instskip(NEXT) | instid1(VALU_DEP_1)
	s_or_b32 exec_lo, exec_lo, s28
	v_dual_mul_f32 v0, s27, v1 :: v_dual_mov_b32 v3, v55
                                        ; implicit-def: $vgpr18
	s_mov_b32 s10, exec_lo
	s_delay_alu instid0(VALU_DEP_1) | instskip(SKIP_2) | instid1(VALU_DEP_3)
	v_and_b32_e32 v2, 0x7f800000, v0
	v_and_b32_e32 v54, 0x7fffff, v0
	v_lshrrev_b32_e32 v1, 24, v0
	v_cmpx_ne_u64_e32 0x7f800000, v[2:3]
	s_xor_b32 s28, exec_lo, s10
	s_cbranch_execz .LBB6_18745
; %bb.18732:                            ;   in Loop: Header=BB6_16763 Depth=2
	v_and_b32_e32 v2, 0x7fffffff, v0
	v_mov_b32_e32 v3, v55
	v_and_b32_e32 v5, 0x80, v1
                                        ; implicit-def: $vgpr18
	s_mov_b32 s10, exec_lo
	s_delay_alu instid0(VALU_DEP_2)
	v_cmpx_gt_u64_e32 0x47600001, v[2:3]
	s_xor_b32 s29, exec_lo, s10
	s_cbranch_execz .LBB6_18742
; %bb.18733:                            ;   in Loop: Header=BB6_16763 Depth=2
	v_mov_b32_e32 v18, 0
	s_mov_b32 s40, exec_lo
	v_cmpx_ne_u32_e32 0, v0
	s_cbranch_execz .LBB6_18741
; %bb.18734:                            ;   in Loop: Header=BB6_16763 Depth=2
	v_bfe_u32 v6, v0, 23, 8
	v_or_b32_e32 v1, 0x800000, v54
	s_delay_alu instid0(VALU_DEP_2) | instskip(SKIP_2) | instid1(VALU_DEP_2)
	v_cmp_gt_u32_e64 s10, 0x72, v6
	v_sub_nc_u32_e32 v0, 0x71, v6
	v_cmp_eq_u32_e32 vcc_lo, 0, v6
	v_cndmask_b32_e64 v0, 0, v0, s10
	s_delay_alu instid0(VALU_DEP_1) | instskip(SKIP_1) | instid1(VALU_DEP_2)
	v_cndmask_b32_e64 v7, v0, 0x70, vcc_lo
	v_dual_cndmask_b32 v0, v1, v54 :: v_dual_mov_b32 v1, v55
	v_dual_add_nc_u32 v2, 21, v7 :: v_dual_add_nc_u32 v8, 20, v7
	s_delay_alu instid0(VALU_DEP_1) | instskip(NEXT) | instid1(VALU_DEP_2)
	v_lshlrev_b64_e64 v[2:3], v2, -1
	v_lshlrev_b64_e64 v[8:9], v8, 1
	s_delay_alu instid0(VALU_DEP_2) | instskip(SKIP_1) | instid1(VALU_DEP_4)
	v_bfi_b32 v2, v2, 0, v0
	v_lshrrev_b64 v[0:1], v7, v[0:1]
	v_bfi_b32 v3, v3, 0, 0
	s_delay_alu instid0(VALU_DEP_1) | instskip(NEXT) | instid1(VALU_DEP_3)
	v_cmp_eq_u64_e64 s10, v[2:3], v[8:9]
	v_mov_b64_e32 v[2:3], v[0:1]
	s_and_saveexec_b32 s41, s10
; %bb.18735:                            ;   in Loop: Header=BB6_16763 Depth=2
	v_bfe_u32 v2, v0, 21, 1
	v_mov_b32_e32 v3, v55
	s_delay_alu instid0(VALU_DEP_1) | instskip(NEXT) | instid1(VALU_DEP_1)
	v_add_nc_u64_e32 v[2:3], v[0:1], v[2:3]
	v_add_nc_u64_e32 v[2:3], -1, v[2:3]
; %bb.18736:                            ;   in Loop: Header=BB6_16763 Depth=2
	s_or_b32 exec_lo, exec_lo, s41
	v_add_nc_u32_e32 v1, 0xffffff81, v6
	v_lshrrev_b32_e32 v3, 23, v0
	s_mov_b32 s10, exec_lo
	s_delay_alu instid0(VALU_DEP_2) | instskip(NEXT) | instid1(VALU_DEP_1)
	v_cndmask_b32_e64 v1, v1, 0xffffff82, vcc_lo
	v_add3_u32 v6, v7, v1, v3
	v_and_b32_e32 v1, 0x1fffff, v2
                                        ; implicit-def: $vgpr2
	s_delay_alu instid0(VALU_DEP_1) | instskip(NEXT) | instid1(VALU_DEP_1)
	v_dual_add_nc_u32 v3, 14, v6 :: v_dual_add_nc_u32 v54, v1, v0
                                        ; implicit-def: $vgpr0_vgpr1
	v_cmpx_ne_u32_e32 0, v3
	s_xor_b32 s10, exec_lo, s10
; %bb.18737:                            ;   in Loop: Header=BB6_16763 Depth=2
	s_delay_alu instid0(VALU_DEP_2) | instskip(SKIP_1) | instid1(VALU_DEP_1)
	v_cmp_lt_u64_e32 vcc_lo, 0xffffff, v[54:55]
	v_add_nc_u32_e32 v0, 15, v6
	v_cndmask_b32_e32 v2, v3, v0, vcc_lo
	v_cndmask_b32_e64 v0, 0, 1, vcc_lo
	s_delay_alu instid0(VALU_DEP_1)
	v_lshrrev_b64 v[0:1], v0, v[54:55]
; %bb.18738:                            ;   in Loop: Header=BB6_16763 Depth=2
	s_and_not1_saveexec_b32 s10, s10
; %bb.18739:                            ;   in Loop: Header=BB6_16763 Depth=2
	v_mov_b64_e32 v[0:1], v[54:55]
	v_bfe_u32 v2, v54, 23, 1
; %bb.18740:                            ;   in Loop: Header=BB6_16763 Depth=2
	s_or_b32 exec_lo, exec_lo, s10
	s_delay_alu instid0(VALU_DEP_2) | instskip(NEXT) | instid1(VALU_DEP_2)
	v_lshrrev_b64 v[0:1], 21, v[0:1]
	v_cmp_gt_i32_e32 vcc_lo, 32, v2
	v_min_i32_e32 v3, 31, v2
	v_cmp_eq_u32_e64 s10, 0, v2
	s_delay_alu instid0(VALU_DEP_2) | instskip(SKIP_1) | instid1(VALU_DEP_2)
	v_dual_cndmask_b32 v1, 0, v1, vcc_lo :: v_dual_lshlrev_b32 v3, 2, v3
	v_cndmask_b32_e32 v0, 3, v0, vcc_lo
	v_and_b32_e32 v3, 0xfc, v3
	s_delay_alu instid0(VALU_DEP_2) | instskip(NEXT) | instid1(VALU_DEP_2)
	v_cmp_eq_u64_e32 vcc_lo, 0, v[0:1]
	v_and_or_b32 v0, v0, 3, v3
	s_and_b32 s10, s10, vcc_lo
	s_delay_alu instid0(VALU_DEP_1) | instid1(SALU_CYCLE_1)
	v_cndmask_b32_e64 v0, v0, 0, s10
	s_delay_alu instid0(VALU_DEP_1)
	v_or_b32_e32 v18, v0, v5
.LBB6_18741:                            ;   in Loop: Header=BB6_16763 Depth=2
	s_or_b32 exec_lo, exec_lo, s40
                                        ; implicit-def: $vgpr5
.LBB6_18742:                            ;   in Loop: Header=BB6_16763 Depth=2
	s_and_not1_saveexec_b32 s10, s29
; %bb.18743:                            ;   in Loop: Header=BB6_16763 Depth=2
	v_or_b32_e32 v18, 0x7b, v5
; %bb.18744:                            ;   in Loop: Header=BB6_16763 Depth=2
	s_or_b32 exec_lo, exec_lo, s10
                                        ; implicit-def: $vgpr0
                                        ; implicit-def: $vgpr1
.LBB6_18745:                            ;   in Loop: Header=BB6_16763 Depth=2
	s_and_not1_saveexec_b32 s10, s28
	s_cbranch_execz .LBB6_18751
; %bb.18746:                            ;   in Loop: Header=BB6_16763 Depth=2
	s_mov_b32 s28, exec_lo
                                        ; implicit-def: $vgpr18
	v_cmpx_ne_u64_e32 0, v[54:55]
	s_xor_b32 s28, exec_lo, s28
; %bb.18747:                            ;   in Loop: Header=BB6_16763 Depth=2
	v_or_b32_e32 v18, 0x7f, v1
                                        ; implicit-def: $vgpr0
; %bb.18748:                            ;   in Loop: Header=BB6_16763 Depth=2
	s_and_not1_saveexec_b32 s28, s28
; %bb.18749:                            ;   in Loop: Header=BB6_16763 Depth=2
	v_cmp_lt_i32_e32 vcc_lo, -1, v0
	v_cndmask_b32_e32 v18, 0xfc, v30, vcc_lo
; %bb.18750:                            ;   in Loop: Header=BB6_16763 Depth=2
	s_or_b32 exec_lo, exec_lo, s28
.LBB6_18751:                            ;   in Loop: Header=BB6_16763 Depth=2
	s_delay_alu instid0(SALU_CYCLE_1) | instskip(SKIP_2) | instid1(VALU_DEP_1)
	s_or_b32 exec_lo, exec_lo, s10
	v_dual_mov_b32 v1, 0 :: v_dual_lshrrev_b32 v0, 16, v10
	s_mov_b32 s28, exec_lo
	v_and_b32_e32 v2, 0xff, v0
	s_delay_alu instid0(VALU_DEP_1)
	v_cmpx_ne_u16_e32 0, v2
	s_cbranch_execz .LBB6_18761
; %bb.18752:                            ;   in Loop: Header=BB6_16763 Depth=2
	v_bfrev_b32_e32 v1, 1
	s_mov_b32 s29, exec_lo
	v_cmpx_ne_u16_e32 0x80, v2
	s_cbranch_execz .LBB6_18760
; %bb.18753:                            ;   in Loop: Header=BB6_16763 Depth=2
	v_and_b32_e32 v1, 0x7c0000, v10
	v_bfe_u32 v2, v10, 16, 2
	s_delay_alu instid0(VALU_DEP_2) | instskip(SKIP_1) | instid1(SALU_CYCLE_1)
	v_cmp_ne_u32_e32 vcc_lo, 0x7c0000, v1
                                        ; implicit-def: $vgpr1
	s_and_saveexec_b32 s10, vcc_lo
	s_xor_b32 s10, exec_lo, s10
	s_cbranch_execz .LBB6_18757
; %bb.18754:                            ;   in Loop: Header=BB6_16763 Depth=2
	v_bfe_u32 v1, v10, 18, 5
	s_mov_b32 s40, exec_lo
	s_delay_alu instid0(VALU_DEP_1)
	v_cmpx_eq_u32_e32 0, v1
; %bb.18755:                            ;   in Loop: Header=BB6_16763 Depth=2
	v_clz_i32_u32_e32 v1, v2
	s_delay_alu instid0(VALU_DEP_1) | instskip(NEXT) | instid1(VALU_DEP_1)
	v_min_u32_e32 v1, 32, v1
	v_subrev_nc_u32_e32 v2, 29, v1
	s_delay_alu instid0(VALU_DEP_1) | instskip(NEXT) | instid1(VALU_DEP_1)
	v_lshlrev_b64_e32 v[2:3], v2, v[0:1]
	v_dual_sub_nc_u32 v1, 30, v1 :: v_dual_bitop2_b32 v2, 3, v2 bitop3:0x40
; %bb.18756:                            ;   in Loop: Header=BB6_16763 Depth=2
	s_or_b32 exec_lo, exec_lo, s40
	v_lshlrev_b32_e32 v0, 24, v0
	s_delay_alu instid0(VALU_DEP_1) | instskip(NEXT) | instid1(VALU_DEP_1)
	v_and_b32_e32 v0, 0x80000000, v0
	v_lshl_add_u32 v0, v1, 23, v0
	s_delay_alu instid0(VALU_DEP_1) | instskip(NEXT) | instid1(VALU_DEP_1)
	v_lshl_or_b32 v0, v2, 21, v0
                                        ; implicit-def: $vgpr2
	v_add_nc_u32_e32 v1, 0x38000000, v0
                                        ; implicit-def: $vgpr0
.LBB6_18757:                            ;   in Loop: Header=BB6_16763 Depth=2
	s_and_not1_saveexec_b32 s40, s10
; %bb.18758:                            ;   in Loop: Header=BB6_16763 Depth=2
	v_bfe_i32 v0, v0, 0, 8
	v_cmp_eq_u32_e32 vcc_lo, 0, v2
	s_delay_alu instid0(VALU_DEP_2) | instskip(NEXT) | instid1(VALU_DEP_1)
	v_cmp_lt_i16_e64 s10, -1, v0
	v_cndmask_b32_e64 v0, 0xff800000, v29, s10
	s_delay_alu instid0(VALU_DEP_1)
	v_cndmask_b32_e32 v1, 0x7f800001, v0, vcc_lo
; %bb.18759:                            ;   in Loop: Header=BB6_16763 Depth=2
	s_or_b32 exec_lo, exec_lo, s40
.LBB6_18760:                            ;   in Loop: Header=BB6_16763 Depth=2
	s_delay_alu instid0(SALU_CYCLE_1)
	s_or_b32 exec_lo, exec_lo, s29
.LBB6_18761:                            ;   in Loop: Header=BB6_16763 Depth=2
	s_delay_alu instid0(SALU_CYCLE_1) | instskip(NEXT) | instid1(VALU_DEP_1)
	s_or_b32 exec_lo, exec_lo, s28
	v_dual_mul_f32 v0, s27, v1 :: v_dual_mov_b32 v3, v55
                                        ; implicit-def: $vgpr19
	s_mov_b32 s10, exec_lo
	s_delay_alu instid0(VALU_DEP_1) | instskip(SKIP_2) | instid1(VALU_DEP_3)
	v_and_b32_e32 v2, 0x7f800000, v0
	v_and_b32_e32 v54, 0x7fffff, v0
	v_lshrrev_b32_e32 v1, 24, v0
	v_cmpx_ne_u64_e32 0x7f800000, v[2:3]
	s_xor_b32 s28, exec_lo, s10
	s_cbranch_execz .LBB6_18775
; %bb.18762:                            ;   in Loop: Header=BB6_16763 Depth=2
	v_and_b32_e32 v2, 0x7fffffff, v0
	v_mov_b32_e32 v3, v55
	v_and_b32_e32 v5, 0x80, v1
                                        ; implicit-def: $vgpr19
	s_mov_b32 s10, exec_lo
	s_delay_alu instid0(VALU_DEP_2)
	v_cmpx_gt_u64_e32 0x47600001, v[2:3]
	s_xor_b32 s29, exec_lo, s10
	s_cbranch_execz .LBB6_18772
; %bb.18763:                            ;   in Loop: Header=BB6_16763 Depth=2
	v_mov_b32_e32 v19, 0
	s_mov_b32 s40, exec_lo
	v_cmpx_ne_u32_e32 0, v0
	s_cbranch_execz .LBB6_18771
; %bb.18764:                            ;   in Loop: Header=BB6_16763 Depth=2
	v_bfe_u32 v6, v0, 23, 8
	v_or_b32_e32 v1, 0x800000, v54
	s_delay_alu instid0(VALU_DEP_2) | instskip(SKIP_2) | instid1(VALU_DEP_2)
	v_cmp_gt_u32_e64 s10, 0x72, v6
	v_sub_nc_u32_e32 v0, 0x71, v6
	v_cmp_eq_u32_e32 vcc_lo, 0, v6
	v_cndmask_b32_e64 v0, 0, v0, s10
	s_delay_alu instid0(VALU_DEP_1) | instskip(SKIP_1) | instid1(VALU_DEP_2)
	v_cndmask_b32_e64 v7, v0, 0x70, vcc_lo
	v_dual_cndmask_b32 v0, v1, v54 :: v_dual_mov_b32 v1, v55
	v_dual_add_nc_u32 v2, 21, v7 :: v_dual_add_nc_u32 v8, 20, v7
	s_delay_alu instid0(VALU_DEP_1) | instskip(NEXT) | instid1(VALU_DEP_2)
	v_lshlrev_b64_e64 v[2:3], v2, -1
	v_lshlrev_b64_e64 v[8:9], v8, 1
	s_delay_alu instid0(VALU_DEP_2) | instskip(SKIP_1) | instid1(VALU_DEP_4)
	v_bfi_b32 v2, v2, 0, v0
	v_lshrrev_b64 v[0:1], v7, v[0:1]
	v_bfi_b32 v3, v3, 0, 0
	s_delay_alu instid0(VALU_DEP_1) | instskip(NEXT) | instid1(VALU_DEP_3)
	v_cmp_eq_u64_e64 s10, v[2:3], v[8:9]
	v_mov_b64_e32 v[2:3], v[0:1]
	s_and_saveexec_b32 s41, s10
; %bb.18765:                            ;   in Loop: Header=BB6_16763 Depth=2
	v_bfe_u32 v2, v0, 21, 1
	v_mov_b32_e32 v3, v55
	s_delay_alu instid0(VALU_DEP_1) | instskip(NEXT) | instid1(VALU_DEP_1)
	v_add_nc_u64_e32 v[2:3], v[0:1], v[2:3]
	v_add_nc_u64_e32 v[2:3], -1, v[2:3]
; %bb.18766:                            ;   in Loop: Header=BB6_16763 Depth=2
	s_or_b32 exec_lo, exec_lo, s41
	v_add_nc_u32_e32 v1, 0xffffff81, v6
	v_lshrrev_b32_e32 v3, 23, v0
	s_mov_b32 s10, exec_lo
	s_delay_alu instid0(VALU_DEP_2) | instskip(NEXT) | instid1(VALU_DEP_1)
	v_cndmask_b32_e64 v1, v1, 0xffffff82, vcc_lo
	v_add3_u32 v6, v7, v1, v3
	v_and_b32_e32 v1, 0x1fffff, v2
                                        ; implicit-def: $vgpr2
	s_delay_alu instid0(VALU_DEP_1) | instskip(NEXT) | instid1(VALU_DEP_1)
	v_dual_add_nc_u32 v3, 14, v6 :: v_dual_add_nc_u32 v54, v1, v0
                                        ; implicit-def: $vgpr0_vgpr1
	v_cmpx_ne_u32_e32 0, v3
	s_xor_b32 s10, exec_lo, s10
; %bb.18767:                            ;   in Loop: Header=BB6_16763 Depth=2
	s_delay_alu instid0(VALU_DEP_2) | instskip(SKIP_1) | instid1(VALU_DEP_1)
	v_cmp_lt_u64_e32 vcc_lo, 0xffffff, v[54:55]
	v_add_nc_u32_e32 v0, 15, v6
	v_cndmask_b32_e32 v2, v3, v0, vcc_lo
	v_cndmask_b32_e64 v0, 0, 1, vcc_lo
	s_delay_alu instid0(VALU_DEP_1)
	v_lshrrev_b64 v[0:1], v0, v[54:55]
; %bb.18768:                            ;   in Loop: Header=BB6_16763 Depth=2
	s_and_not1_saveexec_b32 s10, s10
; %bb.18769:                            ;   in Loop: Header=BB6_16763 Depth=2
	v_mov_b64_e32 v[0:1], v[54:55]
	v_bfe_u32 v2, v54, 23, 1
; %bb.18770:                            ;   in Loop: Header=BB6_16763 Depth=2
	s_or_b32 exec_lo, exec_lo, s10
	s_delay_alu instid0(VALU_DEP_2) | instskip(NEXT) | instid1(VALU_DEP_2)
	v_lshrrev_b64 v[0:1], 21, v[0:1]
	v_cmp_gt_i32_e32 vcc_lo, 32, v2
	v_min_i32_e32 v3, 31, v2
	v_cmp_eq_u32_e64 s10, 0, v2
	s_delay_alu instid0(VALU_DEP_2) | instskip(SKIP_1) | instid1(VALU_DEP_2)
	v_dual_cndmask_b32 v1, 0, v1, vcc_lo :: v_dual_lshlrev_b32 v3, 2, v3
	v_cndmask_b32_e32 v0, 3, v0, vcc_lo
	v_and_b32_e32 v3, 0xfc, v3
	s_delay_alu instid0(VALU_DEP_2) | instskip(NEXT) | instid1(VALU_DEP_2)
	v_cmp_eq_u64_e32 vcc_lo, 0, v[0:1]
	v_and_or_b32 v0, v0, 3, v3
	s_and_b32 s10, s10, vcc_lo
	s_delay_alu instid0(VALU_DEP_1) | instid1(SALU_CYCLE_1)
	v_cndmask_b32_e64 v0, v0, 0, s10
	s_delay_alu instid0(VALU_DEP_1)
	v_or_b32_e32 v19, v0, v5
.LBB6_18771:                            ;   in Loop: Header=BB6_16763 Depth=2
	s_or_b32 exec_lo, exec_lo, s40
                                        ; implicit-def: $vgpr5
.LBB6_18772:                            ;   in Loop: Header=BB6_16763 Depth=2
	s_and_not1_saveexec_b32 s10, s29
; %bb.18773:                            ;   in Loop: Header=BB6_16763 Depth=2
	v_or_b32_e32 v19, 0x7b, v5
; %bb.18774:                            ;   in Loop: Header=BB6_16763 Depth=2
	s_or_b32 exec_lo, exec_lo, s10
                                        ; implicit-def: $vgpr0
                                        ; implicit-def: $vgpr1
.LBB6_18775:                            ;   in Loop: Header=BB6_16763 Depth=2
	s_and_not1_saveexec_b32 s10, s28
	s_cbranch_execz .LBB6_18781
; %bb.18776:                            ;   in Loop: Header=BB6_16763 Depth=2
	s_mov_b32 s28, exec_lo
                                        ; implicit-def: $vgpr19
	v_cmpx_ne_u64_e32 0, v[54:55]
	s_xor_b32 s28, exec_lo, s28
; %bb.18777:                            ;   in Loop: Header=BB6_16763 Depth=2
	v_or_b32_e32 v19, 0x7f, v1
                                        ; implicit-def: $vgpr0
; %bb.18778:                            ;   in Loop: Header=BB6_16763 Depth=2
	s_and_not1_saveexec_b32 s28, s28
; %bb.18779:                            ;   in Loop: Header=BB6_16763 Depth=2
	v_cmp_lt_i32_e32 vcc_lo, -1, v0
	v_cndmask_b32_e32 v19, 0xfc, v30, vcc_lo
; %bb.18780:                            ;   in Loop: Header=BB6_16763 Depth=2
	s_or_b32 exec_lo, exec_lo, s28
.LBB6_18781:                            ;   in Loop: Header=BB6_16763 Depth=2
	s_delay_alu instid0(SALU_CYCLE_1)
	s_or_b32 exec_lo, exec_lo, s10
	v_mov_b32_e32 v1, 0
	s_mov_b32 s28, exec_lo
	v_cmpx_lt_u32_e32 0xffffff, v10
	s_cbranch_execz .LBB6_18791
; %bb.18782:                            ;   in Loop: Header=BB6_16763 Depth=2
	v_lshrrev_b32_e32 v0, 24, v10
	v_bfrev_b32_e32 v1, 1
	s_mov_b32 s29, exec_lo
	s_delay_alu instid0(VALU_DEP_2)
	v_cmpx_ne_u32_e32 0x80, v0
	s_cbranch_execz .LBB6_18790
; %bb.18783:                            ;   in Loop: Header=BB6_16763 Depth=2
	v_and_b32_e32 v1, 0x7c000000, v10
	v_bfe_u32 v2, v10, 24, 2
	s_delay_alu instid0(VALU_DEP_2) | instskip(SKIP_1) | instid1(SALU_CYCLE_1)
	v_cmp_ne_u32_e32 vcc_lo, 0x7c000000, v1
                                        ; implicit-def: $vgpr1
	s_and_saveexec_b32 s10, vcc_lo
	s_xor_b32 s10, exec_lo, s10
	s_cbranch_execz .LBB6_18787
; %bb.18784:                            ;   in Loop: Header=BB6_16763 Depth=2
	v_bfe_u32 v1, v10, 26, 5
	s_mov_b32 s40, exec_lo
	s_delay_alu instid0(VALU_DEP_1)
	v_cmpx_eq_u32_e32 0, v1
; %bb.18785:                            ;   in Loop: Header=BB6_16763 Depth=2
	v_clz_i32_u32_e32 v1, v2
	s_delay_alu instid0(VALU_DEP_1) | instskip(NEXT) | instid1(VALU_DEP_1)
	v_min_u32_e32 v2, 32, v1
	v_subrev_nc_u32_e32 v1, 29, v2
	s_delay_alu instid0(VALU_DEP_1) | instskip(NEXT) | instid1(VALU_DEP_1)
	v_lshlrev_b64_e32 v[0:1], v1, v[0:1]
	v_dual_sub_nc_u32 v1, 30, v2 :: v_dual_bitop2_b32 v2, 3, v0 bitop3:0x40
; %bb.18786:                            ;   in Loop: Header=BB6_16763 Depth=2
	s_or_b32 exec_lo, exec_lo, s40
	v_and_b32_e32 v0, 0x80000000, v10
	s_delay_alu instid0(VALU_DEP_1) | instskip(NEXT) | instid1(VALU_DEP_1)
	v_lshl_add_u32 v0, v1, 23, v0
	v_lshl_or_b32 v0, v2, 21, v0
                                        ; implicit-def: $vgpr2
	s_delay_alu instid0(VALU_DEP_1)
	v_add_nc_u32_e32 v1, 0x38000000, v0
.LBB6_18787:                            ;   in Loop: Header=BB6_16763 Depth=2
	s_and_not1_saveexec_b32 s40, s10
; %bb.18788:                            ;   in Loop: Header=BB6_16763 Depth=2
	v_cmp_lt_i32_e64 s10, -1, v10
	v_cmp_eq_u32_e32 vcc_lo, 0, v2
	s_delay_alu instid0(VALU_DEP_2) | instskip(NEXT) | instid1(VALU_DEP_1)
	v_cndmask_b32_e64 v0, 0xff800000, v29, s10
	v_cndmask_b32_e32 v1, 0x7f800001, v0, vcc_lo
; %bb.18789:                            ;   in Loop: Header=BB6_16763 Depth=2
	s_or_b32 exec_lo, exec_lo, s40
.LBB6_18790:                            ;   in Loop: Header=BB6_16763 Depth=2
	s_delay_alu instid0(SALU_CYCLE_1)
	s_or_b32 exec_lo, exec_lo, s29
.LBB6_18791:                            ;   in Loop: Header=BB6_16763 Depth=2
	s_delay_alu instid0(SALU_CYCLE_1) | instskip(NEXT) | instid1(VALU_DEP_1)
	s_or_b32 exec_lo, exec_lo, s28
	v_dual_mul_f32 v0, s27, v1 :: v_dual_mov_b32 v3, v55
                                        ; implicit-def: $vgpr20
	s_mov_b32 s10, exec_lo
	s_delay_alu instid0(VALU_DEP_1) | instskip(SKIP_2) | instid1(VALU_DEP_3)
	v_and_b32_e32 v2, 0x7f800000, v0
	v_and_b32_e32 v54, 0x7fffff, v0
	v_lshrrev_b32_e32 v1, 24, v0
	v_cmpx_ne_u64_e32 0x7f800000, v[2:3]
	s_xor_b32 s28, exec_lo, s10
	s_cbranch_execz .LBB6_18805
; %bb.18792:                            ;   in Loop: Header=BB6_16763 Depth=2
	v_and_b32_e32 v2, 0x7fffffff, v0
	v_mov_b32_e32 v3, v55
	v_and_b32_e32 v5, 0x80, v1
                                        ; implicit-def: $vgpr20
	s_mov_b32 s10, exec_lo
	s_delay_alu instid0(VALU_DEP_2)
	v_cmpx_gt_u64_e32 0x47600001, v[2:3]
	s_xor_b32 s29, exec_lo, s10
	s_cbranch_execz .LBB6_18802
; %bb.18793:                            ;   in Loop: Header=BB6_16763 Depth=2
	v_mov_b32_e32 v20, 0
	s_mov_b32 s40, exec_lo
	v_cmpx_ne_u32_e32 0, v0
	s_cbranch_execz .LBB6_18801
; %bb.18794:                            ;   in Loop: Header=BB6_16763 Depth=2
	v_bfe_u32 v6, v0, 23, 8
	v_or_b32_e32 v1, 0x800000, v54
	s_delay_alu instid0(VALU_DEP_2) | instskip(SKIP_2) | instid1(VALU_DEP_2)
	v_cmp_gt_u32_e64 s10, 0x72, v6
	v_sub_nc_u32_e32 v0, 0x71, v6
	v_cmp_eq_u32_e32 vcc_lo, 0, v6
	v_cndmask_b32_e64 v0, 0, v0, s10
	s_delay_alu instid0(VALU_DEP_1) | instskip(SKIP_1) | instid1(VALU_DEP_2)
	v_cndmask_b32_e64 v7, v0, 0x70, vcc_lo
	v_dual_cndmask_b32 v0, v1, v54 :: v_dual_mov_b32 v1, v55
	v_dual_add_nc_u32 v2, 21, v7 :: v_dual_add_nc_u32 v8, 20, v7
	s_delay_alu instid0(VALU_DEP_1) | instskip(NEXT) | instid1(VALU_DEP_2)
	v_lshlrev_b64_e64 v[2:3], v2, -1
	v_lshlrev_b64_e64 v[8:9], v8, 1
	s_delay_alu instid0(VALU_DEP_2) | instskip(SKIP_1) | instid1(VALU_DEP_4)
	v_bfi_b32 v2, v2, 0, v0
	v_lshrrev_b64 v[0:1], v7, v[0:1]
	v_bfi_b32 v3, v3, 0, 0
	s_delay_alu instid0(VALU_DEP_1) | instskip(NEXT) | instid1(VALU_DEP_3)
	v_cmp_eq_u64_e64 s10, v[2:3], v[8:9]
	v_mov_b64_e32 v[2:3], v[0:1]
	s_and_saveexec_b32 s41, s10
; %bb.18795:                            ;   in Loop: Header=BB6_16763 Depth=2
	v_bfe_u32 v2, v0, 21, 1
	v_mov_b32_e32 v3, v55
	s_delay_alu instid0(VALU_DEP_1) | instskip(NEXT) | instid1(VALU_DEP_1)
	v_add_nc_u64_e32 v[2:3], v[0:1], v[2:3]
	v_add_nc_u64_e32 v[2:3], -1, v[2:3]
; %bb.18796:                            ;   in Loop: Header=BB6_16763 Depth=2
	s_or_b32 exec_lo, exec_lo, s41
	v_add_nc_u32_e32 v1, 0xffffff81, v6
	v_lshrrev_b32_e32 v3, 23, v0
	s_mov_b32 s10, exec_lo
	s_delay_alu instid0(VALU_DEP_2) | instskip(NEXT) | instid1(VALU_DEP_1)
	v_cndmask_b32_e64 v1, v1, 0xffffff82, vcc_lo
	v_add3_u32 v6, v7, v1, v3
	v_and_b32_e32 v1, 0x1fffff, v2
                                        ; implicit-def: $vgpr2
	s_delay_alu instid0(VALU_DEP_1) | instskip(NEXT) | instid1(VALU_DEP_1)
	v_dual_add_nc_u32 v3, 14, v6 :: v_dual_add_nc_u32 v54, v1, v0
                                        ; implicit-def: $vgpr0_vgpr1
	v_cmpx_ne_u32_e32 0, v3
	s_xor_b32 s10, exec_lo, s10
; %bb.18797:                            ;   in Loop: Header=BB6_16763 Depth=2
	s_delay_alu instid0(VALU_DEP_2) | instskip(SKIP_1) | instid1(VALU_DEP_1)
	v_cmp_lt_u64_e32 vcc_lo, 0xffffff, v[54:55]
	v_add_nc_u32_e32 v0, 15, v6
	v_cndmask_b32_e32 v2, v3, v0, vcc_lo
	v_cndmask_b32_e64 v0, 0, 1, vcc_lo
	s_delay_alu instid0(VALU_DEP_1)
	v_lshrrev_b64 v[0:1], v0, v[54:55]
; %bb.18798:                            ;   in Loop: Header=BB6_16763 Depth=2
	s_and_not1_saveexec_b32 s10, s10
; %bb.18799:                            ;   in Loop: Header=BB6_16763 Depth=2
	v_mov_b64_e32 v[0:1], v[54:55]
	v_bfe_u32 v2, v54, 23, 1
; %bb.18800:                            ;   in Loop: Header=BB6_16763 Depth=2
	s_or_b32 exec_lo, exec_lo, s10
	s_delay_alu instid0(VALU_DEP_2) | instskip(NEXT) | instid1(VALU_DEP_2)
	v_lshrrev_b64 v[0:1], 21, v[0:1]
	v_cmp_gt_i32_e32 vcc_lo, 32, v2
	v_min_i32_e32 v3, 31, v2
	v_cmp_eq_u32_e64 s10, 0, v2
	s_delay_alu instid0(VALU_DEP_2) | instskip(SKIP_1) | instid1(VALU_DEP_2)
	v_dual_cndmask_b32 v1, 0, v1, vcc_lo :: v_dual_lshlrev_b32 v3, 2, v3
	v_cndmask_b32_e32 v0, 3, v0, vcc_lo
	v_and_b32_e32 v3, 0xfc, v3
	s_delay_alu instid0(VALU_DEP_2) | instskip(NEXT) | instid1(VALU_DEP_2)
	v_cmp_eq_u64_e32 vcc_lo, 0, v[0:1]
	v_and_or_b32 v0, v0, 3, v3
	s_and_b32 s10, s10, vcc_lo
	s_delay_alu instid0(VALU_DEP_1) | instid1(SALU_CYCLE_1)
	v_cndmask_b32_e64 v0, v0, 0, s10
	s_delay_alu instid0(VALU_DEP_1)
	v_or_b32_e32 v20, v0, v5
.LBB6_18801:                            ;   in Loop: Header=BB6_16763 Depth=2
	s_or_b32 exec_lo, exec_lo, s40
                                        ; implicit-def: $vgpr5
.LBB6_18802:                            ;   in Loop: Header=BB6_16763 Depth=2
	s_and_not1_saveexec_b32 s10, s29
; %bb.18803:                            ;   in Loop: Header=BB6_16763 Depth=2
	v_or_b32_e32 v20, 0x7b, v5
; %bb.18804:                            ;   in Loop: Header=BB6_16763 Depth=2
	s_or_b32 exec_lo, exec_lo, s10
                                        ; implicit-def: $vgpr0
                                        ; implicit-def: $vgpr1
.LBB6_18805:                            ;   in Loop: Header=BB6_16763 Depth=2
	s_and_not1_saveexec_b32 s10, s28
	s_cbranch_execz .LBB6_18811
; %bb.18806:                            ;   in Loop: Header=BB6_16763 Depth=2
	s_mov_b32 s28, exec_lo
                                        ; implicit-def: $vgpr20
	v_cmpx_ne_u64_e32 0, v[54:55]
	s_xor_b32 s28, exec_lo, s28
; %bb.18807:                            ;   in Loop: Header=BB6_16763 Depth=2
	v_or_b32_e32 v20, 0x7f, v1
                                        ; implicit-def: $vgpr0
; %bb.18808:                            ;   in Loop: Header=BB6_16763 Depth=2
	s_and_not1_saveexec_b32 s28, s28
; %bb.18809:                            ;   in Loop: Header=BB6_16763 Depth=2
	v_cmp_lt_i32_e32 vcc_lo, -1, v0
	v_cndmask_b32_e32 v20, 0xfc, v30, vcc_lo
; %bb.18810:                            ;   in Loop: Header=BB6_16763 Depth=2
	s_or_b32 exec_lo, exec_lo, s28
.LBB6_18811:                            ;   in Loop: Header=BB6_16763 Depth=2
	s_delay_alu instid0(SALU_CYCLE_1) | instskip(SKIP_3) | instid1(VALU_DEP_2)
	s_or_b32 exec_lo, exec_lo, s10
	v_and_b32_e32 v1, 0xff, v11
	v_dual_mov_b32 v54, v11 :: v_dual_mov_b32 v0, 0
	s_mov_b32 s28, exec_lo
	v_cmpx_ne_u16_e32 0, v1
	s_cbranch_execz .LBB6_18821
; %bb.18812:                            ;   in Loop: Header=BB6_16763 Depth=2
	v_bfrev_b32_e32 v0, 1
	s_mov_b32 s29, exec_lo
	v_cmpx_ne_u16_e32 0x80, v1
	s_cbranch_execz .LBB6_18820
; %bb.18813:                            ;   in Loop: Header=BB6_16763 Depth=2
	v_and_b32_e32 v0, 0x7c, v11
	v_and_b32_e32 v1, 3, v11
	s_delay_alu instid0(VALU_DEP_2) | instskip(SKIP_1) | instid1(SALU_CYCLE_1)
	v_cmp_ne_u32_e32 vcc_lo, 0x7c, v0
                                        ; implicit-def: $vgpr0
	s_and_saveexec_b32 s10, vcc_lo
	s_xor_b32 s10, exec_lo, s10
	s_cbranch_execz .LBB6_18817
; %bb.18814:                            ;   in Loop: Header=BB6_16763 Depth=2
	v_bfe_u32 v0, v11, 2, 5
	s_mov_b32 s40, exec_lo
	s_delay_alu instid0(VALU_DEP_1)
	v_cmpx_eq_u32_e32 0, v0
; %bb.18815:                            ;   in Loop: Header=BB6_16763 Depth=2
	v_clz_i32_u32_e32 v0, v1
	s_delay_alu instid0(VALU_DEP_1) | instskip(NEXT) | instid1(VALU_DEP_1)
	v_min_u32_e32 v0, 32, v0
	v_subrev_nc_u32_e32 v1, 29, v0
	s_delay_alu instid0(VALU_DEP_1) | instskip(NEXT) | instid1(VALU_DEP_1)
	v_lshlrev_b64_e32 v[2:3], v1, v[54:55]
	v_dual_sub_nc_u32 v0, 30, v0 :: v_dual_bitop2_b32 v1, 3, v2 bitop3:0x40
; %bb.18816:                            ;   in Loop: Header=BB6_16763 Depth=2
	s_or_b32 exec_lo, exec_lo, s40
	v_lshlrev_b32_e32 v2, 24, v11
	s_delay_alu instid0(VALU_DEP_1) | instskip(NEXT) | instid1(VALU_DEP_1)
	v_and_b32_e32 v2, 0x80000000, v2
	v_lshl_add_u32 v0, v0, 23, v2
	s_delay_alu instid0(VALU_DEP_1) | instskip(NEXT) | instid1(VALU_DEP_1)
	v_lshl_or_b32 v0, v1, 21, v0
                                        ; implicit-def: $vgpr1
	v_add_nc_u32_e32 v0, 0x38000000, v0
.LBB6_18817:                            ;   in Loop: Header=BB6_16763 Depth=2
	s_and_not1_saveexec_b32 s40, s10
; %bb.18818:                            ;   in Loop: Header=BB6_16763 Depth=2
	v_bfe_i32 v0, v11, 0, 8
	v_cmp_eq_u32_e32 vcc_lo, 0, v1
	s_delay_alu instid0(VALU_DEP_2) | instskip(NEXT) | instid1(VALU_DEP_1)
	v_cmp_lt_i16_e64 s10, -1, v0
	v_cndmask_b32_e64 v0, 0xff800000, v29, s10
	s_delay_alu instid0(VALU_DEP_1)
	v_cndmask_b32_e32 v0, 0x7f800001, v0, vcc_lo
; %bb.18819:                            ;   in Loop: Header=BB6_16763 Depth=2
	s_or_b32 exec_lo, exec_lo, s40
.LBB6_18820:                            ;   in Loop: Header=BB6_16763 Depth=2
	s_delay_alu instid0(SALU_CYCLE_1)
	s_or_b32 exec_lo, exec_lo, s29
.LBB6_18821:                            ;   in Loop: Header=BB6_16763 Depth=2
	s_delay_alu instid0(SALU_CYCLE_1) | instskip(NEXT) | instid1(VALU_DEP_1)
	s_or_b32 exec_lo, exec_lo, s28
	v_dual_mul_f32 v2, s27, v0 :: v_dual_mov_b32 v7, v55
	v_mov_b32_e32 v1, v55
                                        ; implicit-def: $vgpr21
	s_mov_b32 s10, exec_lo
	s_delay_alu instid0(VALU_DEP_2) | instskip(SKIP_2) | instid1(VALU_DEP_3)
	v_and_b32_e32 v6, 0x7f800000, v2
	v_and_b32_e32 v0, 0x7fffff, v2
	v_lshrrev_b32_e32 v3, 24, v2
	v_cmpx_ne_u64_e32 0x7f800000, v[6:7]
	s_xor_b32 s28, exec_lo, s10
	s_cbranch_execz .LBB6_18835
; %bb.18822:                            ;   in Loop: Header=BB6_16763 Depth=2
	v_and_b32_e32 v6, 0x7fffffff, v2
	v_mov_b32_e32 v7, v55
	v_and_b32_e32 v5, 0x80, v3
                                        ; implicit-def: $vgpr21
	s_mov_b32 s10, exec_lo
	s_delay_alu instid0(VALU_DEP_2)
	v_cmpx_gt_u64_e32 0x47600001, v[6:7]
	s_xor_b32 s29, exec_lo, s10
	s_cbranch_execz .LBB6_18832
; %bb.18823:                            ;   in Loop: Header=BB6_16763 Depth=2
	v_mov_b32_e32 v21, 0
	s_mov_b32 s40, exec_lo
	v_cmpx_ne_u32_e32 0, v2
	s_cbranch_execz .LBB6_18831
; %bb.18824:                            ;   in Loop: Header=BB6_16763 Depth=2
	v_bfe_u32 v6, v2, 23, 8
	v_or_b32_e32 v3, 0x800000, v0
	s_delay_alu instid0(VALU_DEP_2) | instskip(SKIP_2) | instid1(VALU_DEP_2)
	v_cmp_gt_u32_e64 s10, 0x72, v6
	v_sub_nc_u32_e32 v2, 0x71, v6
	v_cmp_eq_u32_e32 vcc_lo, 0, v6
	v_dual_cndmask_b32 v2, 0, v2, s10 :: v_dual_cndmask_b32 v0, v3, v0, vcc_lo
	s_delay_alu instid0(VALU_DEP_1) | instskip(NEXT) | instid1(VALU_DEP_1)
	v_cndmask_b32_e64 v7, v2, 0x70, vcc_lo
	v_dual_add_nc_u32 v2, 21, v7 :: v_dual_add_nc_u32 v8, 20, v7
	s_delay_alu instid0(VALU_DEP_1) | instskip(NEXT) | instid1(VALU_DEP_2)
	v_lshlrev_b64_e64 v[2:3], v2, -1
	v_lshlrev_b64_e64 v[8:9], v8, 1
	s_delay_alu instid0(VALU_DEP_2) | instskip(SKIP_1) | instid1(VALU_DEP_4)
	v_bfi_b32 v2, v2, 0, v0
	v_lshrrev_b64 v[0:1], v7, v[0:1]
	v_bfi_b32 v3, v3, 0, 0
	s_delay_alu instid0(VALU_DEP_1) | instskip(NEXT) | instid1(VALU_DEP_3)
	v_cmp_eq_u64_e64 s10, v[2:3], v[8:9]
	v_mov_b64_e32 v[2:3], v[0:1]
	s_and_saveexec_b32 s41, s10
; %bb.18825:                            ;   in Loop: Header=BB6_16763 Depth=2
	v_bfe_u32 v2, v0, 21, 1
	v_mov_b32_e32 v3, v55
	s_delay_alu instid0(VALU_DEP_1) | instskip(NEXT) | instid1(VALU_DEP_1)
	v_add_nc_u64_e32 v[2:3], v[0:1], v[2:3]
	v_add_nc_u64_e32 v[2:3], -1, v[2:3]
; %bb.18826:                            ;   in Loop: Header=BB6_16763 Depth=2
	s_or_b32 exec_lo, exec_lo, s41
	v_add_nc_u32_e32 v1, 0xffffff81, v6
	v_lshrrev_b32_e32 v3, 23, v0
	s_mov_b32 s10, exec_lo
	s_delay_alu instid0(VALU_DEP_2) | instskip(NEXT) | instid1(VALU_DEP_1)
	v_cndmask_b32_e64 v1, v1, 0xffffff82, vcc_lo
	v_add3_u32 v6, v7, v1, v3
	v_and_b32_e32 v1, 0x1fffff, v2
                                        ; implicit-def: $vgpr2
	s_delay_alu instid0(VALU_DEP_1) | instskip(SKIP_1) | instid1(VALU_DEP_2)
	v_dual_add_nc_u32 v3, 14, v6 :: v_dual_add_nc_u32 v0, v1, v0
	v_mov_b32_e32 v1, v55
	v_cmpx_ne_u32_e32 0, v3
	s_xor_b32 s10, exec_lo, s10
; %bb.18827:                            ;   in Loop: Header=BB6_16763 Depth=2
	s_delay_alu instid0(VALU_DEP_2) | instskip(SKIP_1) | instid1(VALU_DEP_1)
	v_cmp_lt_u64_e32 vcc_lo, 0xffffff, v[0:1]
	v_add_nc_u32_e32 v2, 15, v6
	v_cndmask_b32_e32 v2, v3, v2, vcc_lo
	v_cndmask_b32_e64 v3, 0, 1, vcc_lo
	s_delay_alu instid0(VALU_DEP_1)
	v_lshrrev_b64 v[0:1], v3, v[0:1]
; %bb.18828:                            ;   in Loop: Header=BB6_16763 Depth=2
	s_and_not1_saveexec_b32 s10, s10
; %bb.18829:                            ;   in Loop: Header=BB6_16763 Depth=2
	s_delay_alu instid0(VALU_DEP_1)
	v_bfe_u32 v2, v0, 23, 1
; %bb.18830:                            ;   in Loop: Header=BB6_16763 Depth=2
	s_or_b32 exec_lo, exec_lo, s10
	s_delay_alu instid0(VALU_DEP_2) | instskip(NEXT) | instid1(VALU_DEP_2)
	v_lshrrev_b64 v[0:1], 21, v[0:1]
	v_cmp_gt_i32_e32 vcc_lo, 32, v2
	v_min_i32_e32 v3, 31, v2
	v_cmp_eq_u32_e64 s10, 0, v2
	s_delay_alu instid0(VALU_DEP_2) | instskip(SKIP_1) | instid1(VALU_DEP_2)
	v_dual_cndmask_b32 v1, 0, v1, vcc_lo :: v_dual_lshlrev_b32 v3, 2, v3
	v_cndmask_b32_e32 v0, 3, v0, vcc_lo
	v_and_b32_e32 v3, 0xfc, v3
	s_delay_alu instid0(VALU_DEP_2) | instskip(NEXT) | instid1(VALU_DEP_2)
	v_cmp_eq_u64_e32 vcc_lo, 0, v[0:1]
	v_and_or_b32 v0, v0, 3, v3
	s_and_b32 s10, s10, vcc_lo
	s_delay_alu instid0(VALU_DEP_1) | instid1(SALU_CYCLE_1)
	v_cndmask_b32_e64 v0, v0, 0, s10
	s_delay_alu instid0(VALU_DEP_1)
	v_or_b32_e32 v21, v0, v5
.LBB6_18831:                            ;   in Loop: Header=BB6_16763 Depth=2
	s_or_b32 exec_lo, exec_lo, s40
                                        ; implicit-def: $vgpr5
.LBB6_18832:                            ;   in Loop: Header=BB6_16763 Depth=2
	s_and_not1_saveexec_b32 s10, s29
; %bb.18833:                            ;   in Loop: Header=BB6_16763 Depth=2
	v_or_b32_e32 v21, 0x7b, v5
; %bb.18834:                            ;   in Loop: Header=BB6_16763 Depth=2
	s_or_b32 exec_lo, exec_lo, s10
                                        ; implicit-def: $vgpr2
                                        ; implicit-def: $vgpr0_vgpr1
                                        ; implicit-def: $vgpr3
.LBB6_18835:                            ;   in Loop: Header=BB6_16763 Depth=2
	s_and_not1_saveexec_b32 s10, s28
	s_cbranch_execz .LBB6_18841
; %bb.18836:                            ;   in Loop: Header=BB6_16763 Depth=2
	s_mov_b32 s28, exec_lo
                                        ; implicit-def: $vgpr21
	v_cmpx_ne_u64_e32 0, v[0:1]
	s_xor_b32 s28, exec_lo, s28
; %bb.18837:                            ;   in Loop: Header=BB6_16763 Depth=2
	v_or_b32_e32 v21, 0x7f, v3
                                        ; implicit-def: $vgpr2
; %bb.18838:                            ;   in Loop: Header=BB6_16763 Depth=2
	s_and_not1_saveexec_b32 s28, s28
; %bb.18839:                            ;   in Loop: Header=BB6_16763 Depth=2
	v_cmp_lt_i32_e32 vcc_lo, -1, v2
	v_cndmask_b32_e32 v21, 0xfc, v30, vcc_lo
; %bb.18840:                            ;   in Loop: Header=BB6_16763 Depth=2
	s_or_b32 exec_lo, exec_lo, s28
.LBB6_18841:                            ;   in Loop: Header=BB6_16763 Depth=2
	s_delay_alu instid0(SALU_CYCLE_1) | instskip(SKIP_3) | instid1(VALU_DEP_2)
	s_or_b32 exec_lo, exec_lo, s10
	v_lshrrev_b16 v0, 8, v54
	v_mov_b32_e32 v1, 0
	s_mov_b32 s28, exec_lo
	v_cmpx_ne_u16_e32 0, v0
	s_cbranch_execz .LBB6_18851
; %bb.18842:                            ;   in Loop: Header=BB6_16763 Depth=2
	v_bfrev_b32_e32 v1, 1
	s_mov_b32 s29, exec_lo
	v_cmpx_ne_u16_e32 0x80, v0
	s_cbranch_execz .LBB6_18850
; %bb.18843:                            ;   in Loop: Header=BB6_16763 Depth=2
	v_and_b32_e32 v3, 0xffff, v0
	s_delay_alu instid0(VALU_DEP_1) | instskip(SKIP_1) | instid1(VALU_DEP_2)
	v_and_b32_e32 v1, 0x7c, v3
	v_and_b32_e32 v2, 3, v3
	v_cmp_ne_u32_e32 vcc_lo, 0x7c, v1
                                        ; implicit-def: $vgpr1
	s_and_saveexec_b32 s10, vcc_lo
	s_delay_alu instid0(SALU_CYCLE_1)
	s_xor_b32 s10, exec_lo, s10
	s_cbranch_execz .LBB6_18847
; %bb.18844:                            ;   in Loop: Header=BB6_16763 Depth=2
	v_bfe_u32 v1, v3, 2, 5
	s_mov_b32 s40, exec_lo
	s_delay_alu instid0(VALU_DEP_1)
	v_cmpx_eq_u32_e32 0, v1
; %bb.18845:                            ;   in Loop: Header=BB6_16763 Depth=2
	v_clz_i32_u32_e32 v1, v2
	s_delay_alu instid0(VALU_DEP_1) | instskip(SKIP_1) | instid1(VALU_DEP_2)
	v_min_u32_e32 v2, 32, v1
	v_mov_b32_e32 v1, v55
	v_subrev_nc_u32_e32 v3, 29, v2
	s_delay_alu instid0(VALU_DEP_1) | instskip(NEXT) | instid1(VALU_DEP_1)
	v_lshlrev_b64_e32 v[0:1], v3, v[0:1]
	v_dual_sub_nc_u32 v1, 30, v2 :: v_dual_bitop2_b32 v2, 3, v0 bitop3:0x40
; %bb.18846:                            ;   in Loop: Header=BB6_16763 Depth=2
	s_or_b32 exec_lo, exec_lo, s40
	v_lshlrev_b32_e32 v0, 16, v54
	s_delay_alu instid0(VALU_DEP_1) | instskip(NEXT) | instid1(VALU_DEP_1)
	v_and_b32_e32 v0, 0x80000000, v0
	v_lshl_add_u32 v0, v1, 23, v0
	s_delay_alu instid0(VALU_DEP_1) | instskip(NEXT) | instid1(VALU_DEP_1)
	v_lshl_or_b32 v0, v2, 21, v0
                                        ; implicit-def: $vgpr2
	v_add_nc_u32_e32 v1, 0x38000000, v0
.LBB6_18847:                            ;   in Loop: Header=BB6_16763 Depth=2
	s_and_not1_saveexec_b32 s40, s10
; %bb.18848:                            ;   in Loop: Header=BB6_16763 Depth=2
	v_cmp_lt_i16_e64 s10, -1, v54
	v_cmp_eq_u32_e32 vcc_lo, 0, v2
	s_delay_alu instid0(VALU_DEP_2) | instskip(NEXT) | instid1(VALU_DEP_1)
	v_cndmask_b32_e64 v0, 0xff800000, v29, s10
	v_cndmask_b32_e32 v1, 0x7f800001, v0, vcc_lo
; %bb.18849:                            ;   in Loop: Header=BB6_16763 Depth=2
	s_or_b32 exec_lo, exec_lo, s40
.LBB6_18850:                            ;   in Loop: Header=BB6_16763 Depth=2
	s_delay_alu instid0(SALU_CYCLE_1)
	s_or_b32 exec_lo, exec_lo, s29
.LBB6_18851:                            ;   in Loop: Header=BB6_16763 Depth=2
	s_delay_alu instid0(SALU_CYCLE_1) | instskip(NEXT) | instid1(VALU_DEP_1)
	s_or_b32 exec_lo, exec_lo, s28
	v_dual_mul_f32 v0, s27, v1 :: v_dual_mov_b32 v3, v55
                                        ; implicit-def: $vgpr105
	s_mov_b32 s10, exec_lo
	s_delay_alu instid0(VALU_DEP_1) | instskip(SKIP_2) | instid1(VALU_DEP_3)
	v_and_b32_e32 v2, 0x7f800000, v0
	v_and_b32_e32 v54, 0x7fffff, v0
	v_lshrrev_b32_e32 v1, 24, v0
	v_cmpx_ne_u64_e32 0x7f800000, v[2:3]
	s_xor_b32 s28, exec_lo, s10
	s_cbranch_execz .LBB6_18865
; %bb.18852:                            ;   in Loop: Header=BB6_16763 Depth=2
	v_and_b32_e32 v2, 0x7fffffff, v0
	v_mov_b32_e32 v3, v55
	v_and_b32_e32 v5, 0x80, v1
                                        ; implicit-def: $vgpr105
	s_mov_b32 s10, exec_lo
	s_delay_alu instid0(VALU_DEP_2)
	v_cmpx_gt_u64_e32 0x47600001, v[2:3]
	s_xor_b32 s29, exec_lo, s10
	s_cbranch_execz .LBB6_18862
; %bb.18853:                            ;   in Loop: Header=BB6_16763 Depth=2
	v_mov_b32_e32 v105, 0
	s_mov_b32 s40, exec_lo
	v_cmpx_ne_u32_e32 0, v0
	s_cbranch_execz .LBB6_18861
; %bb.18854:                            ;   in Loop: Header=BB6_16763 Depth=2
	v_bfe_u32 v6, v0, 23, 8
	v_or_b32_e32 v1, 0x800000, v54
	s_delay_alu instid0(VALU_DEP_2) | instskip(SKIP_2) | instid1(VALU_DEP_2)
	v_cmp_gt_u32_e64 s10, 0x72, v6
	v_sub_nc_u32_e32 v0, 0x71, v6
	v_cmp_eq_u32_e32 vcc_lo, 0, v6
	v_cndmask_b32_e64 v0, 0, v0, s10
	s_delay_alu instid0(VALU_DEP_1) | instskip(SKIP_1) | instid1(VALU_DEP_2)
	v_cndmask_b32_e64 v7, v0, 0x70, vcc_lo
	v_dual_cndmask_b32 v0, v1, v54 :: v_dual_mov_b32 v1, v55
	v_dual_add_nc_u32 v2, 21, v7 :: v_dual_add_nc_u32 v8, 20, v7
	s_delay_alu instid0(VALU_DEP_1) | instskip(NEXT) | instid1(VALU_DEP_2)
	v_lshlrev_b64_e64 v[2:3], v2, -1
	v_lshlrev_b64_e64 v[8:9], v8, 1
	s_delay_alu instid0(VALU_DEP_2) | instskip(SKIP_1) | instid1(VALU_DEP_4)
	v_bfi_b32 v2, v2, 0, v0
	v_lshrrev_b64 v[0:1], v7, v[0:1]
	v_bfi_b32 v3, v3, 0, 0
	s_delay_alu instid0(VALU_DEP_1) | instskip(NEXT) | instid1(VALU_DEP_3)
	v_cmp_eq_u64_e64 s10, v[2:3], v[8:9]
	v_mov_b64_e32 v[2:3], v[0:1]
	s_and_saveexec_b32 s41, s10
; %bb.18855:                            ;   in Loop: Header=BB6_16763 Depth=2
	v_bfe_u32 v2, v0, 21, 1
	v_mov_b32_e32 v3, v55
	s_delay_alu instid0(VALU_DEP_1) | instskip(NEXT) | instid1(VALU_DEP_1)
	v_add_nc_u64_e32 v[2:3], v[0:1], v[2:3]
	v_add_nc_u64_e32 v[2:3], -1, v[2:3]
; %bb.18856:                            ;   in Loop: Header=BB6_16763 Depth=2
	s_or_b32 exec_lo, exec_lo, s41
	v_add_nc_u32_e32 v1, 0xffffff81, v6
	v_lshrrev_b32_e32 v3, 23, v0
	s_mov_b32 s10, exec_lo
	s_delay_alu instid0(VALU_DEP_2) | instskip(NEXT) | instid1(VALU_DEP_1)
	v_cndmask_b32_e64 v1, v1, 0xffffff82, vcc_lo
	v_add3_u32 v6, v7, v1, v3
	v_and_b32_e32 v1, 0x1fffff, v2
                                        ; implicit-def: $vgpr2
	s_delay_alu instid0(VALU_DEP_1) | instskip(NEXT) | instid1(VALU_DEP_1)
	v_dual_add_nc_u32 v3, 14, v6 :: v_dual_add_nc_u32 v54, v1, v0
                                        ; implicit-def: $vgpr0_vgpr1
	v_cmpx_ne_u32_e32 0, v3
	s_xor_b32 s10, exec_lo, s10
; %bb.18857:                            ;   in Loop: Header=BB6_16763 Depth=2
	s_delay_alu instid0(VALU_DEP_2) | instskip(SKIP_1) | instid1(VALU_DEP_1)
	v_cmp_lt_u64_e32 vcc_lo, 0xffffff, v[54:55]
	v_add_nc_u32_e32 v0, 15, v6
	v_cndmask_b32_e32 v2, v3, v0, vcc_lo
	v_cndmask_b32_e64 v0, 0, 1, vcc_lo
	s_delay_alu instid0(VALU_DEP_1)
	v_lshrrev_b64 v[0:1], v0, v[54:55]
; %bb.18858:                            ;   in Loop: Header=BB6_16763 Depth=2
	s_and_not1_saveexec_b32 s10, s10
; %bb.18859:                            ;   in Loop: Header=BB6_16763 Depth=2
	v_mov_b64_e32 v[0:1], v[54:55]
	v_bfe_u32 v2, v54, 23, 1
; %bb.18860:                            ;   in Loop: Header=BB6_16763 Depth=2
	s_or_b32 exec_lo, exec_lo, s10
	s_delay_alu instid0(VALU_DEP_2) | instskip(NEXT) | instid1(VALU_DEP_2)
	v_lshrrev_b64 v[0:1], 21, v[0:1]
	v_cmp_gt_i32_e32 vcc_lo, 32, v2
	v_min_i32_e32 v3, 31, v2
	v_cmp_eq_u32_e64 s10, 0, v2
	s_delay_alu instid0(VALU_DEP_2) | instskip(SKIP_1) | instid1(VALU_DEP_2)
	v_dual_cndmask_b32 v1, 0, v1, vcc_lo :: v_dual_lshlrev_b32 v3, 2, v3
	v_cndmask_b32_e32 v0, 3, v0, vcc_lo
	v_and_b32_e32 v3, 0xfc, v3
	s_delay_alu instid0(VALU_DEP_2) | instskip(NEXT) | instid1(VALU_DEP_2)
	v_cmp_eq_u64_e32 vcc_lo, 0, v[0:1]
	v_and_or_b32 v0, v0, 3, v3
	s_and_b32 s10, s10, vcc_lo
	s_delay_alu instid0(VALU_DEP_1) | instid1(SALU_CYCLE_1)
	v_cndmask_b32_e64 v0, v0, 0, s10
	s_delay_alu instid0(VALU_DEP_1)
	v_or_b32_e32 v105, v0, v5
.LBB6_18861:                            ;   in Loop: Header=BB6_16763 Depth=2
	s_or_b32 exec_lo, exec_lo, s40
                                        ; implicit-def: $vgpr5
.LBB6_18862:                            ;   in Loop: Header=BB6_16763 Depth=2
	s_and_not1_saveexec_b32 s10, s29
; %bb.18863:                            ;   in Loop: Header=BB6_16763 Depth=2
	v_or_b32_e32 v105, 0x7b, v5
; %bb.18864:                            ;   in Loop: Header=BB6_16763 Depth=2
	s_or_b32 exec_lo, exec_lo, s10
                                        ; implicit-def: $vgpr0
                                        ; implicit-def: $vgpr1
.LBB6_18865:                            ;   in Loop: Header=BB6_16763 Depth=2
	s_and_not1_saveexec_b32 s10, s28
	s_cbranch_execz .LBB6_18871
; %bb.18866:                            ;   in Loop: Header=BB6_16763 Depth=2
	s_mov_b32 s28, exec_lo
                                        ; implicit-def: $vgpr105
	v_cmpx_ne_u64_e32 0, v[54:55]
	s_xor_b32 s28, exec_lo, s28
; %bb.18867:                            ;   in Loop: Header=BB6_16763 Depth=2
	v_or_b32_e32 v105, 0x7f, v1
                                        ; implicit-def: $vgpr0
; %bb.18868:                            ;   in Loop: Header=BB6_16763 Depth=2
	s_and_not1_saveexec_b32 s28, s28
; %bb.18869:                            ;   in Loop: Header=BB6_16763 Depth=2
	v_cmp_lt_i32_e32 vcc_lo, -1, v0
	v_cndmask_b32_e32 v105, 0xfc, v30, vcc_lo
; %bb.18870:                            ;   in Loop: Header=BB6_16763 Depth=2
	s_or_b32 exec_lo, exec_lo, s28
.LBB6_18871:                            ;   in Loop: Header=BB6_16763 Depth=2
	s_delay_alu instid0(SALU_CYCLE_1) | instskip(SKIP_2) | instid1(VALU_DEP_1)
	s_or_b32 exec_lo, exec_lo, s10
	v_dual_mov_b32 v1, 0 :: v_dual_lshrrev_b32 v0, 16, v11
	s_mov_b32 s28, exec_lo
	v_and_b32_e32 v2, 0xff, v0
	s_delay_alu instid0(VALU_DEP_1)
	v_cmpx_ne_u16_e32 0, v2
	s_cbranch_execz .LBB6_18881
; %bb.18872:                            ;   in Loop: Header=BB6_16763 Depth=2
	v_bfrev_b32_e32 v1, 1
	s_mov_b32 s29, exec_lo
	v_cmpx_ne_u16_e32 0x80, v2
	s_cbranch_execz .LBB6_18880
; %bb.18873:                            ;   in Loop: Header=BB6_16763 Depth=2
	v_and_b32_e32 v1, 0x7c0000, v11
	v_bfe_u32 v2, v11, 16, 2
	s_delay_alu instid0(VALU_DEP_2) | instskip(SKIP_1) | instid1(SALU_CYCLE_1)
	v_cmp_ne_u32_e32 vcc_lo, 0x7c0000, v1
                                        ; implicit-def: $vgpr1
	s_and_saveexec_b32 s10, vcc_lo
	s_xor_b32 s10, exec_lo, s10
	s_cbranch_execz .LBB6_18877
; %bb.18874:                            ;   in Loop: Header=BB6_16763 Depth=2
	v_bfe_u32 v1, v11, 18, 5
	s_mov_b32 s40, exec_lo
	s_delay_alu instid0(VALU_DEP_1)
	v_cmpx_eq_u32_e32 0, v1
; %bb.18875:                            ;   in Loop: Header=BB6_16763 Depth=2
	v_clz_i32_u32_e32 v1, v2
	s_delay_alu instid0(VALU_DEP_1) | instskip(NEXT) | instid1(VALU_DEP_1)
	v_min_u32_e32 v1, 32, v1
	v_subrev_nc_u32_e32 v2, 29, v1
	s_delay_alu instid0(VALU_DEP_1) | instskip(NEXT) | instid1(VALU_DEP_1)
	v_lshlrev_b64_e32 v[2:3], v2, v[0:1]
	v_dual_sub_nc_u32 v1, 30, v1 :: v_dual_bitop2_b32 v2, 3, v2 bitop3:0x40
; %bb.18876:                            ;   in Loop: Header=BB6_16763 Depth=2
	s_or_b32 exec_lo, exec_lo, s40
	v_lshlrev_b32_e32 v0, 24, v0
	s_delay_alu instid0(VALU_DEP_1) | instskip(NEXT) | instid1(VALU_DEP_1)
	v_and_b32_e32 v0, 0x80000000, v0
	v_lshl_add_u32 v0, v1, 23, v0
	s_delay_alu instid0(VALU_DEP_1) | instskip(NEXT) | instid1(VALU_DEP_1)
	v_lshl_or_b32 v0, v2, 21, v0
                                        ; implicit-def: $vgpr2
	v_add_nc_u32_e32 v1, 0x38000000, v0
                                        ; implicit-def: $vgpr0
.LBB6_18877:                            ;   in Loop: Header=BB6_16763 Depth=2
	s_and_not1_saveexec_b32 s40, s10
; %bb.18878:                            ;   in Loop: Header=BB6_16763 Depth=2
	v_bfe_i32 v0, v0, 0, 8
	v_cmp_eq_u32_e32 vcc_lo, 0, v2
	s_delay_alu instid0(VALU_DEP_2) | instskip(NEXT) | instid1(VALU_DEP_1)
	v_cmp_lt_i16_e64 s10, -1, v0
	v_cndmask_b32_e64 v0, 0xff800000, v29, s10
	s_delay_alu instid0(VALU_DEP_1)
	v_cndmask_b32_e32 v1, 0x7f800001, v0, vcc_lo
; %bb.18879:                            ;   in Loop: Header=BB6_16763 Depth=2
	s_or_b32 exec_lo, exec_lo, s40
.LBB6_18880:                            ;   in Loop: Header=BB6_16763 Depth=2
	s_delay_alu instid0(SALU_CYCLE_1)
	s_or_b32 exec_lo, exec_lo, s29
.LBB6_18881:                            ;   in Loop: Header=BB6_16763 Depth=2
	s_delay_alu instid0(SALU_CYCLE_1) | instskip(NEXT) | instid1(VALU_DEP_1)
	s_or_b32 exec_lo, exec_lo, s28
	v_dual_mul_f32 v0, s27, v1 :: v_dual_mov_b32 v3, v55
                                        ; implicit-def: $vgpr106
	s_mov_b32 s10, exec_lo
	s_delay_alu instid0(VALU_DEP_1) | instskip(SKIP_2) | instid1(VALU_DEP_3)
	v_and_b32_e32 v2, 0x7f800000, v0
	v_and_b32_e32 v54, 0x7fffff, v0
	v_lshrrev_b32_e32 v1, 24, v0
	v_cmpx_ne_u64_e32 0x7f800000, v[2:3]
	s_xor_b32 s28, exec_lo, s10
	s_cbranch_execz .LBB6_18895
; %bb.18882:                            ;   in Loop: Header=BB6_16763 Depth=2
	v_and_b32_e32 v2, 0x7fffffff, v0
	v_mov_b32_e32 v3, v55
	v_and_b32_e32 v5, 0x80, v1
                                        ; implicit-def: $vgpr106
	s_mov_b32 s10, exec_lo
	s_delay_alu instid0(VALU_DEP_2)
	v_cmpx_gt_u64_e32 0x47600001, v[2:3]
	s_xor_b32 s29, exec_lo, s10
	s_cbranch_execz .LBB6_18892
; %bb.18883:                            ;   in Loop: Header=BB6_16763 Depth=2
	v_mov_b32_e32 v106, 0
	s_mov_b32 s40, exec_lo
	v_cmpx_ne_u32_e32 0, v0
	s_cbranch_execz .LBB6_18891
; %bb.18884:                            ;   in Loop: Header=BB6_16763 Depth=2
	v_bfe_u32 v6, v0, 23, 8
	v_or_b32_e32 v1, 0x800000, v54
	s_delay_alu instid0(VALU_DEP_2) | instskip(SKIP_2) | instid1(VALU_DEP_2)
	v_cmp_gt_u32_e64 s10, 0x72, v6
	v_sub_nc_u32_e32 v0, 0x71, v6
	v_cmp_eq_u32_e32 vcc_lo, 0, v6
	v_cndmask_b32_e64 v0, 0, v0, s10
	s_delay_alu instid0(VALU_DEP_1) | instskip(SKIP_1) | instid1(VALU_DEP_2)
	v_cndmask_b32_e64 v7, v0, 0x70, vcc_lo
	v_dual_cndmask_b32 v0, v1, v54 :: v_dual_mov_b32 v1, v55
	v_dual_add_nc_u32 v2, 21, v7 :: v_dual_add_nc_u32 v8, 20, v7
	s_delay_alu instid0(VALU_DEP_1) | instskip(NEXT) | instid1(VALU_DEP_2)
	v_lshlrev_b64_e64 v[2:3], v2, -1
	v_lshlrev_b64_e64 v[8:9], v8, 1
	s_delay_alu instid0(VALU_DEP_2) | instskip(SKIP_1) | instid1(VALU_DEP_4)
	v_bfi_b32 v2, v2, 0, v0
	v_lshrrev_b64 v[0:1], v7, v[0:1]
	v_bfi_b32 v3, v3, 0, 0
	s_delay_alu instid0(VALU_DEP_1) | instskip(NEXT) | instid1(VALU_DEP_3)
	v_cmp_eq_u64_e64 s10, v[2:3], v[8:9]
	v_mov_b64_e32 v[2:3], v[0:1]
	s_and_saveexec_b32 s41, s10
; %bb.18885:                            ;   in Loop: Header=BB6_16763 Depth=2
	v_bfe_u32 v2, v0, 21, 1
	v_mov_b32_e32 v3, v55
	s_delay_alu instid0(VALU_DEP_1) | instskip(NEXT) | instid1(VALU_DEP_1)
	v_add_nc_u64_e32 v[2:3], v[0:1], v[2:3]
	v_add_nc_u64_e32 v[2:3], -1, v[2:3]
; %bb.18886:                            ;   in Loop: Header=BB6_16763 Depth=2
	s_or_b32 exec_lo, exec_lo, s41
	v_add_nc_u32_e32 v1, 0xffffff81, v6
	v_lshrrev_b32_e32 v3, 23, v0
	s_mov_b32 s10, exec_lo
	s_delay_alu instid0(VALU_DEP_2) | instskip(NEXT) | instid1(VALU_DEP_1)
	v_cndmask_b32_e64 v1, v1, 0xffffff82, vcc_lo
	v_add3_u32 v6, v7, v1, v3
	v_and_b32_e32 v1, 0x1fffff, v2
                                        ; implicit-def: $vgpr2
	s_delay_alu instid0(VALU_DEP_1) | instskip(NEXT) | instid1(VALU_DEP_1)
	v_dual_add_nc_u32 v3, 14, v6 :: v_dual_add_nc_u32 v54, v1, v0
                                        ; implicit-def: $vgpr0_vgpr1
	v_cmpx_ne_u32_e32 0, v3
	s_xor_b32 s10, exec_lo, s10
; %bb.18887:                            ;   in Loop: Header=BB6_16763 Depth=2
	s_delay_alu instid0(VALU_DEP_2) | instskip(SKIP_1) | instid1(VALU_DEP_1)
	v_cmp_lt_u64_e32 vcc_lo, 0xffffff, v[54:55]
	v_add_nc_u32_e32 v0, 15, v6
	v_cndmask_b32_e32 v2, v3, v0, vcc_lo
	v_cndmask_b32_e64 v0, 0, 1, vcc_lo
	s_delay_alu instid0(VALU_DEP_1)
	v_lshrrev_b64 v[0:1], v0, v[54:55]
; %bb.18888:                            ;   in Loop: Header=BB6_16763 Depth=2
	s_and_not1_saveexec_b32 s10, s10
; %bb.18889:                            ;   in Loop: Header=BB6_16763 Depth=2
	v_mov_b64_e32 v[0:1], v[54:55]
	v_bfe_u32 v2, v54, 23, 1
; %bb.18890:                            ;   in Loop: Header=BB6_16763 Depth=2
	s_or_b32 exec_lo, exec_lo, s10
	s_delay_alu instid0(VALU_DEP_2) | instskip(NEXT) | instid1(VALU_DEP_2)
	v_lshrrev_b64 v[0:1], 21, v[0:1]
	v_cmp_gt_i32_e32 vcc_lo, 32, v2
	v_min_i32_e32 v3, 31, v2
	v_cmp_eq_u32_e64 s10, 0, v2
	s_delay_alu instid0(VALU_DEP_2) | instskip(SKIP_1) | instid1(VALU_DEP_2)
	v_dual_cndmask_b32 v1, 0, v1, vcc_lo :: v_dual_lshlrev_b32 v3, 2, v3
	v_cndmask_b32_e32 v0, 3, v0, vcc_lo
	v_and_b32_e32 v3, 0xfc, v3
	s_delay_alu instid0(VALU_DEP_2) | instskip(NEXT) | instid1(VALU_DEP_2)
	v_cmp_eq_u64_e32 vcc_lo, 0, v[0:1]
	v_and_or_b32 v0, v0, 3, v3
	s_and_b32 s10, s10, vcc_lo
	s_delay_alu instid0(VALU_DEP_1) | instid1(SALU_CYCLE_1)
	v_cndmask_b32_e64 v0, v0, 0, s10
	s_delay_alu instid0(VALU_DEP_1)
	v_or_b32_e32 v106, v0, v5
.LBB6_18891:                            ;   in Loop: Header=BB6_16763 Depth=2
	s_or_b32 exec_lo, exec_lo, s40
                                        ; implicit-def: $vgpr5
.LBB6_18892:                            ;   in Loop: Header=BB6_16763 Depth=2
	s_and_not1_saveexec_b32 s10, s29
; %bb.18893:                            ;   in Loop: Header=BB6_16763 Depth=2
	v_or_b32_e32 v106, 0x7b, v5
; %bb.18894:                            ;   in Loop: Header=BB6_16763 Depth=2
	s_or_b32 exec_lo, exec_lo, s10
                                        ; implicit-def: $vgpr0
                                        ; implicit-def: $vgpr1
.LBB6_18895:                            ;   in Loop: Header=BB6_16763 Depth=2
	s_and_not1_saveexec_b32 s10, s28
	s_cbranch_execz .LBB6_18901
; %bb.18896:                            ;   in Loop: Header=BB6_16763 Depth=2
	s_mov_b32 s28, exec_lo
                                        ; implicit-def: $vgpr106
	v_cmpx_ne_u64_e32 0, v[54:55]
	s_xor_b32 s28, exec_lo, s28
; %bb.18897:                            ;   in Loop: Header=BB6_16763 Depth=2
	v_or_b32_e32 v106, 0x7f, v1
                                        ; implicit-def: $vgpr0
; %bb.18898:                            ;   in Loop: Header=BB6_16763 Depth=2
	s_and_not1_saveexec_b32 s28, s28
; %bb.18899:                            ;   in Loop: Header=BB6_16763 Depth=2
	v_cmp_lt_i32_e32 vcc_lo, -1, v0
	v_cndmask_b32_e32 v106, 0xfc, v30, vcc_lo
; %bb.18900:                            ;   in Loop: Header=BB6_16763 Depth=2
	s_or_b32 exec_lo, exec_lo, s28
.LBB6_18901:                            ;   in Loop: Header=BB6_16763 Depth=2
	s_delay_alu instid0(SALU_CYCLE_1)
	s_or_b32 exec_lo, exec_lo, s10
	v_mov_b32_e32 v1, 0
	s_mov_b32 s28, exec_lo
	v_cmpx_lt_u64_e64 s[12:13], v[10:11]
	s_cbranch_execz .LBB6_18911
; %bb.18902:                            ;   in Loop: Header=BB6_16763 Depth=2
	v_lshrrev_b32_e32 v0, 24, v11
	v_bfrev_b32_e32 v1, 1
	s_mov_b32 s29, exec_lo
	s_delay_alu instid0(VALU_DEP_2)
	v_cmpx_ne_u32_e32 0x80, v0
	s_cbranch_execz .LBB6_18910
; %bb.18903:                            ;   in Loop: Header=BB6_16763 Depth=2
	v_and_b32_e32 v1, 0x7c000000, v11
	v_bfe_u32 v2, v11, 24, 2
	s_delay_alu instid0(VALU_DEP_2) | instskip(SKIP_1) | instid1(SALU_CYCLE_1)
	v_cmp_ne_u32_e32 vcc_lo, 0x7c000000, v1
                                        ; implicit-def: $vgpr1
	s_and_saveexec_b32 s10, vcc_lo
	s_xor_b32 s10, exec_lo, s10
	s_cbranch_execz .LBB6_18907
; %bb.18904:                            ;   in Loop: Header=BB6_16763 Depth=2
	v_bfe_u32 v1, v11, 26, 5
	s_mov_b32 s40, exec_lo
	s_delay_alu instid0(VALU_DEP_1)
	v_cmpx_eq_u32_e32 0, v1
; %bb.18905:                            ;   in Loop: Header=BB6_16763 Depth=2
	v_clz_i32_u32_e32 v1, v2
	s_delay_alu instid0(VALU_DEP_1) | instskip(NEXT) | instid1(VALU_DEP_1)
	v_min_u32_e32 v2, 32, v1
	v_subrev_nc_u32_e32 v1, 29, v2
	s_delay_alu instid0(VALU_DEP_1) | instskip(NEXT) | instid1(VALU_DEP_1)
	v_lshlrev_b64_e32 v[0:1], v1, v[0:1]
	v_dual_sub_nc_u32 v1, 30, v2 :: v_dual_bitop2_b32 v2, 3, v0 bitop3:0x40
; %bb.18906:                            ;   in Loop: Header=BB6_16763 Depth=2
	s_or_b32 exec_lo, exec_lo, s40
	v_and_b32_e32 v0, 0x80000000, v11
	s_delay_alu instid0(VALU_DEP_1) | instskip(NEXT) | instid1(VALU_DEP_1)
	v_lshl_add_u32 v0, v1, 23, v0
	v_lshl_or_b32 v0, v2, 21, v0
                                        ; implicit-def: $vgpr2
	s_delay_alu instid0(VALU_DEP_1)
	v_add_nc_u32_e32 v1, 0x38000000, v0
.LBB6_18907:                            ;   in Loop: Header=BB6_16763 Depth=2
	s_and_not1_saveexec_b32 s40, s10
; %bb.18908:                            ;   in Loop: Header=BB6_16763 Depth=2
	v_cmp_lt_i64_e64 s10, -1, v[10:11]
	v_cmp_eq_u32_e32 vcc_lo, 0, v2
	s_delay_alu instid0(VALU_DEP_2) | instskip(NEXT) | instid1(VALU_DEP_1)
	v_cndmask_b32_e64 v0, 0xff800000, v29, s10
	v_cndmask_b32_e32 v1, 0x7f800001, v0, vcc_lo
; %bb.18909:                            ;   in Loop: Header=BB6_16763 Depth=2
	s_or_b32 exec_lo, exec_lo, s40
.LBB6_18910:                            ;   in Loop: Header=BB6_16763 Depth=2
	s_delay_alu instid0(SALU_CYCLE_1)
	s_or_b32 exec_lo, exec_lo, s29
.LBB6_18911:                            ;   in Loop: Header=BB6_16763 Depth=2
	s_delay_alu instid0(SALU_CYCLE_1) | instskip(NEXT) | instid1(VALU_DEP_1)
	s_or_b32 exec_lo, exec_lo, s28
	v_dual_mul_f32 v0, s27, v1 :: v_dual_mov_b32 v3, v55
                                        ; implicit-def: $vgpr107
	s_mov_b32 s10, exec_lo
	s_delay_alu instid0(VALU_DEP_1) | instskip(SKIP_2) | instid1(VALU_DEP_3)
	v_and_b32_e32 v2, 0x7f800000, v0
	v_and_b32_e32 v54, 0x7fffff, v0
	v_lshrrev_b32_e32 v1, 24, v0
	v_cmpx_ne_u64_e32 0x7f800000, v[2:3]
	s_xor_b32 s28, exec_lo, s10
	s_cbranch_execz .LBB6_18925
; %bb.18912:                            ;   in Loop: Header=BB6_16763 Depth=2
	v_and_b32_e32 v2, 0x7fffffff, v0
	v_mov_b32_e32 v3, v55
	v_and_b32_e32 v5, 0x80, v1
                                        ; implicit-def: $vgpr107
	s_mov_b32 s10, exec_lo
	s_delay_alu instid0(VALU_DEP_2)
	v_cmpx_gt_u64_e32 0x47600001, v[2:3]
	s_xor_b32 s29, exec_lo, s10
	s_cbranch_execz .LBB6_18922
; %bb.18913:                            ;   in Loop: Header=BB6_16763 Depth=2
	v_mov_b32_e32 v107, 0
	s_mov_b32 s40, exec_lo
	v_cmpx_ne_u32_e32 0, v0
	s_cbranch_execz .LBB6_18921
; %bb.18914:                            ;   in Loop: Header=BB6_16763 Depth=2
	v_bfe_u32 v6, v0, 23, 8
	v_or_b32_e32 v1, 0x800000, v54
	s_delay_alu instid0(VALU_DEP_2) | instskip(SKIP_2) | instid1(VALU_DEP_2)
	v_cmp_gt_u32_e64 s10, 0x72, v6
	v_sub_nc_u32_e32 v0, 0x71, v6
	v_cmp_eq_u32_e32 vcc_lo, 0, v6
	v_cndmask_b32_e64 v0, 0, v0, s10
	s_delay_alu instid0(VALU_DEP_1) | instskip(SKIP_1) | instid1(VALU_DEP_2)
	v_cndmask_b32_e64 v7, v0, 0x70, vcc_lo
	v_dual_cndmask_b32 v0, v1, v54 :: v_dual_mov_b32 v1, v55
	v_dual_add_nc_u32 v2, 21, v7 :: v_dual_add_nc_u32 v8, 20, v7
	s_delay_alu instid0(VALU_DEP_1) | instskip(NEXT) | instid1(VALU_DEP_2)
	v_lshlrev_b64_e64 v[2:3], v2, -1
	v_lshlrev_b64_e64 v[8:9], v8, 1
	s_delay_alu instid0(VALU_DEP_2) | instskip(SKIP_1) | instid1(VALU_DEP_4)
	v_bfi_b32 v2, v2, 0, v0
	v_lshrrev_b64 v[0:1], v7, v[0:1]
	v_bfi_b32 v3, v3, 0, 0
	s_delay_alu instid0(VALU_DEP_1) | instskip(NEXT) | instid1(VALU_DEP_3)
	v_cmp_eq_u64_e64 s10, v[2:3], v[8:9]
	v_mov_b64_e32 v[2:3], v[0:1]
	s_and_saveexec_b32 s41, s10
; %bb.18915:                            ;   in Loop: Header=BB6_16763 Depth=2
	v_bfe_u32 v2, v0, 21, 1
	v_mov_b32_e32 v3, v55
	s_delay_alu instid0(VALU_DEP_1) | instskip(NEXT) | instid1(VALU_DEP_1)
	v_add_nc_u64_e32 v[2:3], v[0:1], v[2:3]
	v_add_nc_u64_e32 v[2:3], -1, v[2:3]
; %bb.18916:                            ;   in Loop: Header=BB6_16763 Depth=2
	s_or_b32 exec_lo, exec_lo, s41
	v_add_nc_u32_e32 v1, 0xffffff81, v6
	v_lshrrev_b32_e32 v3, 23, v0
	s_mov_b32 s10, exec_lo
	s_delay_alu instid0(VALU_DEP_2) | instskip(NEXT) | instid1(VALU_DEP_1)
	v_cndmask_b32_e64 v1, v1, 0xffffff82, vcc_lo
	v_add3_u32 v6, v7, v1, v3
	v_and_b32_e32 v1, 0x1fffff, v2
                                        ; implicit-def: $vgpr2
	s_delay_alu instid0(VALU_DEP_1) | instskip(NEXT) | instid1(VALU_DEP_1)
	v_dual_add_nc_u32 v3, 14, v6 :: v_dual_add_nc_u32 v54, v1, v0
                                        ; implicit-def: $vgpr0_vgpr1
	v_cmpx_ne_u32_e32 0, v3
	s_xor_b32 s10, exec_lo, s10
; %bb.18917:                            ;   in Loop: Header=BB6_16763 Depth=2
	s_delay_alu instid0(VALU_DEP_2) | instskip(SKIP_1) | instid1(VALU_DEP_1)
	v_cmp_lt_u64_e32 vcc_lo, 0xffffff, v[54:55]
	v_add_nc_u32_e32 v0, 15, v6
	v_cndmask_b32_e32 v2, v3, v0, vcc_lo
	v_cndmask_b32_e64 v0, 0, 1, vcc_lo
	s_delay_alu instid0(VALU_DEP_1)
	v_lshrrev_b64 v[0:1], v0, v[54:55]
; %bb.18918:                            ;   in Loop: Header=BB6_16763 Depth=2
	s_and_not1_saveexec_b32 s10, s10
; %bb.18919:                            ;   in Loop: Header=BB6_16763 Depth=2
	v_mov_b64_e32 v[0:1], v[54:55]
	v_bfe_u32 v2, v54, 23, 1
; %bb.18920:                            ;   in Loop: Header=BB6_16763 Depth=2
	s_or_b32 exec_lo, exec_lo, s10
	s_delay_alu instid0(VALU_DEP_2) | instskip(NEXT) | instid1(VALU_DEP_2)
	v_lshrrev_b64 v[0:1], 21, v[0:1]
	v_cmp_gt_i32_e32 vcc_lo, 32, v2
	v_min_i32_e32 v3, 31, v2
	v_cmp_eq_u32_e64 s10, 0, v2
	s_delay_alu instid0(VALU_DEP_2) | instskip(SKIP_1) | instid1(VALU_DEP_2)
	v_dual_cndmask_b32 v1, 0, v1, vcc_lo :: v_dual_lshlrev_b32 v3, 2, v3
	v_cndmask_b32_e32 v0, 3, v0, vcc_lo
	v_and_b32_e32 v3, 0xfc, v3
	s_delay_alu instid0(VALU_DEP_2) | instskip(NEXT) | instid1(VALU_DEP_2)
	v_cmp_eq_u64_e32 vcc_lo, 0, v[0:1]
	v_and_or_b32 v0, v0, 3, v3
	s_and_b32 s10, s10, vcc_lo
	s_delay_alu instid0(VALU_DEP_1) | instid1(SALU_CYCLE_1)
	v_cndmask_b32_e64 v0, v0, 0, s10
	s_delay_alu instid0(VALU_DEP_1)
	v_or_b32_e32 v107, v0, v5
.LBB6_18921:                            ;   in Loop: Header=BB6_16763 Depth=2
	s_or_b32 exec_lo, exec_lo, s40
                                        ; implicit-def: $vgpr5
.LBB6_18922:                            ;   in Loop: Header=BB6_16763 Depth=2
	s_and_not1_saveexec_b32 s10, s29
; %bb.18923:                            ;   in Loop: Header=BB6_16763 Depth=2
	v_or_b32_e32 v107, 0x7b, v5
; %bb.18924:                            ;   in Loop: Header=BB6_16763 Depth=2
	s_or_b32 exec_lo, exec_lo, s10
                                        ; implicit-def: $vgpr0
                                        ; implicit-def: $vgpr1
.LBB6_18925:                            ;   in Loop: Header=BB6_16763 Depth=2
	s_and_not1_saveexec_b32 s10, s28
	s_cbranch_execz .LBB6_18931
; %bb.18926:                            ;   in Loop: Header=BB6_16763 Depth=2
	s_mov_b32 s28, exec_lo
                                        ; implicit-def: $vgpr107
	v_cmpx_ne_u64_e32 0, v[54:55]
	s_xor_b32 s28, exec_lo, s28
; %bb.18927:                            ;   in Loop: Header=BB6_16763 Depth=2
	v_or_b32_e32 v107, 0x7f, v1
                                        ; implicit-def: $vgpr0
; %bb.18928:                            ;   in Loop: Header=BB6_16763 Depth=2
	s_and_not1_saveexec_b32 s28, s28
; %bb.18929:                            ;   in Loop: Header=BB6_16763 Depth=2
	v_cmp_lt_i32_e32 vcc_lo, -1, v0
	v_cndmask_b32_e32 v107, 0xfc, v30, vcc_lo
; %bb.18930:                            ;   in Loop: Header=BB6_16763 Depth=2
	s_or_b32 exec_lo, exec_lo, s28
.LBB6_18931:                            ;   in Loop: Header=BB6_16763 Depth=2
	s_delay_alu instid0(SALU_CYCLE_1) | instskip(SKIP_1) | instid1(VALU_DEP_1)
	s_or_b32 exec_lo, exec_lo, s10
	v_and_b32_e32 v0, 0xff, v12
	v_cmp_ne_u16_e32 vcc_lo, 0, v0
	v_mov_b32_e32 v0, 0
	s_and_saveexec_b32 s28, vcc_lo
	s_cbranch_execz .LBB6_18941
; %bb.18932:                            ;   in Loop: Header=BB6_16763 Depth=2
	v_bfe_i32 v2, v12, 0, 8
	v_bfrev_b32_e32 v0, 1
	s_mov_b32 s29, exec_lo
	s_delay_alu instid0(VALU_DEP_2)
	v_cmpx_ne_u16_e32 0xff80, v2
	s_cbranch_execz .LBB6_18940
; %bb.18933:                            ;   in Loop: Header=BB6_16763 Depth=2
	v_and_b32_e32 v0, 0x7c, v12
	v_and_b32_e32 v1, 3, v12
	s_delay_alu instid0(VALU_DEP_2) | instskip(SKIP_1) | instid1(SALU_CYCLE_1)
	v_cmp_ne_u32_e32 vcc_lo, 0x7c, v0
                                        ; implicit-def: $vgpr0
	s_and_saveexec_b32 s10, vcc_lo
	s_xor_b32 s10, exec_lo, s10
	s_cbranch_execz .LBB6_18937
; %bb.18934:                            ;   in Loop: Header=BB6_16763 Depth=2
	v_bfe_u32 v0, v12, 2, 5
	s_mov_b32 s40, exec_lo
	s_delay_alu instid0(VALU_DEP_1)
	v_cmpx_eq_u32_e32 0, v0
; %bb.18935:                            ;   in Loop: Header=BB6_16763 Depth=2
	v_clz_i32_u32_e32 v0, v1
	s_delay_alu instid0(VALU_DEP_1) | instskip(NEXT) | instid1(VALU_DEP_1)
	v_min_u32_e32 v0, 32, v0
	v_subrev_nc_u32_e32 v1, 29, v0
	s_delay_alu instid0(VALU_DEP_1) | instskip(NEXT) | instid1(VALU_DEP_1)
	v_lshlrev_b64_e32 v[2:3], v1, v[12:13]
	v_dual_sub_nc_u32 v0, 30, v0 :: v_dual_bitop2_b32 v1, 3, v2 bitop3:0x40
; %bb.18936:                            ;   in Loop: Header=BB6_16763 Depth=2
	s_or_b32 exec_lo, exec_lo, s40
	v_lshlrev_b32_e32 v2, 24, v12
	s_delay_alu instid0(VALU_DEP_1) | instskip(NEXT) | instid1(VALU_DEP_1)
	v_and_b32_e32 v2, 0x80000000, v2
	v_lshl_add_u32 v0, v0, 23, v2
                                        ; implicit-def: $vgpr2
	s_delay_alu instid0(VALU_DEP_1) | instskip(NEXT) | instid1(VALU_DEP_1)
	v_lshl_or_b32 v0, v1, 21, v0
                                        ; implicit-def: $vgpr1
	v_add_nc_u32_e32 v0, 0x38000000, v0
.LBB6_18937:                            ;   in Loop: Header=BB6_16763 Depth=2
	s_and_not1_saveexec_b32 s40, s10
; %bb.18938:                            ;   in Loop: Header=BB6_16763 Depth=2
	v_cmp_lt_i16_e64 s10, -1, v2
	v_cmp_eq_u32_e32 vcc_lo, 0, v1
	s_delay_alu instid0(VALU_DEP_2) | instskip(NEXT) | instid1(VALU_DEP_1)
	v_cndmask_b32_e64 v0, 0xff800000, v29, s10
	v_cndmask_b32_e32 v0, 0x7f800001, v0, vcc_lo
; %bb.18939:                            ;   in Loop: Header=BB6_16763 Depth=2
	s_or_b32 exec_lo, exec_lo, s40
.LBB6_18940:                            ;   in Loop: Header=BB6_16763 Depth=2
	s_delay_alu instid0(SALU_CYCLE_1)
	s_or_b32 exec_lo, exec_lo, s29
.LBB6_18941:                            ;   in Loop: Header=BB6_16763 Depth=2
	s_delay_alu instid0(SALU_CYCLE_1) | instskip(NEXT) | instid1(VALU_DEP_1)
	s_or_b32 exec_lo, exec_lo, s28
	v_dual_mul_f32 v0, s27, v0 :: v_dual_mov_b32 v3, v55
                                        ; implicit-def: $vgpr108
	s_mov_b32 s10, exec_lo
	s_delay_alu instid0(VALU_DEP_1) | instskip(SKIP_2) | instid1(VALU_DEP_3)
	v_and_b32_e32 v2, 0x7f800000, v0
	v_and_b32_e32 v54, 0x7fffff, v0
	v_lshrrev_b32_e32 v1, 24, v0
	v_cmpx_ne_u64_e32 0x7f800000, v[2:3]
	s_xor_b32 s28, exec_lo, s10
	s_cbranch_execz .LBB6_18955
; %bb.18942:                            ;   in Loop: Header=BB6_16763 Depth=2
	v_and_b32_e32 v2, 0x7fffffff, v0
	v_mov_b32_e32 v3, v55
	v_and_b32_e32 v5, 0x80, v1
                                        ; implicit-def: $vgpr108
	s_mov_b32 s10, exec_lo
	s_delay_alu instid0(VALU_DEP_2)
	v_cmpx_gt_u64_e32 0x47600001, v[2:3]
	s_xor_b32 s29, exec_lo, s10
	s_cbranch_execz .LBB6_18952
; %bb.18943:                            ;   in Loop: Header=BB6_16763 Depth=2
	v_mov_b32_e32 v108, 0
	s_mov_b32 s40, exec_lo
	v_cmpx_ne_u32_e32 0, v0
	s_cbranch_execz .LBB6_18951
; %bb.18944:                            ;   in Loop: Header=BB6_16763 Depth=2
	v_bfe_u32 v6, v0, 23, 8
	v_or_b32_e32 v1, 0x800000, v54
	s_delay_alu instid0(VALU_DEP_2) | instskip(SKIP_2) | instid1(VALU_DEP_2)
	v_cmp_gt_u32_e64 s10, 0x72, v6
	v_sub_nc_u32_e32 v0, 0x71, v6
	v_cmp_eq_u32_e32 vcc_lo, 0, v6
	v_cndmask_b32_e64 v0, 0, v0, s10
	s_delay_alu instid0(VALU_DEP_1) | instskip(SKIP_1) | instid1(VALU_DEP_2)
	v_cndmask_b32_e64 v7, v0, 0x70, vcc_lo
	v_dual_cndmask_b32 v0, v1, v54 :: v_dual_mov_b32 v1, v55
	v_dual_add_nc_u32 v2, 21, v7 :: v_dual_add_nc_u32 v8, 20, v7
	s_delay_alu instid0(VALU_DEP_1) | instskip(NEXT) | instid1(VALU_DEP_2)
	v_lshlrev_b64_e64 v[2:3], v2, -1
	v_lshlrev_b64_e64 v[8:9], v8, 1
	s_delay_alu instid0(VALU_DEP_2) | instskip(SKIP_1) | instid1(VALU_DEP_4)
	v_bfi_b32 v2, v2, 0, v0
	v_lshrrev_b64 v[0:1], v7, v[0:1]
	v_bfi_b32 v3, v3, 0, 0
	s_delay_alu instid0(VALU_DEP_1) | instskip(NEXT) | instid1(VALU_DEP_3)
	v_cmp_eq_u64_e64 s10, v[2:3], v[8:9]
	v_mov_b64_e32 v[2:3], v[0:1]
	s_and_saveexec_b32 s41, s10
; %bb.18945:                            ;   in Loop: Header=BB6_16763 Depth=2
	v_bfe_u32 v2, v0, 21, 1
	v_mov_b32_e32 v3, v55
	s_delay_alu instid0(VALU_DEP_1) | instskip(NEXT) | instid1(VALU_DEP_1)
	v_add_nc_u64_e32 v[2:3], v[0:1], v[2:3]
	v_add_nc_u64_e32 v[2:3], -1, v[2:3]
; %bb.18946:                            ;   in Loop: Header=BB6_16763 Depth=2
	s_or_b32 exec_lo, exec_lo, s41
	v_add_nc_u32_e32 v1, 0xffffff81, v6
	v_lshrrev_b32_e32 v3, 23, v0
	s_mov_b32 s10, exec_lo
	s_delay_alu instid0(VALU_DEP_2) | instskip(NEXT) | instid1(VALU_DEP_1)
	v_cndmask_b32_e64 v1, v1, 0xffffff82, vcc_lo
	v_add3_u32 v6, v7, v1, v3
	v_and_b32_e32 v1, 0x1fffff, v2
                                        ; implicit-def: $vgpr2
	s_delay_alu instid0(VALU_DEP_1) | instskip(NEXT) | instid1(VALU_DEP_1)
	v_dual_add_nc_u32 v3, 14, v6 :: v_dual_add_nc_u32 v54, v1, v0
                                        ; implicit-def: $vgpr0_vgpr1
	v_cmpx_ne_u32_e32 0, v3
	s_xor_b32 s10, exec_lo, s10
; %bb.18947:                            ;   in Loop: Header=BB6_16763 Depth=2
	s_delay_alu instid0(VALU_DEP_2) | instskip(SKIP_1) | instid1(VALU_DEP_1)
	v_cmp_lt_u64_e32 vcc_lo, 0xffffff, v[54:55]
	v_add_nc_u32_e32 v0, 15, v6
	v_cndmask_b32_e32 v2, v3, v0, vcc_lo
	v_cndmask_b32_e64 v0, 0, 1, vcc_lo
	s_delay_alu instid0(VALU_DEP_1)
	v_lshrrev_b64 v[0:1], v0, v[54:55]
; %bb.18948:                            ;   in Loop: Header=BB6_16763 Depth=2
	s_and_not1_saveexec_b32 s10, s10
; %bb.18949:                            ;   in Loop: Header=BB6_16763 Depth=2
	v_mov_b64_e32 v[0:1], v[54:55]
	v_bfe_u32 v2, v54, 23, 1
; %bb.18950:                            ;   in Loop: Header=BB6_16763 Depth=2
	s_or_b32 exec_lo, exec_lo, s10
	s_delay_alu instid0(VALU_DEP_2) | instskip(NEXT) | instid1(VALU_DEP_2)
	v_lshrrev_b64 v[0:1], 21, v[0:1]
	v_cmp_gt_i32_e32 vcc_lo, 32, v2
	v_min_i32_e32 v3, 31, v2
	v_cmp_eq_u32_e64 s10, 0, v2
	s_delay_alu instid0(VALU_DEP_2) | instskip(SKIP_1) | instid1(VALU_DEP_2)
	v_dual_cndmask_b32 v1, 0, v1, vcc_lo :: v_dual_lshlrev_b32 v3, 2, v3
	v_cndmask_b32_e32 v0, 3, v0, vcc_lo
	v_and_b32_e32 v3, 0xfc, v3
	s_delay_alu instid0(VALU_DEP_2) | instskip(NEXT) | instid1(VALU_DEP_2)
	v_cmp_eq_u64_e32 vcc_lo, 0, v[0:1]
	v_and_or_b32 v0, v0, 3, v3
	s_and_b32 s10, s10, vcc_lo
	s_delay_alu instid0(VALU_DEP_1) | instid1(SALU_CYCLE_1)
	v_cndmask_b32_e64 v0, v0, 0, s10
	s_delay_alu instid0(VALU_DEP_1)
	v_or_b32_e32 v108, v0, v5
.LBB6_18951:                            ;   in Loop: Header=BB6_16763 Depth=2
	s_or_b32 exec_lo, exec_lo, s40
                                        ; implicit-def: $vgpr5
.LBB6_18952:                            ;   in Loop: Header=BB6_16763 Depth=2
	s_and_not1_saveexec_b32 s10, s29
; %bb.18953:                            ;   in Loop: Header=BB6_16763 Depth=2
	v_or_b32_e32 v108, 0x7b, v5
; %bb.18954:                            ;   in Loop: Header=BB6_16763 Depth=2
	s_or_b32 exec_lo, exec_lo, s10
                                        ; implicit-def: $vgpr0
                                        ; implicit-def: $vgpr1
.LBB6_18955:                            ;   in Loop: Header=BB6_16763 Depth=2
	s_and_not1_saveexec_b32 s10, s28
	s_cbranch_execz .LBB6_18961
; %bb.18956:                            ;   in Loop: Header=BB6_16763 Depth=2
	s_mov_b32 s28, exec_lo
                                        ; implicit-def: $vgpr108
	v_cmpx_ne_u64_e32 0, v[54:55]
	s_xor_b32 s28, exec_lo, s28
; %bb.18957:                            ;   in Loop: Header=BB6_16763 Depth=2
	v_or_b32_e32 v108, 0x7f, v1
                                        ; implicit-def: $vgpr0
; %bb.18958:                            ;   in Loop: Header=BB6_16763 Depth=2
	s_and_not1_saveexec_b32 s28, s28
; %bb.18959:                            ;   in Loop: Header=BB6_16763 Depth=2
	v_cmp_lt_i32_e32 vcc_lo, -1, v0
	v_cndmask_b32_e32 v108, 0xfc, v30, vcc_lo
; %bb.18960:                            ;   in Loop: Header=BB6_16763 Depth=2
	s_or_b32 exec_lo, exec_lo, s28
.LBB6_18961:                            ;   in Loop: Header=BB6_16763 Depth=2
	s_delay_alu instid0(SALU_CYCLE_1) | instskip(SKIP_3) | instid1(VALU_DEP_2)
	s_or_b32 exec_lo, exec_lo, s10
	v_lshrrev_b16 v0, 8, v12
	v_mov_b32_e32 v1, 0
	s_mov_b32 s28, exec_lo
	v_cmpx_ne_u16_e32 0, v0
	s_cbranch_execz .LBB6_18971
; %bb.18962:                            ;   in Loop: Header=BB6_16763 Depth=2
	v_bfrev_b32_e32 v1, 1
	s_mov_b32 s29, exec_lo
	v_cmpx_ne_u16_e32 0x80, v0
	s_cbranch_execz .LBB6_18970
; %bb.18963:                            ;   in Loop: Header=BB6_16763 Depth=2
	v_and_b32_e32 v3, 0xffff, v0
	s_delay_alu instid0(VALU_DEP_1) | instskip(SKIP_1) | instid1(VALU_DEP_2)
	v_and_b32_e32 v1, 0x7c, v3
	v_and_b32_e32 v2, 3, v3
	v_cmp_ne_u32_e32 vcc_lo, 0x7c, v1
                                        ; implicit-def: $vgpr1
	s_and_saveexec_b32 s10, vcc_lo
	s_delay_alu instid0(SALU_CYCLE_1)
	s_xor_b32 s10, exec_lo, s10
	s_cbranch_execz .LBB6_18967
; %bb.18964:                            ;   in Loop: Header=BB6_16763 Depth=2
	v_bfe_u32 v1, v3, 2, 5
	s_mov_b32 s40, exec_lo
	s_delay_alu instid0(VALU_DEP_1)
	v_cmpx_eq_u32_e32 0, v1
; %bb.18965:                            ;   in Loop: Header=BB6_16763 Depth=2
	v_clz_i32_u32_e32 v1, v2
	s_delay_alu instid0(VALU_DEP_1) | instskip(SKIP_1) | instid1(VALU_DEP_2)
	v_min_u32_e32 v2, 32, v1
	v_mov_b32_e32 v1, v55
	v_subrev_nc_u32_e32 v3, 29, v2
	s_delay_alu instid0(VALU_DEP_1) | instskip(NEXT) | instid1(VALU_DEP_1)
	v_lshlrev_b64_e32 v[0:1], v3, v[0:1]
	v_dual_sub_nc_u32 v1, 30, v2 :: v_dual_bitop2_b32 v2, 3, v0 bitop3:0x40
; %bb.18966:                            ;   in Loop: Header=BB6_16763 Depth=2
	s_or_b32 exec_lo, exec_lo, s40
	v_lshlrev_b32_e32 v0, 16, v12
	s_delay_alu instid0(VALU_DEP_1) | instskip(NEXT) | instid1(VALU_DEP_1)
	v_and_b32_e32 v0, 0x80000000, v0
	v_lshl_add_u32 v0, v1, 23, v0
	s_delay_alu instid0(VALU_DEP_1) | instskip(NEXT) | instid1(VALU_DEP_1)
	v_lshl_or_b32 v0, v2, 21, v0
                                        ; implicit-def: $vgpr2
	v_add_nc_u32_e32 v1, 0x38000000, v0
.LBB6_18967:                            ;   in Loop: Header=BB6_16763 Depth=2
	s_and_not1_saveexec_b32 s40, s10
; %bb.18968:                            ;   in Loop: Header=BB6_16763 Depth=2
	v_cmp_lt_i16_e64 s10, -1, v12
	v_cmp_eq_u32_e32 vcc_lo, 0, v2
	s_delay_alu instid0(VALU_DEP_2) | instskip(NEXT) | instid1(VALU_DEP_1)
	v_cndmask_b32_e64 v0, 0xff800000, v29, s10
	v_cndmask_b32_e32 v1, 0x7f800001, v0, vcc_lo
; %bb.18969:                            ;   in Loop: Header=BB6_16763 Depth=2
	s_or_b32 exec_lo, exec_lo, s40
.LBB6_18970:                            ;   in Loop: Header=BB6_16763 Depth=2
	s_delay_alu instid0(SALU_CYCLE_1)
	s_or_b32 exec_lo, exec_lo, s29
.LBB6_18971:                            ;   in Loop: Header=BB6_16763 Depth=2
	s_delay_alu instid0(SALU_CYCLE_1) | instskip(NEXT) | instid1(VALU_DEP_1)
	s_or_b32 exec_lo, exec_lo, s28
	v_dual_mul_f32 v0, s27, v1 :: v_dual_mov_b32 v3, v55
                                        ; implicit-def: $vgpr109
	s_mov_b32 s10, exec_lo
	s_delay_alu instid0(VALU_DEP_1) | instskip(SKIP_2) | instid1(VALU_DEP_3)
	v_and_b32_e32 v2, 0x7f800000, v0
	v_and_b32_e32 v54, 0x7fffff, v0
	v_lshrrev_b32_e32 v1, 24, v0
	v_cmpx_ne_u64_e32 0x7f800000, v[2:3]
	s_xor_b32 s28, exec_lo, s10
	s_cbranch_execz .LBB6_18985
; %bb.18972:                            ;   in Loop: Header=BB6_16763 Depth=2
	v_and_b32_e32 v2, 0x7fffffff, v0
	v_mov_b32_e32 v3, v55
	v_and_b32_e32 v5, 0x80, v1
                                        ; implicit-def: $vgpr109
	s_mov_b32 s10, exec_lo
	s_delay_alu instid0(VALU_DEP_2)
	v_cmpx_gt_u64_e32 0x47600001, v[2:3]
	s_xor_b32 s29, exec_lo, s10
	s_cbranch_execz .LBB6_18982
; %bb.18973:                            ;   in Loop: Header=BB6_16763 Depth=2
	v_mov_b32_e32 v109, 0
	s_mov_b32 s40, exec_lo
	v_cmpx_ne_u32_e32 0, v0
	s_cbranch_execz .LBB6_18981
; %bb.18974:                            ;   in Loop: Header=BB6_16763 Depth=2
	v_bfe_u32 v6, v0, 23, 8
	v_or_b32_e32 v1, 0x800000, v54
	s_delay_alu instid0(VALU_DEP_2) | instskip(SKIP_2) | instid1(VALU_DEP_2)
	v_cmp_gt_u32_e64 s10, 0x72, v6
	v_sub_nc_u32_e32 v0, 0x71, v6
	v_cmp_eq_u32_e32 vcc_lo, 0, v6
	v_cndmask_b32_e64 v0, 0, v0, s10
	s_delay_alu instid0(VALU_DEP_1) | instskip(SKIP_1) | instid1(VALU_DEP_2)
	v_cndmask_b32_e64 v7, v0, 0x70, vcc_lo
	v_dual_cndmask_b32 v0, v1, v54 :: v_dual_mov_b32 v1, v55
	v_dual_add_nc_u32 v2, 21, v7 :: v_dual_add_nc_u32 v8, 20, v7
	s_delay_alu instid0(VALU_DEP_1) | instskip(NEXT) | instid1(VALU_DEP_2)
	v_lshlrev_b64_e64 v[2:3], v2, -1
	v_lshlrev_b64_e64 v[8:9], v8, 1
	s_delay_alu instid0(VALU_DEP_2) | instskip(SKIP_1) | instid1(VALU_DEP_4)
	v_bfi_b32 v2, v2, 0, v0
	v_lshrrev_b64 v[0:1], v7, v[0:1]
	v_bfi_b32 v3, v3, 0, 0
	s_delay_alu instid0(VALU_DEP_1) | instskip(NEXT) | instid1(VALU_DEP_3)
	v_cmp_eq_u64_e64 s10, v[2:3], v[8:9]
	v_mov_b64_e32 v[2:3], v[0:1]
	s_and_saveexec_b32 s41, s10
; %bb.18975:                            ;   in Loop: Header=BB6_16763 Depth=2
	v_bfe_u32 v2, v0, 21, 1
	v_mov_b32_e32 v3, v55
	s_delay_alu instid0(VALU_DEP_1) | instskip(NEXT) | instid1(VALU_DEP_1)
	v_add_nc_u64_e32 v[2:3], v[0:1], v[2:3]
	v_add_nc_u64_e32 v[2:3], -1, v[2:3]
; %bb.18976:                            ;   in Loop: Header=BB6_16763 Depth=2
	s_or_b32 exec_lo, exec_lo, s41
	v_add_nc_u32_e32 v1, 0xffffff81, v6
	v_lshrrev_b32_e32 v3, 23, v0
	s_mov_b32 s10, exec_lo
	s_delay_alu instid0(VALU_DEP_2) | instskip(NEXT) | instid1(VALU_DEP_1)
	v_cndmask_b32_e64 v1, v1, 0xffffff82, vcc_lo
	v_add3_u32 v6, v7, v1, v3
	v_and_b32_e32 v1, 0x1fffff, v2
                                        ; implicit-def: $vgpr2
	s_delay_alu instid0(VALU_DEP_1) | instskip(NEXT) | instid1(VALU_DEP_1)
	v_dual_add_nc_u32 v3, 14, v6 :: v_dual_add_nc_u32 v54, v1, v0
                                        ; implicit-def: $vgpr0_vgpr1
	v_cmpx_ne_u32_e32 0, v3
	s_xor_b32 s10, exec_lo, s10
; %bb.18977:                            ;   in Loop: Header=BB6_16763 Depth=2
	s_delay_alu instid0(VALU_DEP_2) | instskip(SKIP_1) | instid1(VALU_DEP_1)
	v_cmp_lt_u64_e32 vcc_lo, 0xffffff, v[54:55]
	v_add_nc_u32_e32 v0, 15, v6
	v_cndmask_b32_e32 v2, v3, v0, vcc_lo
	v_cndmask_b32_e64 v0, 0, 1, vcc_lo
	s_delay_alu instid0(VALU_DEP_1)
	v_lshrrev_b64 v[0:1], v0, v[54:55]
; %bb.18978:                            ;   in Loop: Header=BB6_16763 Depth=2
	s_and_not1_saveexec_b32 s10, s10
; %bb.18979:                            ;   in Loop: Header=BB6_16763 Depth=2
	v_mov_b64_e32 v[0:1], v[54:55]
	v_bfe_u32 v2, v54, 23, 1
; %bb.18980:                            ;   in Loop: Header=BB6_16763 Depth=2
	s_or_b32 exec_lo, exec_lo, s10
	s_delay_alu instid0(VALU_DEP_2) | instskip(NEXT) | instid1(VALU_DEP_2)
	v_lshrrev_b64 v[0:1], 21, v[0:1]
	v_cmp_gt_i32_e32 vcc_lo, 32, v2
	v_min_i32_e32 v3, 31, v2
	v_cmp_eq_u32_e64 s10, 0, v2
	s_delay_alu instid0(VALU_DEP_2) | instskip(SKIP_1) | instid1(VALU_DEP_2)
	v_dual_cndmask_b32 v1, 0, v1, vcc_lo :: v_dual_lshlrev_b32 v3, 2, v3
	v_cndmask_b32_e32 v0, 3, v0, vcc_lo
	v_and_b32_e32 v3, 0xfc, v3
	s_delay_alu instid0(VALU_DEP_2) | instskip(NEXT) | instid1(VALU_DEP_2)
	v_cmp_eq_u64_e32 vcc_lo, 0, v[0:1]
	v_and_or_b32 v0, v0, 3, v3
	s_and_b32 s10, s10, vcc_lo
	s_delay_alu instid0(VALU_DEP_1) | instid1(SALU_CYCLE_1)
	v_cndmask_b32_e64 v0, v0, 0, s10
	s_delay_alu instid0(VALU_DEP_1)
	v_or_b32_e32 v109, v0, v5
.LBB6_18981:                            ;   in Loop: Header=BB6_16763 Depth=2
	s_or_b32 exec_lo, exec_lo, s40
                                        ; implicit-def: $vgpr5
.LBB6_18982:                            ;   in Loop: Header=BB6_16763 Depth=2
	s_and_not1_saveexec_b32 s10, s29
; %bb.18983:                            ;   in Loop: Header=BB6_16763 Depth=2
	v_or_b32_e32 v109, 0x7b, v5
; %bb.18984:                            ;   in Loop: Header=BB6_16763 Depth=2
	s_or_b32 exec_lo, exec_lo, s10
                                        ; implicit-def: $vgpr0
                                        ; implicit-def: $vgpr1
.LBB6_18985:                            ;   in Loop: Header=BB6_16763 Depth=2
	s_and_not1_saveexec_b32 s10, s28
	s_cbranch_execz .LBB6_18991
; %bb.18986:                            ;   in Loop: Header=BB6_16763 Depth=2
	s_mov_b32 s28, exec_lo
                                        ; implicit-def: $vgpr109
	v_cmpx_ne_u64_e32 0, v[54:55]
	s_xor_b32 s28, exec_lo, s28
; %bb.18987:                            ;   in Loop: Header=BB6_16763 Depth=2
	v_or_b32_e32 v109, 0x7f, v1
                                        ; implicit-def: $vgpr0
; %bb.18988:                            ;   in Loop: Header=BB6_16763 Depth=2
	s_and_not1_saveexec_b32 s28, s28
; %bb.18989:                            ;   in Loop: Header=BB6_16763 Depth=2
	v_cmp_lt_i32_e32 vcc_lo, -1, v0
	v_cndmask_b32_e32 v109, 0xfc, v30, vcc_lo
; %bb.18990:                            ;   in Loop: Header=BB6_16763 Depth=2
	s_or_b32 exec_lo, exec_lo, s28
.LBB6_18991:                            ;   in Loop: Header=BB6_16763 Depth=2
	s_delay_alu instid0(SALU_CYCLE_1) | instskip(SKIP_2) | instid1(VALU_DEP_1)
	s_or_b32 exec_lo, exec_lo, s10
	v_dual_mov_b32 v1, 0 :: v_dual_lshrrev_b32 v0, 16, v12
	s_mov_b32 s28, exec_lo
	v_and_b32_e32 v2, 0xff, v0
	s_delay_alu instid0(VALU_DEP_1)
	v_cmpx_ne_u16_e32 0, v2
	s_cbranch_execz .LBB6_19001
; %bb.18992:                            ;   in Loop: Header=BB6_16763 Depth=2
	v_bfrev_b32_e32 v1, 1
	s_mov_b32 s29, exec_lo
	v_cmpx_ne_u16_e32 0x80, v2
	s_cbranch_execz .LBB6_19000
; %bb.18993:                            ;   in Loop: Header=BB6_16763 Depth=2
	v_and_b32_e32 v1, 0x7c0000, v12
	v_bfe_u32 v2, v12, 16, 2
	s_delay_alu instid0(VALU_DEP_2) | instskip(SKIP_1) | instid1(SALU_CYCLE_1)
	v_cmp_ne_u32_e32 vcc_lo, 0x7c0000, v1
                                        ; implicit-def: $vgpr1
	s_and_saveexec_b32 s10, vcc_lo
	s_xor_b32 s10, exec_lo, s10
	s_cbranch_execz .LBB6_18997
; %bb.18994:                            ;   in Loop: Header=BB6_16763 Depth=2
	v_bfe_u32 v1, v12, 18, 5
	s_mov_b32 s40, exec_lo
	s_delay_alu instid0(VALU_DEP_1)
	v_cmpx_eq_u32_e32 0, v1
; %bb.18995:                            ;   in Loop: Header=BB6_16763 Depth=2
	v_clz_i32_u32_e32 v1, v2
	s_delay_alu instid0(VALU_DEP_1) | instskip(NEXT) | instid1(VALU_DEP_1)
	v_min_u32_e32 v1, 32, v1
	v_subrev_nc_u32_e32 v2, 29, v1
	s_delay_alu instid0(VALU_DEP_1) | instskip(NEXT) | instid1(VALU_DEP_1)
	v_lshlrev_b64_e32 v[2:3], v2, v[0:1]
	v_dual_sub_nc_u32 v1, 30, v1 :: v_dual_bitop2_b32 v2, 3, v2 bitop3:0x40
; %bb.18996:                            ;   in Loop: Header=BB6_16763 Depth=2
	s_or_b32 exec_lo, exec_lo, s40
	v_lshlrev_b32_e32 v0, 24, v0
	s_delay_alu instid0(VALU_DEP_1) | instskip(NEXT) | instid1(VALU_DEP_1)
	v_and_b32_e32 v0, 0x80000000, v0
	v_lshl_add_u32 v0, v1, 23, v0
	s_delay_alu instid0(VALU_DEP_1) | instskip(NEXT) | instid1(VALU_DEP_1)
	v_lshl_or_b32 v0, v2, 21, v0
                                        ; implicit-def: $vgpr2
	v_add_nc_u32_e32 v1, 0x38000000, v0
                                        ; implicit-def: $vgpr0
.LBB6_18997:                            ;   in Loop: Header=BB6_16763 Depth=2
	s_and_not1_saveexec_b32 s40, s10
; %bb.18998:                            ;   in Loop: Header=BB6_16763 Depth=2
	v_bfe_i32 v0, v0, 0, 8
	v_cmp_eq_u32_e32 vcc_lo, 0, v2
	s_delay_alu instid0(VALU_DEP_2) | instskip(NEXT) | instid1(VALU_DEP_1)
	v_cmp_lt_i16_e64 s10, -1, v0
	v_cndmask_b32_e64 v0, 0xff800000, v29, s10
	s_delay_alu instid0(VALU_DEP_1)
	v_cndmask_b32_e32 v1, 0x7f800001, v0, vcc_lo
; %bb.18999:                            ;   in Loop: Header=BB6_16763 Depth=2
	s_or_b32 exec_lo, exec_lo, s40
.LBB6_19000:                            ;   in Loop: Header=BB6_16763 Depth=2
	s_delay_alu instid0(SALU_CYCLE_1)
	s_or_b32 exec_lo, exec_lo, s29
.LBB6_19001:                            ;   in Loop: Header=BB6_16763 Depth=2
	s_delay_alu instid0(SALU_CYCLE_1) | instskip(NEXT) | instid1(VALU_DEP_1)
	s_or_b32 exec_lo, exec_lo, s28
	v_dual_mul_f32 v0, s27, v1 :: v_dual_mov_b32 v3, v55
                                        ; implicit-def: $vgpr110
	s_mov_b32 s10, exec_lo
	s_delay_alu instid0(VALU_DEP_1) | instskip(SKIP_2) | instid1(VALU_DEP_3)
	v_and_b32_e32 v2, 0x7f800000, v0
	v_and_b32_e32 v54, 0x7fffff, v0
	v_lshrrev_b32_e32 v1, 24, v0
	v_cmpx_ne_u64_e32 0x7f800000, v[2:3]
	s_xor_b32 s28, exec_lo, s10
	s_cbranch_execz .LBB6_19015
; %bb.19002:                            ;   in Loop: Header=BB6_16763 Depth=2
	v_and_b32_e32 v2, 0x7fffffff, v0
	v_mov_b32_e32 v3, v55
	v_and_b32_e32 v5, 0x80, v1
                                        ; implicit-def: $vgpr110
	s_mov_b32 s10, exec_lo
	s_delay_alu instid0(VALU_DEP_2)
	v_cmpx_gt_u64_e32 0x47600001, v[2:3]
	s_xor_b32 s29, exec_lo, s10
	s_cbranch_execz .LBB6_19012
; %bb.19003:                            ;   in Loop: Header=BB6_16763 Depth=2
	v_mov_b32_e32 v110, 0
	s_mov_b32 s40, exec_lo
	v_cmpx_ne_u32_e32 0, v0
	s_cbranch_execz .LBB6_19011
; %bb.19004:                            ;   in Loop: Header=BB6_16763 Depth=2
	v_bfe_u32 v6, v0, 23, 8
	v_or_b32_e32 v1, 0x800000, v54
	s_delay_alu instid0(VALU_DEP_2) | instskip(SKIP_2) | instid1(VALU_DEP_2)
	v_cmp_gt_u32_e64 s10, 0x72, v6
	v_sub_nc_u32_e32 v0, 0x71, v6
	v_cmp_eq_u32_e32 vcc_lo, 0, v6
	v_cndmask_b32_e64 v0, 0, v0, s10
	s_delay_alu instid0(VALU_DEP_1) | instskip(SKIP_1) | instid1(VALU_DEP_2)
	v_cndmask_b32_e64 v7, v0, 0x70, vcc_lo
	v_dual_cndmask_b32 v0, v1, v54 :: v_dual_mov_b32 v1, v55
	v_dual_add_nc_u32 v2, 21, v7 :: v_dual_add_nc_u32 v8, 20, v7
	s_delay_alu instid0(VALU_DEP_1) | instskip(NEXT) | instid1(VALU_DEP_2)
	v_lshlrev_b64_e64 v[2:3], v2, -1
	v_lshlrev_b64_e64 v[8:9], v8, 1
	s_delay_alu instid0(VALU_DEP_2) | instskip(SKIP_1) | instid1(VALU_DEP_4)
	v_bfi_b32 v2, v2, 0, v0
	v_lshrrev_b64 v[0:1], v7, v[0:1]
	v_bfi_b32 v3, v3, 0, 0
	s_delay_alu instid0(VALU_DEP_1) | instskip(NEXT) | instid1(VALU_DEP_3)
	v_cmp_eq_u64_e64 s10, v[2:3], v[8:9]
	v_mov_b64_e32 v[2:3], v[0:1]
	s_and_saveexec_b32 s41, s10
; %bb.19005:                            ;   in Loop: Header=BB6_16763 Depth=2
	v_bfe_u32 v2, v0, 21, 1
	v_mov_b32_e32 v3, v55
	s_delay_alu instid0(VALU_DEP_1) | instskip(NEXT) | instid1(VALU_DEP_1)
	v_add_nc_u64_e32 v[2:3], v[0:1], v[2:3]
	v_add_nc_u64_e32 v[2:3], -1, v[2:3]
; %bb.19006:                            ;   in Loop: Header=BB6_16763 Depth=2
	s_or_b32 exec_lo, exec_lo, s41
	v_add_nc_u32_e32 v1, 0xffffff81, v6
	v_lshrrev_b32_e32 v3, 23, v0
	s_mov_b32 s10, exec_lo
	s_delay_alu instid0(VALU_DEP_2) | instskip(NEXT) | instid1(VALU_DEP_1)
	v_cndmask_b32_e64 v1, v1, 0xffffff82, vcc_lo
	v_add3_u32 v6, v7, v1, v3
	v_and_b32_e32 v1, 0x1fffff, v2
                                        ; implicit-def: $vgpr2
	s_delay_alu instid0(VALU_DEP_1) | instskip(NEXT) | instid1(VALU_DEP_1)
	v_dual_add_nc_u32 v3, 14, v6 :: v_dual_add_nc_u32 v54, v1, v0
                                        ; implicit-def: $vgpr0_vgpr1
	v_cmpx_ne_u32_e32 0, v3
	s_xor_b32 s10, exec_lo, s10
; %bb.19007:                            ;   in Loop: Header=BB6_16763 Depth=2
	s_delay_alu instid0(VALU_DEP_2) | instskip(SKIP_1) | instid1(VALU_DEP_1)
	v_cmp_lt_u64_e32 vcc_lo, 0xffffff, v[54:55]
	v_add_nc_u32_e32 v0, 15, v6
	v_cndmask_b32_e32 v2, v3, v0, vcc_lo
	v_cndmask_b32_e64 v0, 0, 1, vcc_lo
	s_delay_alu instid0(VALU_DEP_1)
	v_lshrrev_b64 v[0:1], v0, v[54:55]
; %bb.19008:                            ;   in Loop: Header=BB6_16763 Depth=2
	s_and_not1_saveexec_b32 s10, s10
; %bb.19009:                            ;   in Loop: Header=BB6_16763 Depth=2
	v_mov_b64_e32 v[0:1], v[54:55]
	v_bfe_u32 v2, v54, 23, 1
; %bb.19010:                            ;   in Loop: Header=BB6_16763 Depth=2
	s_or_b32 exec_lo, exec_lo, s10
	s_delay_alu instid0(VALU_DEP_2) | instskip(NEXT) | instid1(VALU_DEP_2)
	v_lshrrev_b64 v[0:1], 21, v[0:1]
	v_cmp_gt_i32_e32 vcc_lo, 32, v2
	v_min_i32_e32 v3, 31, v2
	v_cmp_eq_u32_e64 s10, 0, v2
	s_delay_alu instid0(VALU_DEP_2) | instskip(SKIP_1) | instid1(VALU_DEP_2)
	v_dual_cndmask_b32 v1, 0, v1, vcc_lo :: v_dual_lshlrev_b32 v3, 2, v3
	v_cndmask_b32_e32 v0, 3, v0, vcc_lo
	v_and_b32_e32 v3, 0xfc, v3
	s_delay_alu instid0(VALU_DEP_2) | instskip(NEXT) | instid1(VALU_DEP_2)
	v_cmp_eq_u64_e32 vcc_lo, 0, v[0:1]
	v_and_or_b32 v0, v0, 3, v3
	s_and_b32 s10, s10, vcc_lo
	s_delay_alu instid0(VALU_DEP_1) | instid1(SALU_CYCLE_1)
	v_cndmask_b32_e64 v0, v0, 0, s10
	s_delay_alu instid0(VALU_DEP_1)
	v_or_b32_e32 v110, v0, v5
.LBB6_19011:                            ;   in Loop: Header=BB6_16763 Depth=2
	s_or_b32 exec_lo, exec_lo, s40
                                        ; implicit-def: $vgpr5
.LBB6_19012:                            ;   in Loop: Header=BB6_16763 Depth=2
	s_and_not1_saveexec_b32 s10, s29
; %bb.19013:                            ;   in Loop: Header=BB6_16763 Depth=2
	v_or_b32_e32 v110, 0x7b, v5
; %bb.19014:                            ;   in Loop: Header=BB6_16763 Depth=2
	s_or_b32 exec_lo, exec_lo, s10
                                        ; implicit-def: $vgpr0
                                        ; implicit-def: $vgpr1
.LBB6_19015:                            ;   in Loop: Header=BB6_16763 Depth=2
	s_and_not1_saveexec_b32 s10, s28
	s_cbranch_execz .LBB6_19021
; %bb.19016:                            ;   in Loop: Header=BB6_16763 Depth=2
	s_mov_b32 s28, exec_lo
                                        ; implicit-def: $vgpr110
	v_cmpx_ne_u64_e32 0, v[54:55]
	s_xor_b32 s28, exec_lo, s28
; %bb.19017:                            ;   in Loop: Header=BB6_16763 Depth=2
	v_or_b32_e32 v110, 0x7f, v1
                                        ; implicit-def: $vgpr0
; %bb.19018:                            ;   in Loop: Header=BB6_16763 Depth=2
	s_and_not1_saveexec_b32 s28, s28
; %bb.19019:                            ;   in Loop: Header=BB6_16763 Depth=2
	v_cmp_lt_i32_e32 vcc_lo, -1, v0
	v_cndmask_b32_e32 v110, 0xfc, v30, vcc_lo
; %bb.19020:                            ;   in Loop: Header=BB6_16763 Depth=2
	s_or_b32 exec_lo, exec_lo, s28
.LBB6_19021:                            ;   in Loop: Header=BB6_16763 Depth=2
	s_delay_alu instid0(SALU_CYCLE_1)
	s_or_b32 exec_lo, exec_lo, s10
	v_mov_b32_e32 v1, 0
	s_mov_b32 s28, exec_lo
	v_cmpx_lt_u32_e32 0xffffff, v12
	s_cbranch_execz .LBB6_19031
; %bb.19022:                            ;   in Loop: Header=BB6_16763 Depth=2
	v_lshrrev_b32_e32 v0, 24, v12
	v_bfrev_b32_e32 v1, 1
	s_mov_b32 s29, exec_lo
	s_delay_alu instid0(VALU_DEP_2)
	v_cmpx_ne_u32_e32 0x80, v0
	s_cbranch_execz .LBB6_19030
; %bb.19023:                            ;   in Loop: Header=BB6_16763 Depth=2
	v_and_b32_e32 v1, 0x7c000000, v12
	v_bfe_u32 v2, v12, 24, 2
	s_delay_alu instid0(VALU_DEP_2) | instskip(SKIP_1) | instid1(SALU_CYCLE_1)
	v_cmp_ne_u32_e32 vcc_lo, 0x7c000000, v1
                                        ; implicit-def: $vgpr1
	s_and_saveexec_b32 s10, vcc_lo
	s_xor_b32 s10, exec_lo, s10
	s_cbranch_execz .LBB6_19027
; %bb.19024:                            ;   in Loop: Header=BB6_16763 Depth=2
	v_bfe_u32 v1, v12, 26, 5
	s_mov_b32 s40, exec_lo
	s_delay_alu instid0(VALU_DEP_1)
	v_cmpx_eq_u32_e32 0, v1
; %bb.19025:                            ;   in Loop: Header=BB6_16763 Depth=2
	v_clz_i32_u32_e32 v1, v2
	s_delay_alu instid0(VALU_DEP_1) | instskip(NEXT) | instid1(VALU_DEP_1)
	v_min_u32_e32 v2, 32, v1
	v_subrev_nc_u32_e32 v1, 29, v2
	s_delay_alu instid0(VALU_DEP_1) | instskip(NEXT) | instid1(VALU_DEP_1)
	v_lshlrev_b64_e32 v[0:1], v1, v[0:1]
	v_dual_sub_nc_u32 v1, 30, v2 :: v_dual_bitop2_b32 v2, 3, v0 bitop3:0x40
; %bb.19026:                            ;   in Loop: Header=BB6_16763 Depth=2
	s_or_b32 exec_lo, exec_lo, s40
	v_and_b32_e32 v0, 0x80000000, v12
	s_delay_alu instid0(VALU_DEP_1) | instskip(NEXT) | instid1(VALU_DEP_1)
	v_lshl_add_u32 v0, v1, 23, v0
	v_lshl_or_b32 v0, v2, 21, v0
                                        ; implicit-def: $vgpr2
	s_delay_alu instid0(VALU_DEP_1)
	v_add_nc_u32_e32 v1, 0x38000000, v0
.LBB6_19027:                            ;   in Loop: Header=BB6_16763 Depth=2
	s_and_not1_saveexec_b32 s40, s10
; %bb.19028:                            ;   in Loop: Header=BB6_16763 Depth=2
	v_cmp_lt_i32_e64 s10, -1, v12
	v_cmp_eq_u32_e32 vcc_lo, 0, v2
	s_delay_alu instid0(VALU_DEP_2) | instskip(NEXT) | instid1(VALU_DEP_1)
	v_cndmask_b32_e64 v0, 0xff800000, v29, s10
	v_cndmask_b32_e32 v1, 0x7f800001, v0, vcc_lo
; %bb.19029:                            ;   in Loop: Header=BB6_16763 Depth=2
	s_or_b32 exec_lo, exec_lo, s40
.LBB6_19030:                            ;   in Loop: Header=BB6_16763 Depth=2
	s_delay_alu instid0(SALU_CYCLE_1)
	s_or_b32 exec_lo, exec_lo, s29
.LBB6_19031:                            ;   in Loop: Header=BB6_16763 Depth=2
	s_delay_alu instid0(SALU_CYCLE_1) | instskip(NEXT) | instid1(VALU_DEP_1)
	s_or_b32 exec_lo, exec_lo, s28
	v_dual_mul_f32 v0, s27, v1 :: v_dual_mov_b32 v3, v55
                                        ; implicit-def: $vgpr111
	s_mov_b32 s10, exec_lo
	s_delay_alu instid0(VALU_DEP_1) | instskip(SKIP_2) | instid1(VALU_DEP_3)
	v_and_b32_e32 v2, 0x7f800000, v0
	v_and_b32_e32 v54, 0x7fffff, v0
	v_lshrrev_b32_e32 v1, 24, v0
	v_cmpx_ne_u64_e32 0x7f800000, v[2:3]
	s_xor_b32 s28, exec_lo, s10
	s_cbranch_execz .LBB6_19045
; %bb.19032:                            ;   in Loop: Header=BB6_16763 Depth=2
	v_and_b32_e32 v2, 0x7fffffff, v0
	v_mov_b32_e32 v3, v55
	v_and_b32_e32 v5, 0x80, v1
                                        ; implicit-def: $vgpr111
	s_mov_b32 s10, exec_lo
	s_delay_alu instid0(VALU_DEP_2)
	v_cmpx_gt_u64_e32 0x47600001, v[2:3]
	s_xor_b32 s29, exec_lo, s10
	s_cbranch_execz .LBB6_19042
; %bb.19033:                            ;   in Loop: Header=BB6_16763 Depth=2
	v_mov_b32_e32 v111, 0
	s_mov_b32 s40, exec_lo
	v_cmpx_ne_u32_e32 0, v0
	s_cbranch_execz .LBB6_19041
; %bb.19034:                            ;   in Loop: Header=BB6_16763 Depth=2
	v_bfe_u32 v6, v0, 23, 8
	v_or_b32_e32 v1, 0x800000, v54
	s_delay_alu instid0(VALU_DEP_2) | instskip(SKIP_2) | instid1(VALU_DEP_2)
	v_cmp_gt_u32_e64 s10, 0x72, v6
	v_sub_nc_u32_e32 v0, 0x71, v6
	v_cmp_eq_u32_e32 vcc_lo, 0, v6
	v_cndmask_b32_e64 v0, 0, v0, s10
	s_delay_alu instid0(VALU_DEP_1) | instskip(SKIP_1) | instid1(VALU_DEP_2)
	v_cndmask_b32_e64 v7, v0, 0x70, vcc_lo
	v_dual_cndmask_b32 v0, v1, v54 :: v_dual_mov_b32 v1, v55
	v_dual_add_nc_u32 v2, 21, v7 :: v_dual_add_nc_u32 v8, 20, v7
	s_delay_alu instid0(VALU_DEP_1) | instskip(NEXT) | instid1(VALU_DEP_2)
	v_lshlrev_b64_e64 v[2:3], v2, -1
	v_lshlrev_b64_e64 v[8:9], v8, 1
	s_delay_alu instid0(VALU_DEP_2) | instskip(SKIP_1) | instid1(VALU_DEP_4)
	v_bfi_b32 v2, v2, 0, v0
	v_lshrrev_b64 v[0:1], v7, v[0:1]
	v_bfi_b32 v3, v3, 0, 0
	s_delay_alu instid0(VALU_DEP_1) | instskip(NEXT) | instid1(VALU_DEP_3)
	v_cmp_eq_u64_e64 s10, v[2:3], v[8:9]
	v_mov_b64_e32 v[2:3], v[0:1]
	s_and_saveexec_b32 s41, s10
; %bb.19035:                            ;   in Loop: Header=BB6_16763 Depth=2
	v_bfe_u32 v2, v0, 21, 1
	v_mov_b32_e32 v3, v55
	s_delay_alu instid0(VALU_DEP_1) | instskip(NEXT) | instid1(VALU_DEP_1)
	v_add_nc_u64_e32 v[2:3], v[0:1], v[2:3]
	v_add_nc_u64_e32 v[2:3], -1, v[2:3]
; %bb.19036:                            ;   in Loop: Header=BB6_16763 Depth=2
	s_or_b32 exec_lo, exec_lo, s41
	v_add_nc_u32_e32 v1, 0xffffff81, v6
	v_lshrrev_b32_e32 v3, 23, v0
	s_mov_b32 s10, exec_lo
	s_delay_alu instid0(VALU_DEP_2) | instskip(NEXT) | instid1(VALU_DEP_1)
	v_cndmask_b32_e64 v1, v1, 0xffffff82, vcc_lo
	v_add3_u32 v6, v7, v1, v3
	v_and_b32_e32 v1, 0x1fffff, v2
                                        ; implicit-def: $vgpr2
	s_delay_alu instid0(VALU_DEP_1) | instskip(NEXT) | instid1(VALU_DEP_1)
	v_dual_add_nc_u32 v3, 14, v6 :: v_dual_add_nc_u32 v54, v1, v0
                                        ; implicit-def: $vgpr0_vgpr1
	v_cmpx_ne_u32_e32 0, v3
	s_xor_b32 s10, exec_lo, s10
; %bb.19037:                            ;   in Loop: Header=BB6_16763 Depth=2
	s_delay_alu instid0(VALU_DEP_2) | instskip(SKIP_1) | instid1(VALU_DEP_1)
	v_cmp_lt_u64_e32 vcc_lo, 0xffffff, v[54:55]
	v_add_nc_u32_e32 v0, 15, v6
	v_cndmask_b32_e32 v2, v3, v0, vcc_lo
	v_cndmask_b32_e64 v0, 0, 1, vcc_lo
	s_delay_alu instid0(VALU_DEP_1)
	v_lshrrev_b64 v[0:1], v0, v[54:55]
; %bb.19038:                            ;   in Loop: Header=BB6_16763 Depth=2
	s_and_not1_saveexec_b32 s10, s10
; %bb.19039:                            ;   in Loop: Header=BB6_16763 Depth=2
	v_mov_b64_e32 v[0:1], v[54:55]
	v_bfe_u32 v2, v54, 23, 1
; %bb.19040:                            ;   in Loop: Header=BB6_16763 Depth=2
	s_or_b32 exec_lo, exec_lo, s10
	s_delay_alu instid0(VALU_DEP_2) | instskip(NEXT) | instid1(VALU_DEP_2)
	v_lshrrev_b64 v[0:1], 21, v[0:1]
	v_cmp_gt_i32_e32 vcc_lo, 32, v2
	v_min_i32_e32 v3, 31, v2
	v_cmp_eq_u32_e64 s10, 0, v2
	s_delay_alu instid0(VALU_DEP_2) | instskip(SKIP_1) | instid1(VALU_DEP_2)
	v_dual_cndmask_b32 v1, 0, v1, vcc_lo :: v_dual_lshlrev_b32 v3, 2, v3
	v_cndmask_b32_e32 v0, 3, v0, vcc_lo
	v_and_b32_e32 v3, 0xfc, v3
	s_delay_alu instid0(VALU_DEP_2) | instskip(NEXT) | instid1(VALU_DEP_2)
	v_cmp_eq_u64_e32 vcc_lo, 0, v[0:1]
	v_and_or_b32 v0, v0, 3, v3
	s_and_b32 s10, s10, vcc_lo
	s_delay_alu instid0(VALU_DEP_1) | instid1(SALU_CYCLE_1)
	v_cndmask_b32_e64 v0, v0, 0, s10
	s_delay_alu instid0(VALU_DEP_1)
	v_or_b32_e32 v111, v0, v5
.LBB6_19041:                            ;   in Loop: Header=BB6_16763 Depth=2
	s_or_b32 exec_lo, exec_lo, s40
                                        ; implicit-def: $vgpr5
.LBB6_19042:                            ;   in Loop: Header=BB6_16763 Depth=2
	s_and_not1_saveexec_b32 s10, s29
; %bb.19043:                            ;   in Loop: Header=BB6_16763 Depth=2
	v_or_b32_e32 v111, 0x7b, v5
; %bb.19044:                            ;   in Loop: Header=BB6_16763 Depth=2
	s_or_b32 exec_lo, exec_lo, s10
                                        ; implicit-def: $vgpr0
                                        ; implicit-def: $vgpr1
.LBB6_19045:                            ;   in Loop: Header=BB6_16763 Depth=2
	s_and_not1_saveexec_b32 s10, s28
	s_cbranch_execz .LBB6_19051
; %bb.19046:                            ;   in Loop: Header=BB6_16763 Depth=2
	s_mov_b32 s28, exec_lo
                                        ; implicit-def: $vgpr111
	v_cmpx_ne_u64_e32 0, v[54:55]
	s_xor_b32 s28, exec_lo, s28
; %bb.19047:                            ;   in Loop: Header=BB6_16763 Depth=2
	v_or_b32_e32 v111, 0x7f, v1
                                        ; implicit-def: $vgpr0
; %bb.19048:                            ;   in Loop: Header=BB6_16763 Depth=2
	s_and_not1_saveexec_b32 s28, s28
; %bb.19049:                            ;   in Loop: Header=BB6_16763 Depth=2
	v_cmp_lt_i32_e32 vcc_lo, -1, v0
	v_cndmask_b32_e32 v111, 0xfc, v30, vcc_lo
; %bb.19050:                            ;   in Loop: Header=BB6_16763 Depth=2
	s_or_b32 exec_lo, exec_lo, s28
.LBB6_19051:                            ;   in Loop: Header=BB6_16763 Depth=2
	s_delay_alu instid0(SALU_CYCLE_1) | instskip(SKIP_3) | instid1(VALU_DEP_2)
	s_or_b32 exec_lo, exec_lo, s10
	v_and_b32_e32 v1, 0xff, v13
	v_dual_mov_b32 v54, v13 :: v_dual_mov_b32 v0, 0
	s_mov_b32 s28, exec_lo
	v_cmpx_ne_u16_e32 0, v1
	s_cbranch_execz .LBB6_19061
; %bb.19052:                            ;   in Loop: Header=BB6_16763 Depth=2
	v_bfrev_b32_e32 v0, 1
	s_mov_b32 s29, exec_lo
	v_cmpx_ne_u16_e32 0x80, v1
	s_cbranch_execz .LBB6_19060
; %bb.19053:                            ;   in Loop: Header=BB6_16763 Depth=2
	v_and_b32_e32 v0, 0x7c, v13
	v_and_b32_e32 v1, 3, v13
	s_delay_alu instid0(VALU_DEP_2) | instskip(SKIP_1) | instid1(SALU_CYCLE_1)
	v_cmp_ne_u32_e32 vcc_lo, 0x7c, v0
                                        ; implicit-def: $vgpr0
	s_and_saveexec_b32 s10, vcc_lo
	s_xor_b32 s10, exec_lo, s10
	s_cbranch_execz .LBB6_19057
; %bb.19054:                            ;   in Loop: Header=BB6_16763 Depth=2
	v_bfe_u32 v0, v13, 2, 5
	s_mov_b32 s40, exec_lo
	s_delay_alu instid0(VALU_DEP_1)
	v_cmpx_eq_u32_e32 0, v0
; %bb.19055:                            ;   in Loop: Header=BB6_16763 Depth=2
	v_clz_i32_u32_e32 v0, v1
	s_delay_alu instid0(VALU_DEP_1) | instskip(NEXT) | instid1(VALU_DEP_1)
	v_min_u32_e32 v0, 32, v0
	v_subrev_nc_u32_e32 v1, 29, v0
	s_delay_alu instid0(VALU_DEP_1) | instskip(NEXT) | instid1(VALU_DEP_1)
	v_lshlrev_b64_e32 v[2:3], v1, v[54:55]
	v_dual_sub_nc_u32 v0, 30, v0 :: v_dual_bitop2_b32 v1, 3, v2 bitop3:0x40
; %bb.19056:                            ;   in Loop: Header=BB6_16763 Depth=2
	s_or_b32 exec_lo, exec_lo, s40
	v_lshlrev_b32_e32 v2, 24, v13
	s_delay_alu instid0(VALU_DEP_1) | instskip(NEXT) | instid1(VALU_DEP_1)
	v_and_b32_e32 v2, 0x80000000, v2
	v_lshl_add_u32 v0, v0, 23, v2
	s_delay_alu instid0(VALU_DEP_1) | instskip(NEXT) | instid1(VALU_DEP_1)
	v_lshl_or_b32 v0, v1, 21, v0
                                        ; implicit-def: $vgpr1
	v_add_nc_u32_e32 v0, 0x38000000, v0
.LBB6_19057:                            ;   in Loop: Header=BB6_16763 Depth=2
	s_and_not1_saveexec_b32 s40, s10
; %bb.19058:                            ;   in Loop: Header=BB6_16763 Depth=2
	v_bfe_i32 v0, v13, 0, 8
	v_cmp_eq_u32_e32 vcc_lo, 0, v1
	s_delay_alu instid0(VALU_DEP_2) | instskip(NEXT) | instid1(VALU_DEP_1)
	v_cmp_lt_i16_e64 s10, -1, v0
	v_cndmask_b32_e64 v0, 0xff800000, v29, s10
	s_delay_alu instid0(VALU_DEP_1)
	v_cndmask_b32_e32 v0, 0x7f800001, v0, vcc_lo
; %bb.19059:                            ;   in Loop: Header=BB6_16763 Depth=2
	s_or_b32 exec_lo, exec_lo, s40
.LBB6_19060:                            ;   in Loop: Header=BB6_16763 Depth=2
	s_delay_alu instid0(SALU_CYCLE_1)
	s_or_b32 exec_lo, exec_lo, s29
.LBB6_19061:                            ;   in Loop: Header=BB6_16763 Depth=2
	s_delay_alu instid0(SALU_CYCLE_1) | instskip(NEXT) | instid1(VALU_DEP_1)
	s_or_b32 exec_lo, exec_lo, s28
	v_dual_mul_f32 v2, s27, v0 :: v_dual_mov_b32 v7, v55
	v_mov_b32_e32 v1, v55
                                        ; implicit-def: $vgpr120
	s_mov_b32 s10, exec_lo
	s_delay_alu instid0(VALU_DEP_2) | instskip(SKIP_2) | instid1(VALU_DEP_3)
	v_and_b32_e32 v6, 0x7f800000, v2
	v_and_b32_e32 v0, 0x7fffff, v2
	v_lshrrev_b32_e32 v3, 24, v2
	v_cmpx_ne_u64_e32 0x7f800000, v[6:7]
	s_xor_b32 s28, exec_lo, s10
	s_cbranch_execz .LBB6_19075
; %bb.19062:                            ;   in Loop: Header=BB6_16763 Depth=2
	v_and_b32_e32 v6, 0x7fffffff, v2
	v_mov_b32_e32 v7, v55
	v_and_b32_e32 v5, 0x80, v3
                                        ; implicit-def: $vgpr120
	s_mov_b32 s10, exec_lo
	s_delay_alu instid0(VALU_DEP_2)
	v_cmpx_gt_u64_e32 0x47600001, v[6:7]
	s_xor_b32 s29, exec_lo, s10
	s_cbranch_execz .LBB6_19072
; %bb.19063:                            ;   in Loop: Header=BB6_16763 Depth=2
	v_mov_b32_e32 v120, 0
	s_mov_b32 s40, exec_lo
	v_cmpx_ne_u32_e32 0, v2
	s_cbranch_execz .LBB6_19071
; %bb.19064:                            ;   in Loop: Header=BB6_16763 Depth=2
	v_bfe_u32 v6, v2, 23, 8
	v_or_b32_e32 v3, 0x800000, v0
	s_delay_alu instid0(VALU_DEP_2) | instskip(SKIP_2) | instid1(VALU_DEP_2)
	v_cmp_gt_u32_e64 s10, 0x72, v6
	v_sub_nc_u32_e32 v2, 0x71, v6
	v_cmp_eq_u32_e32 vcc_lo, 0, v6
	v_dual_cndmask_b32 v2, 0, v2, s10 :: v_dual_cndmask_b32 v0, v3, v0, vcc_lo
	s_delay_alu instid0(VALU_DEP_1) | instskip(NEXT) | instid1(VALU_DEP_1)
	v_cndmask_b32_e64 v7, v2, 0x70, vcc_lo
	v_dual_add_nc_u32 v2, 21, v7 :: v_dual_add_nc_u32 v8, 20, v7
	s_delay_alu instid0(VALU_DEP_1) | instskip(NEXT) | instid1(VALU_DEP_2)
	v_lshlrev_b64_e64 v[2:3], v2, -1
	v_lshlrev_b64_e64 v[8:9], v8, 1
	s_delay_alu instid0(VALU_DEP_2) | instskip(SKIP_1) | instid1(VALU_DEP_4)
	v_bfi_b32 v2, v2, 0, v0
	v_lshrrev_b64 v[0:1], v7, v[0:1]
	v_bfi_b32 v3, v3, 0, 0
	s_delay_alu instid0(VALU_DEP_1) | instskip(NEXT) | instid1(VALU_DEP_3)
	v_cmp_eq_u64_e64 s10, v[2:3], v[8:9]
	v_mov_b64_e32 v[2:3], v[0:1]
	s_and_saveexec_b32 s41, s10
; %bb.19065:                            ;   in Loop: Header=BB6_16763 Depth=2
	v_bfe_u32 v2, v0, 21, 1
	v_mov_b32_e32 v3, v55
	s_delay_alu instid0(VALU_DEP_1) | instskip(NEXT) | instid1(VALU_DEP_1)
	v_add_nc_u64_e32 v[2:3], v[0:1], v[2:3]
	v_add_nc_u64_e32 v[2:3], -1, v[2:3]
; %bb.19066:                            ;   in Loop: Header=BB6_16763 Depth=2
	s_or_b32 exec_lo, exec_lo, s41
	v_add_nc_u32_e32 v1, 0xffffff81, v6
	v_lshrrev_b32_e32 v3, 23, v0
	s_mov_b32 s10, exec_lo
	s_delay_alu instid0(VALU_DEP_2) | instskip(NEXT) | instid1(VALU_DEP_1)
	v_cndmask_b32_e64 v1, v1, 0xffffff82, vcc_lo
	v_add3_u32 v6, v7, v1, v3
	v_and_b32_e32 v1, 0x1fffff, v2
                                        ; implicit-def: $vgpr2
	s_delay_alu instid0(VALU_DEP_1) | instskip(SKIP_1) | instid1(VALU_DEP_2)
	v_dual_add_nc_u32 v3, 14, v6 :: v_dual_add_nc_u32 v0, v1, v0
	v_mov_b32_e32 v1, v55
	v_cmpx_ne_u32_e32 0, v3
	s_xor_b32 s10, exec_lo, s10
; %bb.19067:                            ;   in Loop: Header=BB6_16763 Depth=2
	s_delay_alu instid0(VALU_DEP_2) | instskip(SKIP_1) | instid1(VALU_DEP_1)
	v_cmp_lt_u64_e32 vcc_lo, 0xffffff, v[0:1]
	v_add_nc_u32_e32 v2, 15, v6
	v_cndmask_b32_e32 v2, v3, v2, vcc_lo
	v_cndmask_b32_e64 v3, 0, 1, vcc_lo
	s_delay_alu instid0(VALU_DEP_1)
	v_lshrrev_b64 v[0:1], v3, v[0:1]
; %bb.19068:                            ;   in Loop: Header=BB6_16763 Depth=2
	s_and_not1_saveexec_b32 s10, s10
; %bb.19069:                            ;   in Loop: Header=BB6_16763 Depth=2
	s_delay_alu instid0(VALU_DEP_1)
	v_bfe_u32 v2, v0, 23, 1
; %bb.19070:                            ;   in Loop: Header=BB6_16763 Depth=2
	s_or_b32 exec_lo, exec_lo, s10
	s_delay_alu instid0(VALU_DEP_2) | instskip(NEXT) | instid1(VALU_DEP_2)
	v_lshrrev_b64 v[0:1], 21, v[0:1]
	v_cmp_gt_i32_e32 vcc_lo, 32, v2
	v_min_i32_e32 v3, 31, v2
	v_cmp_eq_u32_e64 s10, 0, v2
	s_delay_alu instid0(VALU_DEP_2) | instskip(SKIP_1) | instid1(VALU_DEP_2)
	v_dual_cndmask_b32 v1, 0, v1, vcc_lo :: v_dual_lshlrev_b32 v3, 2, v3
	v_cndmask_b32_e32 v0, 3, v0, vcc_lo
	v_and_b32_e32 v3, 0xfc, v3
	s_delay_alu instid0(VALU_DEP_2) | instskip(NEXT) | instid1(VALU_DEP_2)
	v_cmp_eq_u64_e32 vcc_lo, 0, v[0:1]
	v_and_or_b32 v0, v0, 3, v3
	s_and_b32 s10, s10, vcc_lo
	s_delay_alu instid0(VALU_DEP_1) | instid1(SALU_CYCLE_1)
	v_cndmask_b32_e64 v0, v0, 0, s10
	s_delay_alu instid0(VALU_DEP_1)
	v_or_b32_e32 v120, v0, v5
.LBB6_19071:                            ;   in Loop: Header=BB6_16763 Depth=2
	s_or_b32 exec_lo, exec_lo, s40
                                        ; implicit-def: $vgpr5
.LBB6_19072:                            ;   in Loop: Header=BB6_16763 Depth=2
	s_and_not1_saveexec_b32 s10, s29
; %bb.19073:                            ;   in Loop: Header=BB6_16763 Depth=2
	v_or_b32_e32 v120, 0x7b, v5
; %bb.19074:                            ;   in Loop: Header=BB6_16763 Depth=2
	s_or_b32 exec_lo, exec_lo, s10
                                        ; implicit-def: $vgpr2
                                        ; implicit-def: $vgpr0_vgpr1
                                        ; implicit-def: $vgpr3
.LBB6_19075:                            ;   in Loop: Header=BB6_16763 Depth=2
	s_and_not1_saveexec_b32 s10, s28
	s_cbranch_execz .LBB6_19081
; %bb.19076:                            ;   in Loop: Header=BB6_16763 Depth=2
	s_mov_b32 s28, exec_lo
                                        ; implicit-def: $vgpr120
	v_cmpx_ne_u64_e32 0, v[0:1]
	s_xor_b32 s28, exec_lo, s28
; %bb.19077:                            ;   in Loop: Header=BB6_16763 Depth=2
	v_or_b32_e32 v120, 0x7f, v3
                                        ; implicit-def: $vgpr2
; %bb.19078:                            ;   in Loop: Header=BB6_16763 Depth=2
	s_and_not1_saveexec_b32 s28, s28
; %bb.19079:                            ;   in Loop: Header=BB6_16763 Depth=2
	v_cmp_lt_i32_e32 vcc_lo, -1, v2
	v_cndmask_b32_e32 v120, 0xfc, v30, vcc_lo
; %bb.19080:                            ;   in Loop: Header=BB6_16763 Depth=2
	s_or_b32 exec_lo, exec_lo, s28
.LBB6_19081:                            ;   in Loop: Header=BB6_16763 Depth=2
	s_delay_alu instid0(SALU_CYCLE_1) | instskip(SKIP_3) | instid1(VALU_DEP_2)
	s_or_b32 exec_lo, exec_lo, s10
	v_lshrrev_b16 v0, 8, v54
	v_mov_b32_e32 v1, 0
	s_mov_b32 s28, exec_lo
	v_cmpx_ne_u16_e32 0, v0
	s_cbranch_execz .LBB6_19091
; %bb.19082:                            ;   in Loop: Header=BB6_16763 Depth=2
	v_bfrev_b32_e32 v1, 1
	s_mov_b32 s29, exec_lo
	v_cmpx_ne_u16_e32 0x80, v0
	s_cbranch_execz .LBB6_19090
; %bb.19083:                            ;   in Loop: Header=BB6_16763 Depth=2
	v_and_b32_e32 v3, 0xffff, v0
	s_delay_alu instid0(VALU_DEP_1) | instskip(SKIP_1) | instid1(VALU_DEP_2)
	v_and_b32_e32 v1, 0x7c, v3
	v_and_b32_e32 v2, 3, v3
	v_cmp_ne_u32_e32 vcc_lo, 0x7c, v1
                                        ; implicit-def: $vgpr1
	s_and_saveexec_b32 s10, vcc_lo
	s_delay_alu instid0(SALU_CYCLE_1)
	s_xor_b32 s10, exec_lo, s10
	s_cbranch_execz .LBB6_19087
; %bb.19084:                            ;   in Loop: Header=BB6_16763 Depth=2
	v_bfe_u32 v1, v3, 2, 5
	s_mov_b32 s40, exec_lo
	s_delay_alu instid0(VALU_DEP_1)
	v_cmpx_eq_u32_e32 0, v1
; %bb.19085:                            ;   in Loop: Header=BB6_16763 Depth=2
	v_clz_i32_u32_e32 v1, v2
	s_delay_alu instid0(VALU_DEP_1) | instskip(SKIP_1) | instid1(VALU_DEP_2)
	v_min_u32_e32 v2, 32, v1
	v_mov_b32_e32 v1, v55
	v_subrev_nc_u32_e32 v3, 29, v2
	s_delay_alu instid0(VALU_DEP_1) | instskip(NEXT) | instid1(VALU_DEP_1)
	v_lshlrev_b64_e32 v[0:1], v3, v[0:1]
	v_dual_sub_nc_u32 v1, 30, v2 :: v_dual_bitop2_b32 v2, 3, v0 bitop3:0x40
; %bb.19086:                            ;   in Loop: Header=BB6_16763 Depth=2
	s_or_b32 exec_lo, exec_lo, s40
	v_lshlrev_b32_e32 v0, 16, v54
	s_delay_alu instid0(VALU_DEP_1) | instskip(NEXT) | instid1(VALU_DEP_1)
	v_and_b32_e32 v0, 0x80000000, v0
	v_lshl_add_u32 v0, v1, 23, v0
	s_delay_alu instid0(VALU_DEP_1) | instskip(NEXT) | instid1(VALU_DEP_1)
	v_lshl_or_b32 v0, v2, 21, v0
                                        ; implicit-def: $vgpr2
	v_add_nc_u32_e32 v1, 0x38000000, v0
.LBB6_19087:                            ;   in Loop: Header=BB6_16763 Depth=2
	s_and_not1_saveexec_b32 s40, s10
; %bb.19088:                            ;   in Loop: Header=BB6_16763 Depth=2
	v_cmp_lt_i16_e64 s10, -1, v54
	v_cmp_eq_u32_e32 vcc_lo, 0, v2
	s_delay_alu instid0(VALU_DEP_2) | instskip(NEXT) | instid1(VALU_DEP_1)
	v_cndmask_b32_e64 v0, 0xff800000, v29, s10
	v_cndmask_b32_e32 v1, 0x7f800001, v0, vcc_lo
; %bb.19089:                            ;   in Loop: Header=BB6_16763 Depth=2
	s_or_b32 exec_lo, exec_lo, s40
.LBB6_19090:                            ;   in Loop: Header=BB6_16763 Depth=2
	s_delay_alu instid0(SALU_CYCLE_1)
	s_or_b32 exec_lo, exec_lo, s29
.LBB6_19091:                            ;   in Loop: Header=BB6_16763 Depth=2
	s_delay_alu instid0(SALU_CYCLE_1) | instskip(NEXT) | instid1(VALU_DEP_1)
	s_or_b32 exec_lo, exec_lo, s28
	v_dual_mul_f32 v0, s27, v1 :: v_dual_mov_b32 v3, v55
                                        ; implicit-def: $vgpr121
	s_mov_b32 s10, exec_lo
	s_delay_alu instid0(VALU_DEP_1) | instskip(SKIP_2) | instid1(VALU_DEP_3)
	v_and_b32_e32 v2, 0x7f800000, v0
	v_and_b32_e32 v54, 0x7fffff, v0
	v_lshrrev_b32_e32 v1, 24, v0
	v_cmpx_ne_u64_e32 0x7f800000, v[2:3]
	s_xor_b32 s28, exec_lo, s10
	s_cbranch_execz .LBB6_19105
; %bb.19092:                            ;   in Loop: Header=BB6_16763 Depth=2
	v_and_b32_e32 v2, 0x7fffffff, v0
	v_mov_b32_e32 v3, v55
	v_and_b32_e32 v5, 0x80, v1
                                        ; implicit-def: $vgpr121
	s_mov_b32 s10, exec_lo
	s_delay_alu instid0(VALU_DEP_2)
	v_cmpx_gt_u64_e32 0x47600001, v[2:3]
	s_xor_b32 s29, exec_lo, s10
	s_cbranch_execz .LBB6_19102
; %bb.19093:                            ;   in Loop: Header=BB6_16763 Depth=2
	v_mov_b32_e32 v121, 0
	s_mov_b32 s40, exec_lo
	v_cmpx_ne_u32_e32 0, v0
	s_cbranch_execz .LBB6_19101
; %bb.19094:                            ;   in Loop: Header=BB6_16763 Depth=2
	v_bfe_u32 v6, v0, 23, 8
	v_or_b32_e32 v1, 0x800000, v54
	s_delay_alu instid0(VALU_DEP_2) | instskip(SKIP_2) | instid1(VALU_DEP_2)
	v_cmp_gt_u32_e64 s10, 0x72, v6
	v_sub_nc_u32_e32 v0, 0x71, v6
	v_cmp_eq_u32_e32 vcc_lo, 0, v6
	v_cndmask_b32_e64 v0, 0, v0, s10
	s_delay_alu instid0(VALU_DEP_1) | instskip(SKIP_1) | instid1(VALU_DEP_2)
	v_cndmask_b32_e64 v7, v0, 0x70, vcc_lo
	v_dual_cndmask_b32 v0, v1, v54 :: v_dual_mov_b32 v1, v55
	v_dual_add_nc_u32 v2, 21, v7 :: v_dual_add_nc_u32 v8, 20, v7
	s_delay_alu instid0(VALU_DEP_1) | instskip(NEXT) | instid1(VALU_DEP_2)
	v_lshlrev_b64_e64 v[2:3], v2, -1
	v_lshlrev_b64_e64 v[8:9], v8, 1
	s_delay_alu instid0(VALU_DEP_2) | instskip(SKIP_1) | instid1(VALU_DEP_4)
	v_bfi_b32 v2, v2, 0, v0
	v_lshrrev_b64 v[0:1], v7, v[0:1]
	v_bfi_b32 v3, v3, 0, 0
	s_delay_alu instid0(VALU_DEP_1) | instskip(NEXT) | instid1(VALU_DEP_3)
	v_cmp_eq_u64_e64 s10, v[2:3], v[8:9]
	v_mov_b64_e32 v[2:3], v[0:1]
	s_and_saveexec_b32 s41, s10
; %bb.19095:                            ;   in Loop: Header=BB6_16763 Depth=2
	v_bfe_u32 v2, v0, 21, 1
	v_mov_b32_e32 v3, v55
	s_delay_alu instid0(VALU_DEP_1) | instskip(NEXT) | instid1(VALU_DEP_1)
	v_add_nc_u64_e32 v[2:3], v[0:1], v[2:3]
	v_add_nc_u64_e32 v[2:3], -1, v[2:3]
; %bb.19096:                            ;   in Loop: Header=BB6_16763 Depth=2
	s_or_b32 exec_lo, exec_lo, s41
	v_add_nc_u32_e32 v1, 0xffffff81, v6
	v_lshrrev_b32_e32 v3, 23, v0
	s_mov_b32 s10, exec_lo
	s_delay_alu instid0(VALU_DEP_2) | instskip(NEXT) | instid1(VALU_DEP_1)
	v_cndmask_b32_e64 v1, v1, 0xffffff82, vcc_lo
	v_add3_u32 v6, v7, v1, v3
	v_and_b32_e32 v1, 0x1fffff, v2
                                        ; implicit-def: $vgpr2
	s_delay_alu instid0(VALU_DEP_1) | instskip(NEXT) | instid1(VALU_DEP_1)
	v_dual_add_nc_u32 v3, 14, v6 :: v_dual_add_nc_u32 v54, v1, v0
                                        ; implicit-def: $vgpr0_vgpr1
	v_cmpx_ne_u32_e32 0, v3
	s_xor_b32 s10, exec_lo, s10
; %bb.19097:                            ;   in Loop: Header=BB6_16763 Depth=2
	s_delay_alu instid0(VALU_DEP_2) | instskip(SKIP_1) | instid1(VALU_DEP_1)
	v_cmp_lt_u64_e32 vcc_lo, 0xffffff, v[54:55]
	v_add_nc_u32_e32 v0, 15, v6
	v_cndmask_b32_e32 v2, v3, v0, vcc_lo
	v_cndmask_b32_e64 v0, 0, 1, vcc_lo
	s_delay_alu instid0(VALU_DEP_1)
	v_lshrrev_b64 v[0:1], v0, v[54:55]
; %bb.19098:                            ;   in Loop: Header=BB6_16763 Depth=2
	s_and_not1_saveexec_b32 s10, s10
; %bb.19099:                            ;   in Loop: Header=BB6_16763 Depth=2
	v_mov_b64_e32 v[0:1], v[54:55]
	v_bfe_u32 v2, v54, 23, 1
; %bb.19100:                            ;   in Loop: Header=BB6_16763 Depth=2
	s_or_b32 exec_lo, exec_lo, s10
	s_delay_alu instid0(VALU_DEP_2) | instskip(NEXT) | instid1(VALU_DEP_2)
	v_lshrrev_b64 v[0:1], 21, v[0:1]
	v_cmp_gt_i32_e32 vcc_lo, 32, v2
	v_min_i32_e32 v3, 31, v2
	v_cmp_eq_u32_e64 s10, 0, v2
	s_delay_alu instid0(VALU_DEP_2) | instskip(SKIP_1) | instid1(VALU_DEP_2)
	v_dual_cndmask_b32 v1, 0, v1, vcc_lo :: v_dual_lshlrev_b32 v3, 2, v3
	v_cndmask_b32_e32 v0, 3, v0, vcc_lo
	v_and_b32_e32 v3, 0xfc, v3
	s_delay_alu instid0(VALU_DEP_2) | instskip(NEXT) | instid1(VALU_DEP_2)
	v_cmp_eq_u64_e32 vcc_lo, 0, v[0:1]
	v_and_or_b32 v0, v0, 3, v3
	s_and_b32 s10, s10, vcc_lo
	s_delay_alu instid0(VALU_DEP_1) | instid1(SALU_CYCLE_1)
	v_cndmask_b32_e64 v0, v0, 0, s10
	s_delay_alu instid0(VALU_DEP_1)
	v_or_b32_e32 v121, v0, v5
.LBB6_19101:                            ;   in Loop: Header=BB6_16763 Depth=2
	s_or_b32 exec_lo, exec_lo, s40
                                        ; implicit-def: $vgpr5
.LBB6_19102:                            ;   in Loop: Header=BB6_16763 Depth=2
	s_and_not1_saveexec_b32 s10, s29
; %bb.19103:                            ;   in Loop: Header=BB6_16763 Depth=2
	v_or_b32_e32 v121, 0x7b, v5
; %bb.19104:                            ;   in Loop: Header=BB6_16763 Depth=2
	s_or_b32 exec_lo, exec_lo, s10
                                        ; implicit-def: $vgpr0
                                        ; implicit-def: $vgpr1
.LBB6_19105:                            ;   in Loop: Header=BB6_16763 Depth=2
	s_and_not1_saveexec_b32 s10, s28
	s_cbranch_execz .LBB6_19111
; %bb.19106:                            ;   in Loop: Header=BB6_16763 Depth=2
	s_mov_b32 s28, exec_lo
                                        ; implicit-def: $vgpr121
	v_cmpx_ne_u64_e32 0, v[54:55]
	s_xor_b32 s28, exec_lo, s28
; %bb.19107:                            ;   in Loop: Header=BB6_16763 Depth=2
	v_or_b32_e32 v121, 0x7f, v1
                                        ; implicit-def: $vgpr0
; %bb.19108:                            ;   in Loop: Header=BB6_16763 Depth=2
	s_and_not1_saveexec_b32 s28, s28
; %bb.19109:                            ;   in Loop: Header=BB6_16763 Depth=2
	v_cmp_lt_i32_e32 vcc_lo, -1, v0
	v_cndmask_b32_e32 v121, 0xfc, v30, vcc_lo
; %bb.19110:                            ;   in Loop: Header=BB6_16763 Depth=2
	s_or_b32 exec_lo, exec_lo, s28
.LBB6_19111:                            ;   in Loop: Header=BB6_16763 Depth=2
	s_delay_alu instid0(SALU_CYCLE_1) | instskip(SKIP_2) | instid1(VALU_DEP_1)
	s_or_b32 exec_lo, exec_lo, s10
	v_dual_mov_b32 v1, 0 :: v_dual_lshrrev_b32 v0, 16, v13
	s_mov_b32 s28, exec_lo
	v_and_b32_e32 v2, 0xff, v0
	s_delay_alu instid0(VALU_DEP_1)
	v_cmpx_ne_u16_e32 0, v2
	s_cbranch_execz .LBB6_19121
; %bb.19112:                            ;   in Loop: Header=BB6_16763 Depth=2
	v_bfrev_b32_e32 v1, 1
	s_mov_b32 s29, exec_lo
	v_cmpx_ne_u16_e32 0x80, v2
	s_cbranch_execz .LBB6_19120
; %bb.19113:                            ;   in Loop: Header=BB6_16763 Depth=2
	v_and_b32_e32 v1, 0x7c0000, v13
	v_bfe_u32 v2, v13, 16, 2
	s_delay_alu instid0(VALU_DEP_2) | instskip(SKIP_1) | instid1(SALU_CYCLE_1)
	v_cmp_ne_u32_e32 vcc_lo, 0x7c0000, v1
                                        ; implicit-def: $vgpr1
	s_and_saveexec_b32 s10, vcc_lo
	s_xor_b32 s10, exec_lo, s10
	s_cbranch_execz .LBB6_19117
; %bb.19114:                            ;   in Loop: Header=BB6_16763 Depth=2
	v_bfe_u32 v1, v13, 18, 5
	s_mov_b32 s40, exec_lo
	s_delay_alu instid0(VALU_DEP_1)
	v_cmpx_eq_u32_e32 0, v1
; %bb.19115:                            ;   in Loop: Header=BB6_16763 Depth=2
	v_clz_i32_u32_e32 v1, v2
	s_delay_alu instid0(VALU_DEP_1) | instskip(NEXT) | instid1(VALU_DEP_1)
	v_min_u32_e32 v1, 32, v1
	v_subrev_nc_u32_e32 v2, 29, v1
	s_delay_alu instid0(VALU_DEP_1) | instskip(NEXT) | instid1(VALU_DEP_1)
	v_lshlrev_b64_e32 v[2:3], v2, v[0:1]
	v_dual_sub_nc_u32 v1, 30, v1 :: v_dual_bitop2_b32 v2, 3, v2 bitop3:0x40
; %bb.19116:                            ;   in Loop: Header=BB6_16763 Depth=2
	s_or_b32 exec_lo, exec_lo, s40
	v_lshlrev_b32_e32 v0, 24, v0
	s_delay_alu instid0(VALU_DEP_1) | instskip(NEXT) | instid1(VALU_DEP_1)
	v_and_b32_e32 v0, 0x80000000, v0
	v_lshl_add_u32 v0, v1, 23, v0
	s_delay_alu instid0(VALU_DEP_1) | instskip(NEXT) | instid1(VALU_DEP_1)
	v_lshl_or_b32 v0, v2, 21, v0
                                        ; implicit-def: $vgpr2
	v_add_nc_u32_e32 v1, 0x38000000, v0
                                        ; implicit-def: $vgpr0
.LBB6_19117:                            ;   in Loop: Header=BB6_16763 Depth=2
	s_and_not1_saveexec_b32 s40, s10
; %bb.19118:                            ;   in Loop: Header=BB6_16763 Depth=2
	v_bfe_i32 v0, v0, 0, 8
	v_cmp_eq_u32_e32 vcc_lo, 0, v2
	s_delay_alu instid0(VALU_DEP_2) | instskip(NEXT) | instid1(VALU_DEP_1)
	v_cmp_lt_i16_e64 s10, -1, v0
	v_cndmask_b32_e64 v0, 0xff800000, v29, s10
	s_delay_alu instid0(VALU_DEP_1)
	v_cndmask_b32_e32 v1, 0x7f800001, v0, vcc_lo
; %bb.19119:                            ;   in Loop: Header=BB6_16763 Depth=2
	s_or_b32 exec_lo, exec_lo, s40
.LBB6_19120:                            ;   in Loop: Header=BB6_16763 Depth=2
	s_delay_alu instid0(SALU_CYCLE_1)
	s_or_b32 exec_lo, exec_lo, s29
.LBB6_19121:                            ;   in Loop: Header=BB6_16763 Depth=2
	s_delay_alu instid0(SALU_CYCLE_1) | instskip(NEXT) | instid1(VALU_DEP_1)
	s_or_b32 exec_lo, exec_lo, s28
	v_dual_mul_f32 v0, s27, v1 :: v_dual_mov_b32 v3, v55
                                        ; implicit-def: $vgpr122
	s_mov_b32 s10, exec_lo
	s_delay_alu instid0(VALU_DEP_1) | instskip(SKIP_2) | instid1(VALU_DEP_3)
	v_and_b32_e32 v2, 0x7f800000, v0
	v_and_b32_e32 v54, 0x7fffff, v0
	v_lshrrev_b32_e32 v1, 24, v0
	v_cmpx_ne_u64_e32 0x7f800000, v[2:3]
	s_xor_b32 s28, exec_lo, s10
	s_cbranch_execz .LBB6_19135
; %bb.19122:                            ;   in Loop: Header=BB6_16763 Depth=2
	v_and_b32_e32 v2, 0x7fffffff, v0
	v_mov_b32_e32 v3, v55
	v_and_b32_e32 v5, 0x80, v1
                                        ; implicit-def: $vgpr122
	s_mov_b32 s10, exec_lo
	s_delay_alu instid0(VALU_DEP_2)
	v_cmpx_gt_u64_e32 0x47600001, v[2:3]
	s_xor_b32 s29, exec_lo, s10
	s_cbranch_execz .LBB6_19132
; %bb.19123:                            ;   in Loop: Header=BB6_16763 Depth=2
	v_mov_b32_e32 v122, 0
	s_mov_b32 s40, exec_lo
	v_cmpx_ne_u32_e32 0, v0
	s_cbranch_execz .LBB6_19131
; %bb.19124:                            ;   in Loop: Header=BB6_16763 Depth=2
	v_bfe_u32 v6, v0, 23, 8
	v_or_b32_e32 v1, 0x800000, v54
	s_delay_alu instid0(VALU_DEP_2) | instskip(SKIP_2) | instid1(VALU_DEP_2)
	v_cmp_gt_u32_e64 s10, 0x72, v6
	v_sub_nc_u32_e32 v0, 0x71, v6
	v_cmp_eq_u32_e32 vcc_lo, 0, v6
	v_cndmask_b32_e64 v0, 0, v0, s10
	s_delay_alu instid0(VALU_DEP_1) | instskip(SKIP_1) | instid1(VALU_DEP_2)
	v_cndmask_b32_e64 v7, v0, 0x70, vcc_lo
	v_dual_cndmask_b32 v0, v1, v54 :: v_dual_mov_b32 v1, v55
	v_dual_add_nc_u32 v2, 21, v7 :: v_dual_add_nc_u32 v8, 20, v7
	s_delay_alu instid0(VALU_DEP_1) | instskip(NEXT) | instid1(VALU_DEP_2)
	v_lshlrev_b64_e64 v[2:3], v2, -1
	v_lshlrev_b64_e64 v[8:9], v8, 1
	s_delay_alu instid0(VALU_DEP_2) | instskip(SKIP_1) | instid1(VALU_DEP_4)
	v_bfi_b32 v2, v2, 0, v0
	v_lshrrev_b64 v[0:1], v7, v[0:1]
	v_bfi_b32 v3, v3, 0, 0
	s_delay_alu instid0(VALU_DEP_1) | instskip(NEXT) | instid1(VALU_DEP_3)
	v_cmp_eq_u64_e64 s10, v[2:3], v[8:9]
	v_mov_b64_e32 v[2:3], v[0:1]
	s_and_saveexec_b32 s41, s10
; %bb.19125:                            ;   in Loop: Header=BB6_16763 Depth=2
	v_bfe_u32 v2, v0, 21, 1
	v_mov_b32_e32 v3, v55
	s_delay_alu instid0(VALU_DEP_1) | instskip(NEXT) | instid1(VALU_DEP_1)
	v_add_nc_u64_e32 v[2:3], v[0:1], v[2:3]
	v_add_nc_u64_e32 v[2:3], -1, v[2:3]
; %bb.19126:                            ;   in Loop: Header=BB6_16763 Depth=2
	s_or_b32 exec_lo, exec_lo, s41
	v_add_nc_u32_e32 v1, 0xffffff81, v6
	v_lshrrev_b32_e32 v3, 23, v0
	s_mov_b32 s10, exec_lo
	s_delay_alu instid0(VALU_DEP_2) | instskip(NEXT) | instid1(VALU_DEP_1)
	v_cndmask_b32_e64 v1, v1, 0xffffff82, vcc_lo
	v_add3_u32 v6, v7, v1, v3
	v_and_b32_e32 v1, 0x1fffff, v2
                                        ; implicit-def: $vgpr2
	s_delay_alu instid0(VALU_DEP_1) | instskip(NEXT) | instid1(VALU_DEP_1)
	v_dual_add_nc_u32 v3, 14, v6 :: v_dual_add_nc_u32 v54, v1, v0
                                        ; implicit-def: $vgpr0_vgpr1
	v_cmpx_ne_u32_e32 0, v3
	s_xor_b32 s10, exec_lo, s10
; %bb.19127:                            ;   in Loop: Header=BB6_16763 Depth=2
	s_delay_alu instid0(VALU_DEP_2) | instskip(SKIP_1) | instid1(VALU_DEP_1)
	v_cmp_lt_u64_e32 vcc_lo, 0xffffff, v[54:55]
	v_add_nc_u32_e32 v0, 15, v6
	v_cndmask_b32_e32 v2, v3, v0, vcc_lo
	v_cndmask_b32_e64 v0, 0, 1, vcc_lo
	s_delay_alu instid0(VALU_DEP_1)
	v_lshrrev_b64 v[0:1], v0, v[54:55]
; %bb.19128:                            ;   in Loop: Header=BB6_16763 Depth=2
	s_and_not1_saveexec_b32 s10, s10
; %bb.19129:                            ;   in Loop: Header=BB6_16763 Depth=2
	v_mov_b64_e32 v[0:1], v[54:55]
	v_bfe_u32 v2, v54, 23, 1
; %bb.19130:                            ;   in Loop: Header=BB6_16763 Depth=2
	s_or_b32 exec_lo, exec_lo, s10
	s_delay_alu instid0(VALU_DEP_2) | instskip(NEXT) | instid1(VALU_DEP_2)
	v_lshrrev_b64 v[0:1], 21, v[0:1]
	v_cmp_gt_i32_e32 vcc_lo, 32, v2
	v_min_i32_e32 v3, 31, v2
	v_cmp_eq_u32_e64 s10, 0, v2
	s_delay_alu instid0(VALU_DEP_2) | instskip(SKIP_1) | instid1(VALU_DEP_2)
	v_dual_cndmask_b32 v1, 0, v1, vcc_lo :: v_dual_lshlrev_b32 v3, 2, v3
	v_cndmask_b32_e32 v0, 3, v0, vcc_lo
	v_and_b32_e32 v3, 0xfc, v3
	s_delay_alu instid0(VALU_DEP_2) | instskip(NEXT) | instid1(VALU_DEP_2)
	v_cmp_eq_u64_e32 vcc_lo, 0, v[0:1]
	v_and_or_b32 v0, v0, 3, v3
	s_and_b32 s10, s10, vcc_lo
	s_delay_alu instid0(VALU_DEP_1) | instid1(SALU_CYCLE_1)
	v_cndmask_b32_e64 v0, v0, 0, s10
	s_delay_alu instid0(VALU_DEP_1)
	v_or_b32_e32 v122, v0, v5
.LBB6_19131:                            ;   in Loop: Header=BB6_16763 Depth=2
	s_or_b32 exec_lo, exec_lo, s40
                                        ; implicit-def: $vgpr5
.LBB6_19132:                            ;   in Loop: Header=BB6_16763 Depth=2
	s_and_not1_saveexec_b32 s10, s29
; %bb.19133:                            ;   in Loop: Header=BB6_16763 Depth=2
	v_or_b32_e32 v122, 0x7b, v5
; %bb.19134:                            ;   in Loop: Header=BB6_16763 Depth=2
	s_or_b32 exec_lo, exec_lo, s10
                                        ; implicit-def: $vgpr0
                                        ; implicit-def: $vgpr1
.LBB6_19135:                            ;   in Loop: Header=BB6_16763 Depth=2
	s_and_not1_saveexec_b32 s10, s28
	s_cbranch_execz .LBB6_19141
; %bb.19136:                            ;   in Loop: Header=BB6_16763 Depth=2
	s_mov_b32 s28, exec_lo
                                        ; implicit-def: $vgpr122
	v_cmpx_ne_u64_e32 0, v[54:55]
	s_xor_b32 s28, exec_lo, s28
; %bb.19137:                            ;   in Loop: Header=BB6_16763 Depth=2
	v_or_b32_e32 v122, 0x7f, v1
                                        ; implicit-def: $vgpr0
; %bb.19138:                            ;   in Loop: Header=BB6_16763 Depth=2
	s_and_not1_saveexec_b32 s28, s28
; %bb.19139:                            ;   in Loop: Header=BB6_16763 Depth=2
	v_cmp_lt_i32_e32 vcc_lo, -1, v0
	v_cndmask_b32_e32 v122, 0xfc, v30, vcc_lo
; %bb.19140:                            ;   in Loop: Header=BB6_16763 Depth=2
	s_or_b32 exec_lo, exec_lo, s28
.LBB6_19141:                            ;   in Loop: Header=BB6_16763 Depth=2
	s_delay_alu instid0(SALU_CYCLE_1)
	s_or_b32 exec_lo, exec_lo, s10
	v_mov_b32_e32 v1, 0
	s_mov_b32 s28, exec_lo
	v_cmpx_lt_u64_e64 s[12:13], v[12:13]
	s_cbranch_execz .LBB6_19151
; %bb.19142:                            ;   in Loop: Header=BB6_16763 Depth=2
	v_lshrrev_b32_e32 v0, 24, v13
	v_bfrev_b32_e32 v1, 1
	s_mov_b32 s29, exec_lo
	s_delay_alu instid0(VALU_DEP_2)
	v_cmpx_ne_u32_e32 0x80, v0
	s_cbranch_execz .LBB6_19150
; %bb.19143:                            ;   in Loop: Header=BB6_16763 Depth=2
	v_and_b32_e32 v1, 0x7c000000, v13
	v_bfe_u32 v2, v13, 24, 2
	s_delay_alu instid0(VALU_DEP_2) | instskip(SKIP_1) | instid1(SALU_CYCLE_1)
	v_cmp_ne_u32_e32 vcc_lo, 0x7c000000, v1
                                        ; implicit-def: $vgpr1
	s_and_saveexec_b32 s10, vcc_lo
	s_xor_b32 s10, exec_lo, s10
	s_cbranch_execz .LBB6_19147
; %bb.19144:                            ;   in Loop: Header=BB6_16763 Depth=2
	v_bfe_u32 v1, v13, 26, 5
	s_mov_b32 s40, exec_lo
	s_delay_alu instid0(VALU_DEP_1)
	v_cmpx_eq_u32_e32 0, v1
; %bb.19145:                            ;   in Loop: Header=BB6_16763 Depth=2
	v_clz_i32_u32_e32 v1, v2
	s_delay_alu instid0(VALU_DEP_1) | instskip(NEXT) | instid1(VALU_DEP_1)
	v_min_u32_e32 v2, 32, v1
	v_subrev_nc_u32_e32 v1, 29, v2
	s_delay_alu instid0(VALU_DEP_1) | instskip(NEXT) | instid1(VALU_DEP_1)
	v_lshlrev_b64_e32 v[0:1], v1, v[0:1]
	v_dual_sub_nc_u32 v1, 30, v2 :: v_dual_bitop2_b32 v2, 3, v0 bitop3:0x40
; %bb.19146:                            ;   in Loop: Header=BB6_16763 Depth=2
	s_or_b32 exec_lo, exec_lo, s40
	v_and_b32_e32 v0, 0x80000000, v13
                                        ; implicit-def: $vgpr12_vgpr13
	s_delay_alu instid0(VALU_DEP_1) | instskip(NEXT) | instid1(VALU_DEP_1)
	v_lshl_add_u32 v0, v1, 23, v0
	v_lshl_or_b32 v0, v2, 21, v0
                                        ; implicit-def: $vgpr2
	s_delay_alu instid0(VALU_DEP_1)
	v_add_nc_u32_e32 v1, 0x38000000, v0
.LBB6_19147:                            ;   in Loop: Header=BB6_16763 Depth=2
	s_and_not1_saveexec_b32 s40, s10
; %bb.19148:                            ;   in Loop: Header=BB6_16763 Depth=2
	v_cmp_lt_i64_e64 s10, -1, v[12:13]
	v_cmp_eq_u32_e32 vcc_lo, 0, v2
	s_delay_alu instid0(VALU_DEP_2) | instskip(NEXT) | instid1(VALU_DEP_1)
	v_cndmask_b32_e64 v0, 0xff800000, v29, s10
	v_cndmask_b32_e32 v1, 0x7f800001, v0, vcc_lo
; %bb.19149:                            ;   in Loop: Header=BB6_16763 Depth=2
	s_or_b32 exec_lo, exec_lo, s40
.LBB6_19150:                            ;   in Loop: Header=BB6_16763 Depth=2
	s_delay_alu instid0(SALU_CYCLE_1)
	s_or_b32 exec_lo, exec_lo, s29
.LBB6_19151:                            ;   in Loop: Header=BB6_16763 Depth=2
	s_delay_alu instid0(SALU_CYCLE_1) | instskip(NEXT) | instid1(VALU_DEP_1)
	s_or_b32 exec_lo, exec_lo, s28
	v_dual_mul_f32 v0, s27, v1 :: v_dual_mov_b32 v3, v55
                                        ; implicit-def: $vgpr123
	s_mov_b32 s10, exec_lo
	s_delay_alu instid0(VALU_DEP_1) | instskip(SKIP_2) | instid1(VALU_DEP_3)
	v_and_b32_e32 v2, 0x7f800000, v0
	v_and_b32_e32 v54, 0x7fffff, v0
	v_lshrrev_b32_e32 v1, 24, v0
	v_cmpx_ne_u64_e32 0x7f800000, v[2:3]
	s_xor_b32 s28, exec_lo, s10
	s_cbranch_execz .LBB6_19165
; %bb.19152:                            ;   in Loop: Header=BB6_16763 Depth=2
	v_and_b32_e32 v2, 0x7fffffff, v0
	v_mov_b32_e32 v3, v55
	v_and_b32_e32 v5, 0x80, v1
                                        ; implicit-def: $vgpr123
	s_mov_b32 s10, exec_lo
	s_delay_alu instid0(VALU_DEP_2)
	v_cmpx_gt_u64_e32 0x47600001, v[2:3]
	s_xor_b32 s29, exec_lo, s10
	s_cbranch_execz .LBB6_19162
; %bb.19153:                            ;   in Loop: Header=BB6_16763 Depth=2
	v_mov_b32_e32 v123, 0
	s_mov_b32 s40, exec_lo
	v_cmpx_ne_u32_e32 0, v0
	s_cbranch_execz .LBB6_19161
; %bb.19154:                            ;   in Loop: Header=BB6_16763 Depth=2
	v_bfe_u32 v6, v0, 23, 8
	v_or_b32_e32 v1, 0x800000, v54
	s_delay_alu instid0(VALU_DEP_2) | instskip(SKIP_2) | instid1(VALU_DEP_2)
	v_cmp_gt_u32_e64 s10, 0x72, v6
	v_sub_nc_u32_e32 v0, 0x71, v6
	v_cmp_eq_u32_e32 vcc_lo, 0, v6
	v_cndmask_b32_e64 v0, 0, v0, s10
	s_delay_alu instid0(VALU_DEP_1) | instskip(SKIP_1) | instid1(VALU_DEP_2)
	v_cndmask_b32_e64 v7, v0, 0x70, vcc_lo
	v_dual_cndmask_b32 v0, v1, v54 :: v_dual_mov_b32 v1, v55
	v_dual_add_nc_u32 v2, 21, v7 :: v_dual_add_nc_u32 v8, 20, v7
	s_delay_alu instid0(VALU_DEP_1) | instskip(NEXT) | instid1(VALU_DEP_2)
	v_lshlrev_b64_e64 v[2:3], v2, -1
	v_lshlrev_b64_e64 v[8:9], v8, 1
	s_delay_alu instid0(VALU_DEP_2) | instskip(SKIP_1) | instid1(VALU_DEP_4)
	v_bfi_b32 v2, v2, 0, v0
	v_lshrrev_b64 v[0:1], v7, v[0:1]
	v_bfi_b32 v3, v3, 0, 0
	s_delay_alu instid0(VALU_DEP_1) | instskip(NEXT) | instid1(VALU_DEP_3)
	v_cmp_eq_u64_e64 s10, v[2:3], v[8:9]
	v_mov_b64_e32 v[2:3], v[0:1]
	s_and_saveexec_b32 s41, s10
; %bb.19155:                            ;   in Loop: Header=BB6_16763 Depth=2
	v_bfe_u32 v2, v0, 21, 1
	v_mov_b32_e32 v3, v55
	s_delay_alu instid0(VALU_DEP_1) | instskip(NEXT) | instid1(VALU_DEP_1)
	v_add_nc_u64_e32 v[2:3], v[0:1], v[2:3]
	v_add_nc_u64_e32 v[2:3], -1, v[2:3]
; %bb.19156:                            ;   in Loop: Header=BB6_16763 Depth=2
	s_or_b32 exec_lo, exec_lo, s41
	v_add_nc_u32_e32 v1, 0xffffff81, v6
	v_lshrrev_b32_e32 v3, 23, v0
	s_mov_b32 s10, exec_lo
	s_delay_alu instid0(VALU_DEP_2) | instskip(NEXT) | instid1(VALU_DEP_1)
	v_cndmask_b32_e64 v1, v1, 0xffffff82, vcc_lo
	v_add3_u32 v6, v7, v1, v3
	v_and_b32_e32 v1, 0x1fffff, v2
                                        ; implicit-def: $vgpr2
	s_delay_alu instid0(VALU_DEP_1) | instskip(NEXT) | instid1(VALU_DEP_1)
	v_dual_add_nc_u32 v3, 14, v6 :: v_dual_add_nc_u32 v54, v1, v0
                                        ; implicit-def: $vgpr0_vgpr1
	v_cmpx_ne_u32_e32 0, v3
	s_xor_b32 s10, exec_lo, s10
; %bb.19157:                            ;   in Loop: Header=BB6_16763 Depth=2
	s_delay_alu instid0(VALU_DEP_2) | instskip(SKIP_1) | instid1(VALU_DEP_1)
	v_cmp_lt_u64_e32 vcc_lo, 0xffffff, v[54:55]
	v_add_nc_u32_e32 v0, 15, v6
	v_cndmask_b32_e32 v2, v3, v0, vcc_lo
	v_cndmask_b32_e64 v0, 0, 1, vcc_lo
	s_delay_alu instid0(VALU_DEP_1)
	v_lshrrev_b64 v[0:1], v0, v[54:55]
; %bb.19158:                            ;   in Loop: Header=BB6_16763 Depth=2
	s_and_not1_saveexec_b32 s10, s10
; %bb.19159:                            ;   in Loop: Header=BB6_16763 Depth=2
	v_mov_b64_e32 v[0:1], v[54:55]
	v_bfe_u32 v2, v54, 23, 1
; %bb.19160:                            ;   in Loop: Header=BB6_16763 Depth=2
	s_or_b32 exec_lo, exec_lo, s10
	s_delay_alu instid0(VALU_DEP_2) | instskip(NEXT) | instid1(VALU_DEP_2)
	v_lshrrev_b64 v[0:1], 21, v[0:1]
	v_cmp_gt_i32_e32 vcc_lo, 32, v2
	v_min_i32_e32 v3, 31, v2
	v_cmp_eq_u32_e64 s10, 0, v2
	s_delay_alu instid0(VALU_DEP_2) | instskip(SKIP_1) | instid1(VALU_DEP_2)
	v_dual_cndmask_b32 v1, 0, v1, vcc_lo :: v_dual_lshlrev_b32 v3, 2, v3
	v_cndmask_b32_e32 v0, 3, v0, vcc_lo
	v_and_b32_e32 v3, 0xfc, v3
	s_delay_alu instid0(VALU_DEP_2) | instskip(NEXT) | instid1(VALU_DEP_2)
	v_cmp_eq_u64_e32 vcc_lo, 0, v[0:1]
	v_and_or_b32 v0, v0, 3, v3
	s_and_b32 s10, s10, vcc_lo
	s_delay_alu instid0(VALU_DEP_1) | instid1(SALU_CYCLE_1)
	v_cndmask_b32_e64 v0, v0, 0, s10
	s_delay_alu instid0(VALU_DEP_1)
	v_or_b32_e32 v123, v0, v5
.LBB6_19161:                            ;   in Loop: Header=BB6_16763 Depth=2
	s_or_b32 exec_lo, exec_lo, s40
                                        ; implicit-def: $vgpr5
.LBB6_19162:                            ;   in Loop: Header=BB6_16763 Depth=2
	s_and_not1_saveexec_b32 s10, s29
; %bb.19163:                            ;   in Loop: Header=BB6_16763 Depth=2
	v_or_b32_e32 v123, 0x7b, v5
; %bb.19164:                            ;   in Loop: Header=BB6_16763 Depth=2
	s_or_b32 exec_lo, exec_lo, s10
                                        ; implicit-def: $vgpr0
                                        ; implicit-def: $vgpr1
.LBB6_19165:                            ;   in Loop: Header=BB6_16763 Depth=2
	s_and_not1_saveexec_b32 s10, s28
	s_cbranch_execz .LBB6_19171
; %bb.19166:                            ;   in Loop: Header=BB6_16763 Depth=2
	s_mov_b32 s28, exec_lo
                                        ; implicit-def: $vgpr123
	v_cmpx_ne_u64_e32 0, v[54:55]
	s_xor_b32 s28, exec_lo, s28
; %bb.19167:                            ;   in Loop: Header=BB6_16763 Depth=2
	v_or_b32_e32 v123, 0x7f, v1
                                        ; implicit-def: $vgpr0
; %bb.19168:                            ;   in Loop: Header=BB6_16763 Depth=2
	s_and_not1_saveexec_b32 s28, s28
; %bb.19169:                            ;   in Loop: Header=BB6_16763 Depth=2
	v_cmp_lt_i32_e32 vcc_lo, -1, v0
	v_cndmask_b32_e32 v123, 0xfc, v30, vcc_lo
; %bb.19170:                            ;   in Loop: Header=BB6_16763 Depth=2
	s_or_b32 exec_lo, exec_lo, s28
.LBB6_19171:                            ;   in Loop: Header=BB6_16763 Depth=2
	s_delay_alu instid0(SALU_CYCLE_1) | instskip(SKIP_3) | instid1(VALU_DEP_1)
	s_or_b32 exec_lo, exec_lo, s10
	global_load_b128 v[10:13], v[14:15], off offset:2560 th:TH_LOAD_NT
	s_wait_loadcnt 0x0
	v_and_b32_e32 v0, 0xff, v10
	v_cmp_ne_u16_e32 vcc_lo, 0, v0
	v_mov_b32_e32 v0, 0
	s_wait_xcnt 0x0
	s_and_saveexec_b32 s28, vcc_lo
	s_cbranch_execz .LBB6_19181
; %bb.19172:                            ;   in Loop: Header=BB6_16763 Depth=2
	v_bfe_i32 v2, v10, 0, 8
	v_bfrev_b32_e32 v0, 1
	s_mov_b32 s29, exec_lo
	s_delay_alu instid0(VALU_DEP_2)
	v_cmpx_ne_u16_e32 0xff80, v2
	s_cbranch_execz .LBB6_19180
; %bb.19173:                            ;   in Loop: Header=BB6_16763 Depth=2
	v_and_b32_e32 v0, 0x7c, v10
	v_and_b32_e32 v1, 3, v10
	s_delay_alu instid0(VALU_DEP_2) | instskip(SKIP_1) | instid1(SALU_CYCLE_1)
	v_cmp_ne_u32_e32 vcc_lo, 0x7c, v0
                                        ; implicit-def: $vgpr0
	s_and_saveexec_b32 s10, vcc_lo
	s_xor_b32 s10, exec_lo, s10
	s_cbranch_execz .LBB6_19177
; %bb.19174:                            ;   in Loop: Header=BB6_16763 Depth=2
	v_bfe_u32 v0, v10, 2, 5
	s_mov_b32 s40, exec_lo
	s_delay_alu instid0(VALU_DEP_1)
	v_cmpx_eq_u32_e32 0, v0
; %bb.19175:                            ;   in Loop: Header=BB6_16763 Depth=2
	v_clz_i32_u32_e32 v0, v1
	s_delay_alu instid0(VALU_DEP_1) | instskip(NEXT) | instid1(VALU_DEP_1)
	v_min_u32_e32 v0, 32, v0
	v_subrev_nc_u32_e32 v1, 29, v0
	s_delay_alu instid0(VALU_DEP_1) | instskip(NEXT) | instid1(VALU_DEP_1)
	v_lshlrev_b64_e32 v[2:3], v1, v[10:11]
	v_dual_sub_nc_u32 v0, 30, v0 :: v_dual_bitop2_b32 v1, 3, v2 bitop3:0x40
; %bb.19176:                            ;   in Loop: Header=BB6_16763 Depth=2
	s_or_b32 exec_lo, exec_lo, s40
	v_lshlrev_b32_e32 v2, 24, v10
	s_delay_alu instid0(VALU_DEP_1) | instskip(NEXT) | instid1(VALU_DEP_1)
	v_and_b32_e32 v2, 0x80000000, v2
	v_lshl_add_u32 v0, v0, 23, v2
                                        ; implicit-def: $vgpr2
	s_delay_alu instid0(VALU_DEP_1) | instskip(NEXT) | instid1(VALU_DEP_1)
	v_lshl_or_b32 v0, v1, 21, v0
                                        ; implicit-def: $vgpr1
	v_add_nc_u32_e32 v0, 0x38000000, v0
.LBB6_19177:                            ;   in Loop: Header=BB6_16763 Depth=2
	s_and_not1_saveexec_b32 s40, s10
; %bb.19178:                            ;   in Loop: Header=BB6_16763 Depth=2
	v_cmp_lt_i16_e64 s10, -1, v2
	v_cmp_eq_u32_e32 vcc_lo, 0, v1
	s_delay_alu instid0(VALU_DEP_2) | instskip(NEXT) | instid1(VALU_DEP_1)
	v_cndmask_b32_e64 v0, 0xff800000, v29, s10
	v_cndmask_b32_e32 v0, 0x7f800001, v0, vcc_lo
; %bb.19179:                            ;   in Loop: Header=BB6_16763 Depth=2
	s_or_b32 exec_lo, exec_lo, s40
.LBB6_19180:                            ;   in Loop: Header=BB6_16763 Depth=2
	s_delay_alu instid0(SALU_CYCLE_1)
	s_or_b32 exec_lo, exec_lo, s29
.LBB6_19181:                            ;   in Loop: Header=BB6_16763 Depth=2
	s_delay_alu instid0(SALU_CYCLE_1) | instskip(NEXT) | instid1(VALU_DEP_1)
	s_or_b32 exec_lo, exec_lo, s28
	v_dual_mul_f32 v0, s27, v0 :: v_dual_mov_b32 v3, v55
                                        ; implicit-def: $vgpr16
	s_mov_b32 s10, exec_lo
	s_delay_alu instid0(VALU_DEP_1) | instskip(SKIP_2) | instid1(VALU_DEP_3)
	v_and_b32_e32 v2, 0x7f800000, v0
	v_and_b32_e32 v54, 0x7fffff, v0
	v_lshrrev_b32_e32 v1, 24, v0
	v_cmpx_ne_u64_e32 0x7f800000, v[2:3]
	s_xor_b32 s28, exec_lo, s10
	s_cbranch_execz .LBB6_19195
; %bb.19182:                            ;   in Loop: Header=BB6_16763 Depth=2
	v_and_b32_e32 v2, 0x7fffffff, v0
	v_mov_b32_e32 v3, v55
	v_and_b32_e32 v5, 0x80, v1
                                        ; implicit-def: $vgpr16
	s_mov_b32 s10, exec_lo
	s_delay_alu instid0(VALU_DEP_2)
	v_cmpx_gt_u64_e32 0x47600001, v[2:3]
	s_xor_b32 s29, exec_lo, s10
	s_cbranch_execz .LBB6_19192
; %bb.19183:                            ;   in Loop: Header=BB6_16763 Depth=2
	v_mov_b32_e32 v16, 0
	s_mov_b32 s40, exec_lo
	v_cmpx_ne_u32_e32 0, v0
	s_cbranch_execz .LBB6_19191
; %bb.19184:                            ;   in Loop: Header=BB6_16763 Depth=2
	v_bfe_u32 v6, v0, 23, 8
	v_or_b32_e32 v1, 0x800000, v54
	s_delay_alu instid0(VALU_DEP_2) | instskip(SKIP_2) | instid1(VALU_DEP_2)
	v_cmp_gt_u32_e64 s10, 0x72, v6
	v_sub_nc_u32_e32 v0, 0x71, v6
	v_cmp_eq_u32_e32 vcc_lo, 0, v6
	v_cndmask_b32_e64 v0, 0, v0, s10
	s_delay_alu instid0(VALU_DEP_1) | instskip(SKIP_1) | instid1(VALU_DEP_2)
	v_cndmask_b32_e64 v7, v0, 0x70, vcc_lo
	v_dual_cndmask_b32 v0, v1, v54 :: v_dual_mov_b32 v1, v55
	v_dual_add_nc_u32 v2, 21, v7 :: v_dual_add_nc_u32 v8, 20, v7
	s_delay_alu instid0(VALU_DEP_1) | instskip(NEXT) | instid1(VALU_DEP_2)
	v_lshlrev_b64_e64 v[2:3], v2, -1
	v_lshlrev_b64_e64 v[8:9], v8, 1
	s_delay_alu instid0(VALU_DEP_2) | instskip(SKIP_1) | instid1(VALU_DEP_4)
	v_bfi_b32 v2, v2, 0, v0
	v_lshrrev_b64 v[0:1], v7, v[0:1]
	v_bfi_b32 v3, v3, 0, 0
	s_delay_alu instid0(VALU_DEP_1) | instskip(NEXT) | instid1(VALU_DEP_3)
	v_cmp_eq_u64_e64 s10, v[2:3], v[8:9]
	v_mov_b64_e32 v[2:3], v[0:1]
	s_and_saveexec_b32 s41, s10
; %bb.19185:                            ;   in Loop: Header=BB6_16763 Depth=2
	v_bfe_u32 v2, v0, 21, 1
	v_mov_b32_e32 v3, v55
	s_delay_alu instid0(VALU_DEP_1) | instskip(NEXT) | instid1(VALU_DEP_1)
	v_add_nc_u64_e32 v[2:3], v[0:1], v[2:3]
	v_add_nc_u64_e32 v[2:3], -1, v[2:3]
; %bb.19186:                            ;   in Loop: Header=BB6_16763 Depth=2
	s_or_b32 exec_lo, exec_lo, s41
	v_add_nc_u32_e32 v1, 0xffffff81, v6
	v_lshrrev_b32_e32 v3, 23, v0
	s_mov_b32 s10, exec_lo
	s_delay_alu instid0(VALU_DEP_2) | instskip(NEXT) | instid1(VALU_DEP_1)
	v_cndmask_b32_e64 v1, v1, 0xffffff82, vcc_lo
	v_add3_u32 v6, v7, v1, v3
	v_and_b32_e32 v1, 0x1fffff, v2
                                        ; implicit-def: $vgpr2
	s_delay_alu instid0(VALU_DEP_1) | instskip(NEXT) | instid1(VALU_DEP_1)
	v_dual_add_nc_u32 v3, 14, v6 :: v_dual_add_nc_u32 v54, v1, v0
                                        ; implicit-def: $vgpr0_vgpr1
	v_cmpx_ne_u32_e32 0, v3
	s_xor_b32 s10, exec_lo, s10
; %bb.19187:                            ;   in Loop: Header=BB6_16763 Depth=2
	s_delay_alu instid0(VALU_DEP_2) | instskip(SKIP_1) | instid1(VALU_DEP_1)
	v_cmp_lt_u64_e32 vcc_lo, 0xffffff, v[54:55]
	v_add_nc_u32_e32 v0, 15, v6
	v_cndmask_b32_e32 v2, v3, v0, vcc_lo
	v_cndmask_b32_e64 v0, 0, 1, vcc_lo
	s_delay_alu instid0(VALU_DEP_1)
	v_lshrrev_b64 v[0:1], v0, v[54:55]
; %bb.19188:                            ;   in Loop: Header=BB6_16763 Depth=2
	s_and_not1_saveexec_b32 s10, s10
; %bb.19189:                            ;   in Loop: Header=BB6_16763 Depth=2
	v_mov_b64_e32 v[0:1], v[54:55]
	v_bfe_u32 v2, v54, 23, 1
; %bb.19190:                            ;   in Loop: Header=BB6_16763 Depth=2
	s_or_b32 exec_lo, exec_lo, s10
	s_delay_alu instid0(VALU_DEP_2) | instskip(NEXT) | instid1(VALU_DEP_2)
	v_lshrrev_b64 v[0:1], 21, v[0:1]
	v_cmp_gt_i32_e32 vcc_lo, 32, v2
	v_min_i32_e32 v3, 31, v2
	v_cmp_eq_u32_e64 s10, 0, v2
	s_delay_alu instid0(VALU_DEP_2) | instskip(SKIP_1) | instid1(VALU_DEP_2)
	v_dual_cndmask_b32 v1, 0, v1, vcc_lo :: v_dual_lshlrev_b32 v3, 2, v3
	v_cndmask_b32_e32 v0, 3, v0, vcc_lo
	v_and_b32_e32 v3, 0xfc, v3
	s_delay_alu instid0(VALU_DEP_2) | instskip(NEXT) | instid1(VALU_DEP_2)
	v_cmp_eq_u64_e32 vcc_lo, 0, v[0:1]
	v_and_or_b32 v0, v0, 3, v3
	s_and_b32 s10, s10, vcc_lo
	s_delay_alu instid0(VALU_DEP_1) | instid1(SALU_CYCLE_1)
	v_cndmask_b32_e64 v0, v0, 0, s10
	s_delay_alu instid0(VALU_DEP_1)
	v_or_b32_e32 v16, v0, v5
.LBB6_19191:                            ;   in Loop: Header=BB6_16763 Depth=2
	s_or_b32 exec_lo, exec_lo, s40
                                        ; implicit-def: $vgpr5
.LBB6_19192:                            ;   in Loop: Header=BB6_16763 Depth=2
	s_and_not1_saveexec_b32 s10, s29
; %bb.19193:                            ;   in Loop: Header=BB6_16763 Depth=2
	v_or_b32_e32 v16, 0x7b, v5
; %bb.19194:                            ;   in Loop: Header=BB6_16763 Depth=2
	s_or_b32 exec_lo, exec_lo, s10
                                        ; implicit-def: $vgpr0
                                        ; implicit-def: $vgpr1
.LBB6_19195:                            ;   in Loop: Header=BB6_16763 Depth=2
	s_and_not1_saveexec_b32 s10, s28
	s_cbranch_execz .LBB6_19201
; %bb.19196:                            ;   in Loop: Header=BB6_16763 Depth=2
	s_mov_b32 s28, exec_lo
                                        ; implicit-def: $vgpr16
	v_cmpx_ne_u64_e32 0, v[54:55]
	s_xor_b32 s28, exec_lo, s28
; %bb.19197:                            ;   in Loop: Header=BB6_16763 Depth=2
	v_or_b32_e32 v16, 0x7f, v1
                                        ; implicit-def: $vgpr0
; %bb.19198:                            ;   in Loop: Header=BB6_16763 Depth=2
	s_and_not1_saveexec_b32 s28, s28
; %bb.19199:                            ;   in Loop: Header=BB6_16763 Depth=2
	v_cmp_lt_i32_e32 vcc_lo, -1, v0
	v_cndmask_b32_e32 v16, 0xfc, v30, vcc_lo
; %bb.19200:                            ;   in Loop: Header=BB6_16763 Depth=2
	s_or_b32 exec_lo, exec_lo, s28
.LBB6_19201:                            ;   in Loop: Header=BB6_16763 Depth=2
	s_delay_alu instid0(SALU_CYCLE_1) | instskip(SKIP_3) | instid1(VALU_DEP_2)
	s_or_b32 exec_lo, exec_lo, s10
	v_lshrrev_b16 v0, 8, v10
	v_mov_b32_e32 v1, 0
	s_mov_b32 s28, exec_lo
	v_cmpx_ne_u16_e32 0, v0
	s_cbranch_execz .LBB6_19211
; %bb.19202:                            ;   in Loop: Header=BB6_16763 Depth=2
	v_bfrev_b32_e32 v1, 1
	s_mov_b32 s29, exec_lo
	v_cmpx_ne_u16_e32 0x80, v0
	s_cbranch_execz .LBB6_19210
; %bb.19203:                            ;   in Loop: Header=BB6_16763 Depth=2
	v_and_b32_e32 v3, 0xffff, v0
	s_delay_alu instid0(VALU_DEP_1) | instskip(SKIP_1) | instid1(VALU_DEP_2)
	v_and_b32_e32 v1, 0x7c, v3
	v_and_b32_e32 v2, 3, v3
	v_cmp_ne_u32_e32 vcc_lo, 0x7c, v1
                                        ; implicit-def: $vgpr1
	s_and_saveexec_b32 s10, vcc_lo
	s_delay_alu instid0(SALU_CYCLE_1)
	s_xor_b32 s10, exec_lo, s10
	s_cbranch_execz .LBB6_19207
; %bb.19204:                            ;   in Loop: Header=BB6_16763 Depth=2
	v_bfe_u32 v1, v3, 2, 5
	s_mov_b32 s40, exec_lo
	s_delay_alu instid0(VALU_DEP_1)
	v_cmpx_eq_u32_e32 0, v1
; %bb.19205:                            ;   in Loop: Header=BB6_16763 Depth=2
	v_clz_i32_u32_e32 v1, v2
	s_delay_alu instid0(VALU_DEP_1) | instskip(SKIP_1) | instid1(VALU_DEP_2)
	v_min_u32_e32 v2, 32, v1
	v_mov_b32_e32 v1, v55
	v_subrev_nc_u32_e32 v3, 29, v2
	s_delay_alu instid0(VALU_DEP_1) | instskip(NEXT) | instid1(VALU_DEP_1)
	v_lshlrev_b64_e32 v[0:1], v3, v[0:1]
	v_dual_sub_nc_u32 v1, 30, v2 :: v_dual_bitop2_b32 v2, 3, v0 bitop3:0x40
; %bb.19206:                            ;   in Loop: Header=BB6_16763 Depth=2
	s_or_b32 exec_lo, exec_lo, s40
	v_lshlrev_b32_e32 v0, 16, v10
	s_delay_alu instid0(VALU_DEP_1) | instskip(NEXT) | instid1(VALU_DEP_1)
	v_and_b32_e32 v0, 0x80000000, v0
	v_lshl_add_u32 v0, v1, 23, v0
	s_delay_alu instid0(VALU_DEP_1) | instskip(NEXT) | instid1(VALU_DEP_1)
	v_lshl_or_b32 v0, v2, 21, v0
                                        ; implicit-def: $vgpr2
	v_add_nc_u32_e32 v1, 0x38000000, v0
.LBB6_19207:                            ;   in Loop: Header=BB6_16763 Depth=2
	s_and_not1_saveexec_b32 s40, s10
; %bb.19208:                            ;   in Loop: Header=BB6_16763 Depth=2
	v_cmp_lt_i16_e64 s10, -1, v10
	v_cmp_eq_u32_e32 vcc_lo, 0, v2
	s_delay_alu instid0(VALU_DEP_2) | instskip(NEXT) | instid1(VALU_DEP_1)
	v_cndmask_b32_e64 v0, 0xff800000, v29, s10
	v_cndmask_b32_e32 v1, 0x7f800001, v0, vcc_lo
; %bb.19209:                            ;   in Loop: Header=BB6_16763 Depth=2
	s_or_b32 exec_lo, exec_lo, s40
.LBB6_19210:                            ;   in Loop: Header=BB6_16763 Depth=2
	s_delay_alu instid0(SALU_CYCLE_1)
	s_or_b32 exec_lo, exec_lo, s29
.LBB6_19211:                            ;   in Loop: Header=BB6_16763 Depth=2
	s_delay_alu instid0(SALU_CYCLE_1) | instskip(NEXT) | instid1(VALU_DEP_1)
	s_or_b32 exec_lo, exec_lo, s28
	v_dual_mul_f32 v0, s27, v1 :: v_dual_mov_b32 v3, v55
                                        ; implicit-def: $vgpr124
	s_mov_b32 s10, exec_lo
	s_delay_alu instid0(VALU_DEP_1) | instskip(SKIP_2) | instid1(VALU_DEP_3)
	v_and_b32_e32 v2, 0x7f800000, v0
	v_and_b32_e32 v54, 0x7fffff, v0
	v_lshrrev_b32_e32 v1, 24, v0
	v_cmpx_ne_u64_e32 0x7f800000, v[2:3]
	s_xor_b32 s28, exec_lo, s10
	s_cbranch_execz .LBB6_19225
; %bb.19212:                            ;   in Loop: Header=BB6_16763 Depth=2
	v_and_b32_e32 v2, 0x7fffffff, v0
	v_mov_b32_e32 v3, v55
	v_and_b32_e32 v5, 0x80, v1
                                        ; implicit-def: $vgpr124
	s_mov_b32 s10, exec_lo
	s_delay_alu instid0(VALU_DEP_2)
	v_cmpx_gt_u64_e32 0x47600001, v[2:3]
	s_xor_b32 s29, exec_lo, s10
	s_cbranch_execz .LBB6_19222
; %bb.19213:                            ;   in Loop: Header=BB6_16763 Depth=2
	v_mov_b32_e32 v124, 0
	s_mov_b32 s40, exec_lo
	v_cmpx_ne_u32_e32 0, v0
	s_cbranch_execz .LBB6_19221
; %bb.19214:                            ;   in Loop: Header=BB6_16763 Depth=2
	v_bfe_u32 v6, v0, 23, 8
	v_or_b32_e32 v1, 0x800000, v54
	s_delay_alu instid0(VALU_DEP_2) | instskip(SKIP_2) | instid1(VALU_DEP_2)
	v_cmp_gt_u32_e64 s10, 0x72, v6
	v_sub_nc_u32_e32 v0, 0x71, v6
	v_cmp_eq_u32_e32 vcc_lo, 0, v6
	v_cndmask_b32_e64 v0, 0, v0, s10
	s_delay_alu instid0(VALU_DEP_1) | instskip(SKIP_1) | instid1(VALU_DEP_2)
	v_cndmask_b32_e64 v7, v0, 0x70, vcc_lo
	v_dual_cndmask_b32 v0, v1, v54 :: v_dual_mov_b32 v1, v55
	v_dual_add_nc_u32 v2, 21, v7 :: v_dual_add_nc_u32 v8, 20, v7
	s_delay_alu instid0(VALU_DEP_1) | instskip(NEXT) | instid1(VALU_DEP_2)
	v_lshlrev_b64_e64 v[2:3], v2, -1
	v_lshlrev_b64_e64 v[8:9], v8, 1
	s_delay_alu instid0(VALU_DEP_2) | instskip(SKIP_1) | instid1(VALU_DEP_4)
	v_bfi_b32 v2, v2, 0, v0
	v_lshrrev_b64 v[0:1], v7, v[0:1]
	v_bfi_b32 v3, v3, 0, 0
	s_delay_alu instid0(VALU_DEP_1) | instskip(NEXT) | instid1(VALU_DEP_3)
	v_cmp_eq_u64_e64 s10, v[2:3], v[8:9]
	v_mov_b64_e32 v[2:3], v[0:1]
	s_and_saveexec_b32 s41, s10
; %bb.19215:                            ;   in Loop: Header=BB6_16763 Depth=2
	v_bfe_u32 v2, v0, 21, 1
	v_mov_b32_e32 v3, v55
	s_delay_alu instid0(VALU_DEP_1) | instskip(NEXT) | instid1(VALU_DEP_1)
	v_add_nc_u64_e32 v[2:3], v[0:1], v[2:3]
	v_add_nc_u64_e32 v[2:3], -1, v[2:3]
; %bb.19216:                            ;   in Loop: Header=BB6_16763 Depth=2
	s_or_b32 exec_lo, exec_lo, s41
	v_add_nc_u32_e32 v1, 0xffffff81, v6
	v_lshrrev_b32_e32 v3, 23, v0
	s_mov_b32 s10, exec_lo
	s_delay_alu instid0(VALU_DEP_2) | instskip(NEXT) | instid1(VALU_DEP_1)
	v_cndmask_b32_e64 v1, v1, 0xffffff82, vcc_lo
	v_add3_u32 v6, v7, v1, v3
	v_and_b32_e32 v1, 0x1fffff, v2
                                        ; implicit-def: $vgpr2
	s_delay_alu instid0(VALU_DEP_1) | instskip(NEXT) | instid1(VALU_DEP_1)
	v_dual_add_nc_u32 v3, 14, v6 :: v_dual_add_nc_u32 v54, v1, v0
                                        ; implicit-def: $vgpr0_vgpr1
	v_cmpx_ne_u32_e32 0, v3
	s_xor_b32 s10, exec_lo, s10
; %bb.19217:                            ;   in Loop: Header=BB6_16763 Depth=2
	s_delay_alu instid0(VALU_DEP_2) | instskip(SKIP_1) | instid1(VALU_DEP_1)
	v_cmp_lt_u64_e32 vcc_lo, 0xffffff, v[54:55]
	v_add_nc_u32_e32 v0, 15, v6
	v_cndmask_b32_e32 v2, v3, v0, vcc_lo
	v_cndmask_b32_e64 v0, 0, 1, vcc_lo
	s_delay_alu instid0(VALU_DEP_1)
	v_lshrrev_b64 v[0:1], v0, v[54:55]
; %bb.19218:                            ;   in Loop: Header=BB6_16763 Depth=2
	s_and_not1_saveexec_b32 s10, s10
; %bb.19219:                            ;   in Loop: Header=BB6_16763 Depth=2
	v_mov_b64_e32 v[0:1], v[54:55]
	v_bfe_u32 v2, v54, 23, 1
; %bb.19220:                            ;   in Loop: Header=BB6_16763 Depth=2
	s_or_b32 exec_lo, exec_lo, s10
	s_delay_alu instid0(VALU_DEP_2) | instskip(NEXT) | instid1(VALU_DEP_2)
	v_lshrrev_b64 v[0:1], 21, v[0:1]
	v_cmp_gt_i32_e32 vcc_lo, 32, v2
	v_min_i32_e32 v3, 31, v2
	v_cmp_eq_u32_e64 s10, 0, v2
	s_delay_alu instid0(VALU_DEP_2) | instskip(SKIP_1) | instid1(VALU_DEP_2)
	v_dual_cndmask_b32 v1, 0, v1, vcc_lo :: v_dual_lshlrev_b32 v3, 2, v3
	v_cndmask_b32_e32 v0, 3, v0, vcc_lo
	v_and_b32_e32 v3, 0xfc, v3
	s_delay_alu instid0(VALU_DEP_2) | instskip(NEXT) | instid1(VALU_DEP_2)
	v_cmp_eq_u64_e32 vcc_lo, 0, v[0:1]
	v_and_or_b32 v0, v0, 3, v3
	s_and_b32 s10, s10, vcc_lo
	s_delay_alu instid0(VALU_DEP_1) | instid1(SALU_CYCLE_1)
	v_cndmask_b32_e64 v0, v0, 0, s10
	s_delay_alu instid0(VALU_DEP_1)
	v_or_b32_e32 v124, v0, v5
.LBB6_19221:                            ;   in Loop: Header=BB6_16763 Depth=2
	s_or_b32 exec_lo, exec_lo, s40
                                        ; implicit-def: $vgpr5
.LBB6_19222:                            ;   in Loop: Header=BB6_16763 Depth=2
	s_and_not1_saveexec_b32 s10, s29
; %bb.19223:                            ;   in Loop: Header=BB6_16763 Depth=2
	v_or_b32_e32 v124, 0x7b, v5
; %bb.19224:                            ;   in Loop: Header=BB6_16763 Depth=2
	s_or_b32 exec_lo, exec_lo, s10
                                        ; implicit-def: $vgpr0
                                        ; implicit-def: $vgpr1
.LBB6_19225:                            ;   in Loop: Header=BB6_16763 Depth=2
	s_and_not1_saveexec_b32 s10, s28
	s_cbranch_execz .LBB6_19231
; %bb.19226:                            ;   in Loop: Header=BB6_16763 Depth=2
	s_mov_b32 s28, exec_lo
                                        ; implicit-def: $vgpr124
	v_cmpx_ne_u64_e32 0, v[54:55]
	s_xor_b32 s28, exec_lo, s28
; %bb.19227:                            ;   in Loop: Header=BB6_16763 Depth=2
	v_or_b32_e32 v124, 0x7f, v1
                                        ; implicit-def: $vgpr0
; %bb.19228:                            ;   in Loop: Header=BB6_16763 Depth=2
	s_and_not1_saveexec_b32 s28, s28
; %bb.19229:                            ;   in Loop: Header=BB6_16763 Depth=2
	v_cmp_lt_i32_e32 vcc_lo, -1, v0
	v_cndmask_b32_e32 v124, 0xfc, v30, vcc_lo
; %bb.19230:                            ;   in Loop: Header=BB6_16763 Depth=2
	s_or_b32 exec_lo, exec_lo, s28
.LBB6_19231:                            ;   in Loop: Header=BB6_16763 Depth=2
	s_delay_alu instid0(SALU_CYCLE_1) | instskip(SKIP_2) | instid1(VALU_DEP_1)
	s_or_b32 exec_lo, exec_lo, s10
	v_dual_mov_b32 v1, 0 :: v_dual_lshrrev_b32 v0, 16, v10
	s_mov_b32 s28, exec_lo
	v_and_b32_e32 v2, 0xff, v0
	s_delay_alu instid0(VALU_DEP_1)
	v_cmpx_ne_u16_e32 0, v2
	s_cbranch_execz .LBB6_19241
; %bb.19232:                            ;   in Loop: Header=BB6_16763 Depth=2
	v_bfrev_b32_e32 v1, 1
	s_mov_b32 s29, exec_lo
	v_cmpx_ne_u16_e32 0x80, v2
	s_cbranch_execz .LBB6_19240
; %bb.19233:                            ;   in Loop: Header=BB6_16763 Depth=2
	v_and_b32_e32 v1, 0x7c0000, v10
	v_bfe_u32 v2, v10, 16, 2
	s_delay_alu instid0(VALU_DEP_2) | instskip(SKIP_1) | instid1(SALU_CYCLE_1)
	v_cmp_ne_u32_e32 vcc_lo, 0x7c0000, v1
                                        ; implicit-def: $vgpr1
	s_and_saveexec_b32 s10, vcc_lo
	s_xor_b32 s10, exec_lo, s10
	s_cbranch_execz .LBB6_19237
; %bb.19234:                            ;   in Loop: Header=BB6_16763 Depth=2
	v_bfe_u32 v1, v10, 18, 5
	s_mov_b32 s40, exec_lo
	s_delay_alu instid0(VALU_DEP_1)
	v_cmpx_eq_u32_e32 0, v1
; %bb.19235:                            ;   in Loop: Header=BB6_16763 Depth=2
	v_clz_i32_u32_e32 v1, v2
	s_delay_alu instid0(VALU_DEP_1) | instskip(NEXT) | instid1(VALU_DEP_1)
	v_min_u32_e32 v1, 32, v1
	v_subrev_nc_u32_e32 v2, 29, v1
	s_delay_alu instid0(VALU_DEP_1) | instskip(NEXT) | instid1(VALU_DEP_1)
	v_lshlrev_b64_e32 v[2:3], v2, v[0:1]
	v_dual_sub_nc_u32 v1, 30, v1 :: v_dual_bitop2_b32 v2, 3, v2 bitop3:0x40
; %bb.19236:                            ;   in Loop: Header=BB6_16763 Depth=2
	s_or_b32 exec_lo, exec_lo, s40
	v_lshlrev_b32_e32 v0, 24, v0
	s_delay_alu instid0(VALU_DEP_1) | instskip(NEXT) | instid1(VALU_DEP_1)
	v_and_b32_e32 v0, 0x80000000, v0
	v_lshl_add_u32 v0, v1, 23, v0
	s_delay_alu instid0(VALU_DEP_1) | instskip(NEXT) | instid1(VALU_DEP_1)
	v_lshl_or_b32 v0, v2, 21, v0
                                        ; implicit-def: $vgpr2
	v_add_nc_u32_e32 v1, 0x38000000, v0
                                        ; implicit-def: $vgpr0
.LBB6_19237:                            ;   in Loop: Header=BB6_16763 Depth=2
	s_and_not1_saveexec_b32 s40, s10
; %bb.19238:                            ;   in Loop: Header=BB6_16763 Depth=2
	v_bfe_i32 v0, v0, 0, 8
	v_cmp_eq_u32_e32 vcc_lo, 0, v2
	s_delay_alu instid0(VALU_DEP_2) | instskip(NEXT) | instid1(VALU_DEP_1)
	v_cmp_lt_i16_e64 s10, -1, v0
	v_cndmask_b32_e64 v0, 0xff800000, v29, s10
	s_delay_alu instid0(VALU_DEP_1)
	v_cndmask_b32_e32 v1, 0x7f800001, v0, vcc_lo
; %bb.19239:                            ;   in Loop: Header=BB6_16763 Depth=2
	s_or_b32 exec_lo, exec_lo, s40
.LBB6_19240:                            ;   in Loop: Header=BB6_16763 Depth=2
	s_delay_alu instid0(SALU_CYCLE_1)
	s_or_b32 exec_lo, exec_lo, s29
.LBB6_19241:                            ;   in Loop: Header=BB6_16763 Depth=2
	s_delay_alu instid0(SALU_CYCLE_1) | instskip(NEXT) | instid1(VALU_DEP_1)
	s_or_b32 exec_lo, exec_lo, s28
	v_dual_mul_f32 v0, s27, v1 :: v_dual_mov_b32 v3, v55
                                        ; implicit-def: $vgpr125
	s_mov_b32 s10, exec_lo
	s_delay_alu instid0(VALU_DEP_1) | instskip(SKIP_2) | instid1(VALU_DEP_3)
	v_and_b32_e32 v2, 0x7f800000, v0
	v_and_b32_e32 v54, 0x7fffff, v0
	v_lshrrev_b32_e32 v1, 24, v0
	v_cmpx_ne_u64_e32 0x7f800000, v[2:3]
	s_xor_b32 s28, exec_lo, s10
	s_cbranch_execz .LBB6_19255
; %bb.19242:                            ;   in Loop: Header=BB6_16763 Depth=2
	v_and_b32_e32 v2, 0x7fffffff, v0
	v_mov_b32_e32 v3, v55
	v_and_b32_e32 v5, 0x80, v1
                                        ; implicit-def: $vgpr125
	s_mov_b32 s10, exec_lo
	s_delay_alu instid0(VALU_DEP_2)
	v_cmpx_gt_u64_e32 0x47600001, v[2:3]
	s_xor_b32 s29, exec_lo, s10
	s_cbranch_execz .LBB6_19252
; %bb.19243:                            ;   in Loop: Header=BB6_16763 Depth=2
	v_mov_b32_e32 v125, 0
	s_mov_b32 s40, exec_lo
	v_cmpx_ne_u32_e32 0, v0
	s_cbranch_execz .LBB6_19251
; %bb.19244:                            ;   in Loop: Header=BB6_16763 Depth=2
	v_bfe_u32 v6, v0, 23, 8
	v_or_b32_e32 v1, 0x800000, v54
	s_delay_alu instid0(VALU_DEP_2) | instskip(SKIP_2) | instid1(VALU_DEP_2)
	v_cmp_gt_u32_e64 s10, 0x72, v6
	v_sub_nc_u32_e32 v0, 0x71, v6
	v_cmp_eq_u32_e32 vcc_lo, 0, v6
	v_cndmask_b32_e64 v0, 0, v0, s10
	s_delay_alu instid0(VALU_DEP_1) | instskip(SKIP_1) | instid1(VALU_DEP_2)
	v_cndmask_b32_e64 v7, v0, 0x70, vcc_lo
	v_dual_cndmask_b32 v0, v1, v54 :: v_dual_mov_b32 v1, v55
	v_dual_add_nc_u32 v2, 21, v7 :: v_dual_add_nc_u32 v8, 20, v7
	s_delay_alu instid0(VALU_DEP_1) | instskip(NEXT) | instid1(VALU_DEP_2)
	v_lshlrev_b64_e64 v[2:3], v2, -1
	v_lshlrev_b64_e64 v[8:9], v8, 1
	s_delay_alu instid0(VALU_DEP_2) | instskip(SKIP_1) | instid1(VALU_DEP_4)
	v_bfi_b32 v2, v2, 0, v0
	v_lshrrev_b64 v[0:1], v7, v[0:1]
	v_bfi_b32 v3, v3, 0, 0
	s_delay_alu instid0(VALU_DEP_1) | instskip(NEXT) | instid1(VALU_DEP_3)
	v_cmp_eq_u64_e64 s10, v[2:3], v[8:9]
	v_mov_b64_e32 v[2:3], v[0:1]
	s_and_saveexec_b32 s41, s10
; %bb.19245:                            ;   in Loop: Header=BB6_16763 Depth=2
	v_bfe_u32 v2, v0, 21, 1
	v_mov_b32_e32 v3, v55
	s_delay_alu instid0(VALU_DEP_1) | instskip(NEXT) | instid1(VALU_DEP_1)
	v_add_nc_u64_e32 v[2:3], v[0:1], v[2:3]
	v_add_nc_u64_e32 v[2:3], -1, v[2:3]
; %bb.19246:                            ;   in Loop: Header=BB6_16763 Depth=2
	s_or_b32 exec_lo, exec_lo, s41
	v_add_nc_u32_e32 v1, 0xffffff81, v6
	v_lshrrev_b32_e32 v3, 23, v0
	s_mov_b32 s10, exec_lo
	s_delay_alu instid0(VALU_DEP_2) | instskip(NEXT) | instid1(VALU_DEP_1)
	v_cndmask_b32_e64 v1, v1, 0xffffff82, vcc_lo
	v_add3_u32 v6, v7, v1, v3
	v_and_b32_e32 v1, 0x1fffff, v2
                                        ; implicit-def: $vgpr2
	s_delay_alu instid0(VALU_DEP_1) | instskip(NEXT) | instid1(VALU_DEP_1)
	v_dual_add_nc_u32 v3, 14, v6 :: v_dual_add_nc_u32 v54, v1, v0
                                        ; implicit-def: $vgpr0_vgpr1
	v_cmpx_ne_u32_e32 0, v3
	s_xor_b32 s10, exec_lo, s10
; %bb.19247:                            ;   in Loop: Header=BB6_16763 Depth=2
	s_delay_alu instid0(VALU_DEP_2) | instskip(SKIP_1) | instid1(VALU_DEP_1)
	v_cmp_lt_u64_e32 vcc_lo, 0xffffff, v[54:55]
	v_add_nc_u32_e32 v0, 15, v6
	v_cndmask_b32_e32 v2, v3, v0, vcc_lo
	v_cndmask_b32_e64 v0, 0, 1, vcc_lo
	s_delay_alu instid0(VALU_DEP_1)
	v_lshrrev_b64 v[0:1], v0, v[54:55]
; %bb.19248:                            ;   in Loop: Header=BB6_16763 Depth=2
	s_and_not1_saveexec_b32 s10, s10
; %bb.19249:                            ;   in Loop: Header=BB6_16763 Depth=2
	v_mov_b64_e32 v[0:1], v[54:55]
	v_bfe_u32 v2, v54, 23, 1
; %bb.19250:                            ;   in Loop: Header=BB6_16763 Depth=2
	s_or_b32 exec_lo, exec_lo, s10
	s_delay_alu instid0(VALU_DEP_2) | instskip(NEXT) | instid1(VALU_DEP_2)
	v_lshrrev_b64 v[0:1], 21, v[0:1]
	v_cmp_gt_i32_e32 vcc_lo, 32, v2
	v_min_i32_e32 v3, 31, v2
	v_cmp_eq_u32_e64 s10, 0, v2
	s_delay_alu instid0(VALU_DEP_2) | instskip(SKIP_1) | instid1(VALU_DEP_2)
	v_dual_cndmask_b32 v1, 0, v1, vcc_lo :: v_dual_lshlrev_b32 v3, 2, v3
	v_cndmask_b32_e32 v0, 3, v0, vcc_lo
	v_and_b32_e32 v3, 0xfc, v3
	s_delay_alu instid0(VALU_DEP_2) | instskip(NEXT) | instid1(VALU_DEP_2)
	v_cmp_eq_u64_e32 vcc_lo, 0, v[0:1]
	v_and_or_b32 v0, v0, 3, v3
	s_and_b32 s10, s10, vcc_lo
	s_delay_alu instid0(VALU_DEP_1) | instid1(SALU_CYCLE_1)
	v_cndmask_b32_e64 v0, v0, 0, s10
	s_delay_alu instid0(VALU_DEP_1)
	v_or_b32_e32 v125, v0, v5
.LBB6_19251:                            ;   in Loop: Header=BB6_16763 Depth=2
	s_or_b32 exec_lo, exec_lo, s40
                                        ; implicit-def: $vgpr5
.LBB6_19252:                            ;   in Loop: Header=BB6_16763 Depth=2
	s_and_not1_saveexec_b32 s10, s29
; %bb.19253:                            ;   in Loop: Header=BB6_16763 Depth=2
	v_or_b32_e32 v125, 0x7b, v5
; %bb.19254:                            ;   in Loop: Header=BB6_16763 Depth=2
	s_or_b32 exec_lo, exec_lo, s10
                                        ; implicit-def: $vgpr0
                                        ; implicit-def: $vgpr1
.LBB6_19255:                            ;   in Loop: Header=BB6_16763 Depth=2
	s_and_not1_saveexec_b32 s10, s28
	s_cbranch_execz .LBB6_19261
; %bb.19256:                            ;   in Loop: Header=BB6_16763 Depth=2
	s_mov_b32 s28, exec_lo
                                        ; implicit-def: $vgpr125
	v_cmpx_ne_u64_e32 0, v[54:55]
	s_xor_b32 s28, exec_lo, s28
; %bb.19257:                            ;   in Loop: Header=BB6_16763 Depth=2
	v_or_b32_e32 v125, 0x7f, v1
                                        ; implicit-def: $vgpr0
; %bb.19258:                            ;   in Loop: Header=BB6_16763 Depth=2
	s_and_not1_saveexec_b32 s28, s28
; %bb.19259:                            ;   in Loop: Header=BB6_16763 Depth=2
	v_cmp_lt_i32_e32 vcc_lo, -1, v0
	v_cndmask_b32_e32 v125, 0xfc, v30, vcc_lo
; %bb.19260:                            ;   in Loop: Header=BB6_16763 Depth=2
	s_or_b32 exec_lo, exec_lo, s28
.LBB6_19261:                            ;   in Loop: Header=BB6_16763 Depth=2
	s_delay_alu instid0(SALU_CYCLE_1)
	s_or_b32 exec_lo, exec_lo, s10
	v_mov_b32_e32 v1, 0
	s_mov_b32 s28, exec_lo
	v_cmpx_lt_u32_e32 0xffffff, v10
	s_cbranch_execz .LBB6_19271
; %bb.19262:                            ;   in Loop: Header=BB6_16763 Depth=2
	v_lshrrev_b32_e32 v0, 24, v10
	v_bfrev_b32_e32 v1, 1
	s_mov_b32 s29, exec_lo
	s_delay_alu instid0(VALU_DEP_2)
	v_cmpx_ne_u32_e32 0x80, v0
	s_cbranch_execz .LBB6_19270
; %bb.19263:                            ;   in Loop: Header=BB6_16763 Depth=2
	v_and_b32_e32 v1, 0x7c000000, v10
	v_bfe_u32 v2, v10, 24, 2
	s_delay_alu instid0(VALU_DEP_2) | instskip(SKIP_1) | instid1(SALU_CYCLE_1)
	v_cmp_ne_u32_e32 vcc_lo, 0x7c000000, v1
                                        ; implicit-def: $vgpr1
	s_and_saveexec_b32 s10, vcc_lo
	s_xor_b32 s10, exec_lo, s10
	s_cbranch_execz .LBB6_19267
; %bb.19264:                            ;   in Loop: Header=BB6_16763 Depth=2
	v_bfe_u32 v1, v10, 26, 5
	s_mov_b32 s40, exec_lo
	s_delay_alu instid0(VALU_DEP_1)
	v_cmpx_eq_u32_e32 0, v1
; %bb.19265:                            ;   in Loop: Header=BB6_16763 Depth=2
	v_clz_i32_u32_e32 v1, v2
	s_delay_alu instid0(VALU_DEP_1) | instskip(NEXT) | instid1(VALU_DEP_1)
	v_min_u32_e32 v2, 32, v1
	v_subrev_nc_u32_e32 v1, 29, v2
	s_delay_alu instid0(VALU_DEP_1) | instskip(NEXT) | instid1(VALU_DEP_1)
	v_lshlrev_b64_e32 v[0:1], v1, v[0:1]
	v_dual_sub_nc_u32 v1, 30, v2 :: v_dual_bitop2_b32 v2, 3, v0 bitop3:0x40
; %bb.19266:                            ;   in Loop: Header=BB6_16763 Depth=2
	s_or_b32 exec_lo, exec_lo, s40
	v_and_b32_e32 v0, 0x80000000, v10
	s_delay_alu instid0(VALU_DEP_1) | instskip(NEXT) | instid1(VALU_DEP_1)
	v_lshl_add_u32 v0, v1, 23, v0
	v_lshl_or_b32 v0, v2, 21, v0
                                        ; implicit-def: $vgpr2
	s_delay_alu instid0(VALU_DEP_1)
	v_add_nc_u32_e32 v1, 0x38000000, v0
.LBB6_19267:                            ;   in Loop: Header=BB6_16763 Depth=2
	s_and_not1_saveexec_b32 s40, s10
; %bb.19268:                            ;   in Loop: Header=BB6_16763 Depth=2
	v_cmp_lt_i32_e64 s10, -1, v10
	v_cmp_eq_u32_e32 vcc_lo, 0, v2
	s_delay_alu instid0(VALU_DEP_2) | instskip(NEXT) | instid1(VALU_DEP_1)
	v_cndmask_b32_e64 v0, 0xff800000, v29, s10
	v_cndmask_b32_e32 v1, 0x7f800001, v0, vcc_lo
; %bb.19269:                            ;   in Loop: Header=BB6_16763 Depth=2
	s_or_b32 exec_lo, exec_lo, s40
.LBB6_19270:                            ;   in Loop: Header=BB6_16763 Depth=2
	s_delay_alu instid0(SALU_CYCLE_1)
	s_or_b32 exec_lo, exec_lo, s29
.LBB6_19271:                            ;   in Loop: Header=BB6_16763 Depth=2
	s_delay_alu instid0(SALU_CYCLE_1) | instskip(NEXT) | instid1(VALU_DEP_1)
	s_or_b32 exec_lo, exec_lo, s28
	v_dual_mul_f32 v0, s27, v1 :: v_dual_mov_b32 v3, v55
                                        ; implicit-def: $vgpr126
	s_mov_b32 s10, exec_lo
	s_delay_alu instid0(VALU_DEP_1) | instskip(SKIP_2) | instid1(VALU_DEP_3)
	v_and_b32_e32 v2, 0x7f800000, v0
	v_and_b32_e32 v54, 0x7fffff, v0
	v_lshrrev_b32_e32 v1, 24, v0
	v_cmpx_ne_u64_e32 0x7f800000, v[2:3]
	s_xor_b32 s28, exec_lo, s10
	s_cbranch_execz .LBB6_19285
; %bb.19272:                            ;   in Loop: Header=BB6_16763 Depth=2
	v_and_b32_e32 v2, 0x7fffffff, v0
	v_mov_b32_e32 v3, v55
	v_and_b32_e32 v5, 0x80, v1
                                        ; implicit-def: $vgpr126
	s_mov_b32 s10, exec_lo
	s_delay_alu instid0(VALU_DEP_2)
	v_cmpx_gt_u64_e32 0x47600001, v[2:3]
	s_xor_b32 s29, exec_lo, s10
	s_cbranch_execz .LBB6_19282
; %bb.19273:                            ;   in Loop: Header=BB6_16763 Depth=2
	v_mov_b32_e32 v126, 0
	s_mov_b32 s40, exec_lo
	v_cmpx_ne_u32_e32 0, v0
	s_cbranch_execz .LBB6_19281
; %bb.19274:                            ;   in Loop: Header=BB6_16763 Depth=2
	v_bfe_u32 v6, v0, 23, 8
	v_or_b32_e32 v1, 0x800000, v54
	s_delay_alu instid0(VALU_DEP_2) | instskip(SKIP_2) | instid1(VALU_DEP_2)
	v_cmp_gt_u32_e64 s10, 0x72, v6
	v_sub_nc_u32_e32 v0, 0x71, v6
	v_cmp_eq_u32_e32 vcc_lo, 0, v6
	v_cndmask_b32_e64 v0, 0, v0, s10
	s_delay_alu instid0(VALU_DEP_1) | instskip(SKIP_1) | instid1(VALU_DEP_2)
	v_cndmask_b32_e64 v7, v0, 0x70, vcc_lo
	v_dual_cndmask_b32 v0, v1, v54 :: v_dual_mov_b32 v1, v55
	v_dual_add_nc_u32 v2, 21, v7 :: v_dual_add_nc_u32 v8, 20, v7
	s_delay_alu instid0(VALU_DEP_1) | instskip(NEXT) | instid1(VALU_DEP_2)
	v_lshlrev_b64_e64 v[2:3], v2, -1
	v_lshlrev_b64_e64 v[8:9], v8, 1
	s_delay_alu instid0(VALU_DEP_2) | instskip(SKIP_1) | instid1(VALU_DEP_4)
	v_bfi_b32 v2, v2, 0, v0
	v_lshrrev_b64 v[0:1], v7, v[0:1]
	v_bfi_b32 v3, v3, 0, 0
	s_delay_alu instid0(VALU_DEP_1) | instskip(NEXT) | instid1(VALU_DEP_3)
	v_cmp_eq_u64_e64 s10, v[2:3], v[8:9]
	v_mov_b64_e32 v[2:3], v[0:1]
	s_and_saveexec_b32 s41, s10
; %bb.19275:                            ;   in Loop: Header=BB6_16763 Depth=2
	v_bfe_u32 v2, v0, 21, 1
	v_mov_b32_e32 v3, v55
	s_delay_alu instid0(VALU_DEP_1) | instskip(NEXT) | instid1(VALU_DEP_1)
	v_add_nc_u64_e32 v[2:3], v[0:1], v[2:3]
	v_add_nc_u64_e32 v[2:3], -1, v[2:3]
; %bb.19276:                            ;   in Loop: Header=BB6_16763 Depth=2
	s_or_b32 exec_lo, exec_lo, s41
	v_add_nc_u32_e32 v1, 0xffffff81, v6
	v_lshrrev_b32_e32 v3, 23, v0
	s_mov_b32 s10, exec_lo
	s_delay_alu instid0(VALU_DEP_2) | instskip(NEXT) | instid1(VALU_DEP_1)
	v_cndmask_b32_e64 v1, v1, 0xffffff82, vcc_lo
	v_add3_u32 v6, v7, v1, v3
	v_and_b32_e32 v1, 0x1fffff, v2
                                        ; implicit-def: $vgpr2
	s_delay_alu instid0(VALU_DEP_1) | instskip(NEXT) | instid1(VALU_DEP_1)
	v_dual_add_nc_u32 v3, 14, v6 :: v_dual_add_nc_u32 v54, v1, v0
                                        ; implicit-def: $vgpr0_vgpr1
	v_cmpx_ne_u32_e32 0, v3
	s_xor_b32 s10, exec_lo, s10
; %bb.19277:                            ;   in Loop: Header=BB6_16763 Depth=2
	s_delay_alu instid0(VALU_DEP_2) | instskip(SKIP_1) | instid1(VALU_DEP_1)
	v_cmp_lt_u64_e32 vcc_lo, 0xffffff, v[54:55]
	v_add_nc_u32_e32 v0, 15, v6
	v_cndmask_b32_e32 v2, v3, v0, vcc_lo
	v_cndmask_b32_e64 v0, 0, 1, vcc_lo
	s_delay_alu instid0(VALU_DEP_1)
	v_lshrrev_b64 v[0:1], v0, v[54:55]
; %bb.19278:                            ;   in Loop: Header=BB6_16763 Depth=2
	s_and_not1_saveexec_b32 s10, s10
; %bb.19279:                            ;   in Loop: Header=BB6_16763 Depth=2
	v_mov_b64_e32 v[0:1], v[54:55]
	v_bfe_u32 v2, v54, 23, 1
; %bb.19280:                            ;   in Loop: Header=BB6_16763 Depth=2
	s_or_b32 exec_lo, exec_lo, s10
	s_delay_alu instid0(VALU_DEP_2) | instskip(NEXT) | instid1(VALU_DEP_2)
	v_lshrrev_b64 v[0:1], 21, v[0:1]
	v_cmp_gt_i32_e32 vcc_lo, 32, v2
	v_min_i32_e32 v3, 31, v2
	v_cmp_eq_u32_e64 s10, 0, v2
	s_delay_alu instid0(VALU_DEP_2) | instskip(SKIP_1) | instid1(VALU_DEP_2)
	v_dual_cndmask_b32 v1, 0, v1, vcc_lo :: v_dual_lshlrev_b32 v3, 2, v3
	v_cndmask_b32_e32 v0, 3, v0, vcc_lo
	v_and_b32_e32 v3, 0xfc, v3
	s_delay_alu instid0(VALU_DEP_2) | instskip(NEXT) | instid1(VALU_DEP_2)
	v_cmp_eq_u64_e32 vcc_lo, 0, v[0:1]
	v_and_or_b32 v0, v0, 3, v3
	s_and_b32 s10, s10, vcc_lo
	s_delay_alu instid0(VALU_DEP_1) | instid1(SALU_CYCLE_1)
	v_cndmask_b32_e64 v0, v0, 0, s10
	s_delay_alu instid0(VALU_DEP_1)
	v_or_b32_e32 v126, v0, v5
.LBB6_19281:                            ;   in Loop: Header=BB6_16763 Depth=2
	s_or_b32 exec_lo, exec_lo, s40
                                        ; implicit-def: $vgpr5
.LBB6_19282:                            ;   in Loop: Header=BB6_16763 Depth=2
	s_and_not1_saveexec_b32 s10, s29
; %bb.19283:                            ;   in Loop: Header=BB6_16763 Depth=2
	v_or_b32_e32 v126, 0x7b, v5
; %bb.19284:                            ;   in Loop: Header=BB6_16763 Depth=2
	s_or_b32 exec_lo, exec_lo, s10
                                        ; implicit-def: $vgpr0
                                        ; implicit-def: $vgpr1
.LBB6_19285:                            ;   in Loop: Header=BB6_16763 Depth=2
	s_and_not1_saveexec_b32 s10, s28
	s_cbranch_execz .LBB6_19291
; %bb.19286:                            ;   in Loop: Header=BB6_16763 Depth=2
	s_mov_b32 s28, exec_lo
                                        ; implicit-def: $vgpr126
	v_cmpx_ne_u64_e32 0, v[54:55]
	s_xor_b32 s28, exec_lo, s28
; %bb.19287:                            ;   in Loop: Header=BB6_16763 Depth=2
	v_or_b32_e32 v126, 0x7f, v1
                                        ; implicit-def: $vgpr0
; %bb.19288:                            ;   in Loop: Header=BB6_16763 Depth=2
	s_and_not1_saveexec_b32 s28, s28
; %bb.19289:                            ;   in Loop: Header=BB6_16763 Depth=2
	v_cmp_lt_i32_e32 vcc_lo, -1, v0
	v_cndmask_b32_e32 v126, 0xfc, v30, vcc_lo
; %bb.19290:                            ;   in Loop: Header=BB6_16763 Depth=2
	s_or_b32 exec_lo, exec_lo, s28
.LBB6_19291:                            ;   in Loop: Header=BB6_16763 Depth=2
	s_delay_alu instid0(SALU_CYCLE_1) | instskip(SKIP_3) | instid1(VALU_DEP_2)
	s_or_b32 exec_lo, exec_lo, s10
	v_and_b32_e32 v1, 0xff, v11
	v_dual_mov_b32 v54, v11 :: v_dual_mov_b32 v0, 0
	s_mov_b32 s28, exec_lo
	v_cmpx_ne_u16_e32 0, v1
	s_cbranch_execz .LBB6_19301
; %bb.19292:                            ;   in Loop: Header=BB6_16763 Depth=2
	v_bfrev_b32_e32 v0, 1
	s_mov_b32 s29, exec_lo
	v_cmpx_ne_u16_e32 0x80, v1
	s_cbranch_execz .LBB6_19300
; %bb.19293:                            ;   in Loop: Header=BB6_16763 Depth=2
	v_and_b32_e32 v0, 0x7c, v11
	v_and_b32_e32 v1, 3, v11
	s_delay_alu instid0(VALU_DEP_2) | instskip(SKIP_1) | instid1(SALU_CYCLE_1)
	v_cmp_ne_u32_e32 vcc_lo, 0x7c, v0
                                        ; implicit-def: $vgpr0
	s_and_saveexec_b32 s10, vcc_lo
	s_xor_b32 s10, exec_lo, s10
	s_cbranch_execz .LBB6_19297
; %bb.19294:                            ;   in Loop: Header=BB6_16763 Depth=2
	v_bfe_u32 v0, v11, 2, 5
	s_mov_b32 s40, exec_lo
	s_delay_alu instid0(VALU_DEP_1)
	v_cmpx_eq_u32_e32 0, v0
; %bb.19295:                            ;   in Loop: Header=BB6_16763 Depth=2
	v_clz_i32_u32_e32 v0, v1
	s_delay_alu instid0(VALU_DEP_1) | instskip(NEXT) | instid1(VALU_DEP_1)
	v_min_u32_e32 v0, 32, v0
	v_subrev_nc_u32_e32 v1, 29, v0
	s_delay_alu instid0(VALU_DEP_1) | instskip(NEXT) | instid1(VALU_DEP_1)
	v_lshlrev_b64_e32 v[2:3], v1, v[54:55]
	v_dual_sub_nc_u32 v0, 30, v0 :: v_dual_bitop2_b32 v1, 3, v2 bitop3:0x40
; %bb.19296:                            ;   in Loop: Header=BB6_16763 Depth=2
	s_or_b32 exec_lo, exec_lo, s40
	v_lshlrev_b32_e32 v2, 24, v11
	s_delay_alu instid0(VALU_DEP_1) | instskip(NEXT) | instid1(VALU_DEP_1)
	v_and_b32_e32 v2, 0x80000000, v2
	v_lshl_add_u32 v0, v0, 23, v2
	s_delay_alu instid0(VALU_DEP_1) | instskip(NEXT) | instid1(VALU_DEP_1)
	v_lshl_or_b32 v0, v1, 21, v0
                                        ; implicit-def: $vgpr1
	v_add_nc_u32_e32 v0, 0x38000000, v0
.LBB6_19297:                            ;   in Loop: Header=BB6_16763 Depth=2
	s_and_not1_saveexec_b32 s40, s10
; %bb.19298:                            ;   in Loop: Header=BB6_16763 Depth=2
	v_bfe_i32 v0, v11, 0, 8
	v_cmp_eq_u32_e32 vcc_lo, 0, v1
	s_delay_alu instid0(VALU_DEP_2) | instskip(NEXT) | instid1(VALU_DEP_1)
	v_cmp_lt_i16_e64 s10, -1, v0
	v_cndmask_b32_e64 v0, 0xff800000, v29, s10
	s_delay_alu instid0(VALU_DEP_1)
	v_cndmask_b32_e32 v0, 0x7f800001, v0, vcc_lo
; %bb.19299:                            ;   in Loop: Header=BB6_16763 Depth=2
	s_or_b32 exec_lo, exec_lo, s40
.LBB6_19300:                            ;   in Loop: Header=BB6_16763 Depth=2
	s_delay_alu instid0(SALU_CYCLE_1)
	s_or_b32 exec_lo, exec_lo, s29
.LBB6_19301:                            ;   in Loop: Header=BB6_16763 Depth=2
	s_delay_alu instid0(SALU_CYCLE_1) | instskip(NEXT) | instid1(VALU_DEP_1)
	s_or_b32 exec_lo, exec_lo, s28
	v_dual_mul_f32 v2, s27, v0 :: v_dual_mov_b32 v7, v55
	v_mov_b32_e32 v1, v55
                                        ; implicit-def: $vgpr27
	s_mov_b32 s10, exec_lo
	s_delay_alu instid0(VALU_DEP_2) | instskip(SKIP_2) | instid1(VALU_DEP_3)
	v_and_b32_e32 v6, 0x7f800000, v2
	v_and_b32_e32 v0, 0x7fffff, v2
	v_lshrrev_b32_e32 v3, 24, v2
	v_cmpx_ne_u64_e32 0x7f800000, v[6:7]
	s_xor_b32 s28, exec_lo, s10
	s_cbranch_execz .LBB6_19315
; %bb.19302:                            ;   in Loop: Header=BB6_16763 Depth=2
	v_and_b32_e32 v6, 0x7fffffff, v2
	v_mov_b32_e32 v7, v55
	v_and_b32_e32 v5, 0x80, v3
                                        ; implicit-def: $vgpr27
	s_mov_b32 s10, exec_lo
	s_delay_alu instid0(VALU_DEP_2)
	v_cmpx_gt_u64_e32 0x47600001, v[6:7]
	s_xor_b32 s29, exec_lo, s10
	s_cbranch_execz .LBB6_19312
; %bb.19303:                            ;   in Loop: Header=BB6_16763 Depth=2
	v_mov_b32_e32 v27, 0
	s_mov_b32 s40, exec_lo
	v_cmpx_ne_u32_e32 0, v2
	s_cbranch_execz .LBB6_19311
; %bb.19304:                            ;   in Loop: Header=BB6_16763 Depth=2
	v_bfe_u32 v6, v2, 23, 8
	v_or_b32_e32 v3, 0x800000, v0
	s_delay_alu instid0(VALU_DEP_2) | instskip(SKIP_2) | instid1(VALU_DEP_2)
	v_cmp_gt_u32_e64 s10, 0x72, v6
	v_sub_nc_u32_e32 v2, 0x71, v6
	v_cmp_eq_u32_e32 vcc_lo, 0, v6
	v_dual_cndmask_b32 v2, 0, v2, s10 :: v_dual_cndmask_b32 v0, v3, v0, vcc_lo
	s_delay_alu instid0(VALU_DEP_1) | instskip(NEXT) | instid1(VALU_DEP_1)
	v_cndmask_b32_e64 v7, v2, 0x70, vcc_lo
	v_dual_add_nc_u32 v2, 21, v7 :: v_dual_add_nc_u32 v8, 20, v7
	s_delay_alu instid0(VALU_DEP_1) | instskip(NEXT) | instid1(VALU_DEP_2)
	v_lshlrev_b64_e64 v[2:3], v2, -1
	v_lshlrev_b64_e64 v[8:9], v8, 1
	s_delay_alu instid0(VALU_DEP_2) | instskip(SKIP_1) | instid1(VALU_DEP_4)
	v_bfi_b32 v2, v2, 0, v0
	v_lshrrev_b64 v[0:1], v7, v[0:1]
	v_bfi_b32 v3, v3, 0, 0
	s_delay_alu instid0(VALU_DEP_1) | instskip(NEXT) | instid1(VALU_DEP_3)
	v_cmp_eq_u64_e64 s10, v[2:3], v[8:9]
	v_mov_b64_e32 v[2:3], v[0:1]
	s_and_saveexec_b32 s41, s10
; %bb.19305:                            ;   in Loop: Header=BB6_16763 Depth=2
	v_bfe_u32 v2, v0, 21, 1
	v_mov_b32_e32 v3, v55
	s_delay_alu instid0(VALU_DEP_1) | instskip(NEXT) | instid1(VALU_DEP_1)
	v_add_nc_u64_e32 v[2:3], v[0:1], v[2:3]
	v_add_nc_u64_e32 v[2:3], -1, v[2:3]
; %bb.19306:                            ;   in Loop: Header=BB6_16763 Depth=2
	s_or_b32 exec_lo, exec_lo, s41
	v_add_nc_u32_e32 v1, 0xffffff81, v6
	v_lshrrev_b32_e32 v3, 23, v0
	s_mov_b32 s10, exec_lo
	s_delay_alu instid0(VALU_DEP_2) | instskip(NEXT) | instid1(VALU_DEP_1)
	v_cndmask_b32_e64 v1, v1, 0xffffff82, vcc_lo
	v_add3_u32 v6, v7, v1, v3
	v_and_b32_e32 v1, 0x1fffff, v2
                                        ; implicit-def: $vgpr2
	s_delay_alu instid0(VALU_DEP_1) | instskip(SKIP_1) | instid1(VALU_DEP_2)
	v_dual_add_nc_u32 v3, 14, v6 :: v_dual_add_nc_u32 v0, v1, v0
	v_mov_b32_e32 v1, v55
	v_cmpx_ne_u32_e32 0, v3
	s_xor_b32 s10, exec_lo, s10
; %bb.19307:                            ;   in Loop: Header=BB6_16763 Depth=2
	s_delay_alu instid0(VALU_DEP_2) | instskip(SKIP_1) | instid1(VALU_DEP_1)
	v_cmp_lt_u64_e32 vcc_lo, 0xffffff, v[0:1]
	v_add_nc_u32_e32 v2, 15, v6
	v_cndmask_b32_e32 v2, v3, v2, vcc_lo
	v_cndmask_b32_e64 v3, 0, 1, vcc_lo
	s_delay_alu instid0(VALU_DEP_1)
	v_lshrrev_b64 v[0:1], v3, v[0:1]
; %bb.19308:                            ;   in Loop: Header=BB6_16763 Depth=2
	s_and_not1_saveexec_b32 s10, s10
; %bb.19309:                            ;   in Loop: Header=BB6_16763 Depth=2
	s_delay_alu instid0(VALU_DEP_1)
	v_bfe_u32 v2, v0, 23, 1
; %bb.19310:                            ;   in Loop: Header=BB6_16763 Depth=2
	s_or_b32 exec_lo, exec_lo, s10
	s_delay_alu instid0(VALU_DEP_2) | instskip(NEXT) | instid1(VALU_DEP_2)
	v_lshrrev_b64 v[0:1], 21, v[0:1]
	v_cmp_gt_i32_e32 vcc_lo, 32, v2
	v_min_i32_e32 v3, 31, v2
	v_cmp_eq_u32_e64 s10, 0, v2
	s_delay_alu instid0(VALU_DEP_2) | instskip(SKIP_1) | instid1(VALU_DEP_2)
	v_dual_cndmask_b32 v1, 0, v1, vcc_lo :: v_dual_lshlrev_b32 v3, 2, v3
	v_cndmask_b32_e32 v0, 3, v0, vcc_lo
	v_and_b32_e32 v3, 0xfc, v3
	s_delay_alu instid0(VALU_DEP_2) | instskip(NEXT) | instid1(VALU_DEP_2)
	v_cmp_eq_u64_e32 vcc_lo, 0, v[0:1]
	v_and_or_b32 v0, v0, 3, v3
	s_and_b32 s10, s10, vcc_lo
	s_delay_alu instid0(VALU_DEP_1) | instid1(SALU_CYCLE_1)
	v_cndmask_b32_e64 v0, v0, 0, s10
	s_delay_alu instid0(VALU_DEP_1)
	v_or_b32_e32 v27, v0, v5
.LBB6_19311:                            ;   in Loop: Header=BB6_16763 Depth=2
	s_or_b32 exec_lo, exec_lo, s40
                                        ; implicit-def: $vgpr5
.LBB6_19312:                            ;   in Loop: Header=BB6_16763 Depth=2
	s_and_not1_saveexec_b32 s10, s29
; %bb.19313:                            ;   in Loop: Header=BB6_16763 Depth=2
	v_or_b32_e32 v27, 0x7b, v5
; %bb.19314:                            ;   in Loop: Header=BB6_16763 Depth=2
	s_or_b32 exec_lo, exec_lo, s10
                                        ; implicit-def: $vgpr2
                                        ; implicit-def: $vgpr0_vgpr1
                                        ; implicit-def: $vgpr3
.LBB6_19315:                            ;   in Loop: Header=BB6_16763 Depth=2
	s_and_not1_saveexec_b32 s10, s28
	s_cbranch_execz .LBB6_19321
; %bb.19316:                            ;   in Loop: Header=BB6_16763 Depth=2
	s_mov_b32 s28, exec_lo
                                        ; implicit-def: $vgpr27
	v_cmpx_ne_u64_e32 0, v[0:1]
	s_xor_b32 s28, exec_lo, s28
; %bb.19317:                            ;   in Loop: Header=BB6_16763 Depth=2
	v_or_b32_e32 v27, 0x7f, v3
                                        ; implicit-def: $vgpr2
; %bb.19318:                            ;   in Loop: Header=BB6_16763 Depth=2
	s_and_not1_saveexec_b32 s28, s28
; %bb.19319:                            ;   in Loop: Header=BB6_16763 Depth=2
	v_cmp_lt_i32_e32 vcc_lo, -1, v2
	v_cndmask_b32_e32 v27, 0xfc, v30, vcc_lo
; %bb.19320:                            ;   in Loop: Header=BB6_16763 Depth=2
	s_or_b32 exec_lo, exec_lo, s28
.LBB6_19321:                            ;   in Loop: Header=BB6_16763 Depth=2
	s_delay_alu instid0(SALU_CYCLE_1) | instskip(SKIP_3) | instid1(VALU_DEP_2)
	s_or_b32 exec_lo, exec_lo, s10
	v_lshrrev_b16 v0, 8, v54
	v_mov_b32_e32 v1, 0
	s_mov_b32 s28, exec_lo
	v_cmpx_ne_u16_e32 0, v0
	s_cbranch_execz .LBB6_19331
; %bb.19322:                            ;   in Loop: Header=BB6_16763 Depth=2
	v_bfrev_b32_e32 v1, 1
	s_mov_b32 s29, exec_lo
	v_cmpx_ne_u16_e32 0x80, v0
	s_cbranch_execz .LBB6_19330
; %bb.19323:                            ;   in Loop: Header=BB6_16763 Depth=2
	v_and_b32_e32 v3, 0xffff, v0
	s_delay_alu instid0(VALU_DEP_1) | instskip(SKIP_1) | instid1(VALU_DEP_2)
	v_and_b32_e32 v1, 0x7c, v3
	v_and_b32_e32 v2, 3, v3
	v_cmp_ne_u32_e32 vcc_lo, 0x7c, v1
                                        ; implicit-def: $vgpr1
	s_and_saveexec_b32 s10, vcc_lo
	s_delay_alu instid0(SALU_CYCLE_1)
	s_xor_b32 s10, exec_lo, s10
	s_cbranch_execz .LBB6_19327
; %bb.19324:                            ;   in Loop: Header=BB6_16763 Depth=2
	v_bfe_u32 v1, v3, 2, 5
	s_mov_b32 s40, exec_lo
	s_delay_alu instid0(VALU_DEP_1)
	v_cmpx_eq_u32_e32 0, v1
; %bb.19325:                            ;   in Loop: Header=BB6_16763 Depth=2
	v_clz_i32_u32_e32 v1, v2
	s_delay_alu instid0(VALU_DEP_1) | instskip(SKIP_1) | instid1(VALU_DEP_2)
	v_min_u32_e32 v2, 32, v1
	v_mov_b32_e32 v1, v55
	v_subrev_nc_u32_e32 v3, 29, v2
	s_delay_alu instid0(VALU_DEP_1) | instskip(NEXT) | instid1(VALU_DEP_1)
	v_lshlrev_b64_e32 v[0:1], v3, v[0:1]
	v_dual_sub_nc_u32 v1, 30, v2 :: v_dual_bitop2_b32 v2, 3, v0 bitop3:0x40
; %bb.19326:                            ;   in Loop: Header=BB6_16763 Depth=2
	s_or_b32 exec_lo, exec_lo, s40
	v_lshlrev_b32_e32 v0, 16, v54
	s_delay_alu instid0(VALU_DEP_1) | instskip(NEXT) | instid1(VALU_DEP_1)
	v_and_b32_e32 v0, 0x80000000, v0
	v_lshl_add_u32 v0, v1, 23, v0
	s_delay_alu instid0(VALU_DEP_1) | instskip(NEXT) | instid1(VALU_DEP_1)
	v_lshl_or_b32 v0, v2, 21, v0
                                        ; implicit-def: $vgpr2
	v_add_nc_u32_e32 v1, 0x38000000, v0
.LBB6_19327:                            ;   in Loop: Header=BB6_16763 Depth=2
	s_and_not1_saveexec_b32 s40, s10
; %bb.19328:                            ;   in Loop: Header=BB6_16763 Depth=2
	v_cmp_lt_i16_e64 s10, -1, v54
	v_cmp_eq_u32_e32 vcc_lo, 0, v2
	s_delay_alu instid0(VALU_DEP_2) | instskip(NEXT) | instid1(VALU_DEP_1)
	v_cndmask_b32_e64 v0, 0xff800000, v29, s10
	v_cndmask_b32_e32 v1, 0x7f800001, v0, vcc_lo
; %bb.19329:                            ;   in Loop: Header=BB6_16763 Depth=2
	s_or_b32 exec_lo, exec_lo, s40
.LBB6_19330:                            ;   in Loop: Header=BB6_16763 Depth=2
	s_delay_alu instid0(SALU_CYCLE_1)
	s_or_b32 exec_lo, exec_lo, s29
.LBB6_19331:                            ;   in Loop: Header=BB6_16763 Depth=2
	s_delay_alu instid0(SALU_CYCLE_1) | instskip(NEXT) | instid1(VALU_DEP_1)
	s_or_b32 exec_lo, exec_lo, s28
	v_dual_mul_f32 v0, s27, v1 :: v_dual_mov_b32 v3, v55
                                        ; implicit-def: $vgpr26
	s_mov_b32 s10, exec_lo
	s_delay_alu instid0(VALU_DEP_1) | instskip(SKIP_2) | instid1(VALU_DEP_3)
	v_and_b32_e32 v2, 0x7f800000, v0
	v_and_b32_e32 v54, 0x7fffff, v0
	v_lshrrev_b32_e32 v1, 24, v0
	v_cmpx_ne_u64_e32 0x7f800000, v[2:3]
	s_xor_b32 s28, exec_lo, s10
	s_cbranch_execz .LBB6_19345
; %bb.19332:                            ;   in Loop: Header=BB6_16763 Depth=2
	v_and_b32_e32 v2, 0x7fffffff, v0
	v_mov_b32_e32 v3, v55
	v_and_b32_e32 v5, 0x80, v1
                                        ; implicit-def: $vgpr26
	s_mov_b32 s10, exec_lo
	s_delay_alu instid0(VALU_DEP_2)
	v_cmpx_gt_u64_e32 0x47600001, v[2:3]
	s_xor_b32 s29, exec_lo, s10
	s_cbranch_execz .LBB6_19342
; %bb.19333:                            ;   in Loop: Header=BB6_16763 Depth=2
	v_mov_b32_e32 v26, 0
	s_mov_b32 s40, exec_lo
	v_cmpx_ne_u32_e32 0, v0
	s_cbranch_execz .LBB6_19341
; %bb.19334:                            ;   in Loop: Header=BB6_16763 Depth=2
	v_bfe_u32 v6, v0, 23, 8
	v_or_b32_e32 v1, 0x800000, v54
	s_delay_alu instid0(VALU_DEP_2) | instskip(SKIP_2) | instid1(VALU_DEP_2)
	v_cmp_gt_u32_e64 s10, 0x72, v6
	v_sub_nc_u32_e32 v0, 0x71, v6
	v_cmp_eq_u32_e32 vcc_lo, 0, v6
	v_cndmask_b32_e64 v0, 0, v0, s10
	s_delay_alu instid0(VALU_DEP_1) | instskip(SKIP_1) | instid1(VALU_DEP_2)
	v_cndmask_b32_e64 v7, v0, 0x70, vcc_lo
	v_dual_cndmask_b32 v0, v1, v54 :: v_dual_mov_b32 v1, v55
	v_dual_add_nc_u32 v2, 21, v7 :: v_dual_add_nc_u32 v8, 20, v7
	s_delay_alu instid0(VALU_DEP_1) | instskip(NEXT) | instid1(VALU_DEP_2)
	v_lshlrev_b64_e64 v[2:3], v2, -1
	v_lshlrev_b64_e64 v[8:9], v8, 1
	s_delay_alu instid0(VALU_DEP_2) | instskip(SKIP_1) | instid1(VALU_DEP_4)
	v_bfi_b32 v2, v2, 0, v0
	v_lshrrev_b64 v[0:1], v7, v[0:1]
	v_bfi_b32 v3, v3, 0, 0
	s_delay_alu instid0(VALU_DEP_1) | instskip(NEXT) | instid1(VALU_DEP_3)
	v_cmp_eq_u64_e64 s10, v[2:3], v[8:9]
	v_mov_b64_e32 v[2:3], v[0:1]
	s_and_saveexec_b32 s41, s10
; %bb.19335:                            ;   in Loop: Header=BB6_16763 Depth=2
	v_bfe_u32 v2, v0, 21, 1
	v_mov_b32_e32 v3, v55
	s_delay_alu instid0(VALU_DEP_1) | instskip(NEXT) | instid1(VALU_DEP_1)
	v_add_nc_u64_e32 v[2:3], v[0:1], v[2:3]
	v_add_nc_u64_e32 v[2:3], -1, v[2:3]
; %bb.19336:                            ;   in Loop: Header=BB6_16763 Depth=2
	s_or_b32 exec_lo, exec_lo, s41
	v_add_nc_u32_e32 v1, 0xffffff81, v6
	v_lshrrev_b32_e32 v3, 23, v0
	s_mov_b32 s10, exec_lo
	s_delay_alu instid0(VALU_DEP_2) | instskip(NEXT) | instid1(VALU_DEP_1)
	v_cndmask_b32_e64 v1, v1, 0xffffff82, vcc_lo
	v_add3_u32 v6, v7, v1, v3
	v_and_b32_e32 v1, 0x1fffff, v2
                                        ; implicit-def: $vgpr2
	s_delay_alu instid0(VALU_DEP_1) | instskip(NEXT) | instid1(VALU_DEP_1)
	v_dual_add_nc_u32 v3, 14, v6 :: v_dual_add_nc_u32 v54, v1, v0
                                        ; implicit-def: $vgpr0_vgpr1
	v_cmpx_ne_u32_e32 0, v3
	s_xor_b32 s10, exec_lo, s10
; %bb.19337:                            ;   in Loop: Header=BB6_16763 Depth=2
	s_delay_alu instid0(VALU_DEP_2) | instskip(SKIP_1) | instid1(VALU_DEP_1)
	v_cmp_lt_u64_e32 vcc_lo, 0xffffff, v[54:55]
	v_add_nc_u32_e32 v0, 15, v6
	v_cndmask_b32_e32 v2, v3, v0, vcc_lo
	v_cndmask_b32_e64 v0, 0, 1, vcc_lo
	s_delay_alu instid0(VALU_DEP_1)
	v_lshrrev_b64 v[0:1], v0, v[54:55]
; %bb.19338:                            ;   in Loop: Header=BB6_16763 Depth=2
	s_and_not1_saveexec_b32 s10, s10
; %bb.19339:                            ;   in Loop: Header=BB6_16763 Depth=2
	v_mov_b64_e32 v[0:1], v[54:55]
	v_bfe_u32 v2, v54, 23, 1
; %bb.19340:                            ;   in Loop: Header=BB6_16763 Depth=2
	s_or_b32 exec_lo, exec_lo, s10
	s_delay_alu instid0(VALU_DEP_2) | instskip(NEXT) | instid1(VALU_DEP_2)
	v_lshrrev_b64 v[0:1], 21, v[0:1]
	v_cmp_gt_i32_e32 vcc_lo, 32, v2
	v_min_i32_e32 v3, 31, v2
	v_cmp_eq_u32_e64 s10, 0, v2
	s_delay_alu instid0(VALU_DEP_2) | instskip(SKIP_1) | instid1(VALU_DEP_2)
	v_dual_cndmask_b32 v1, 0, v1, vcc_lo :: v_dual_lshlrev_b32 v3, 2, v3
	v_cndmask_b32_e32 v0, 3, v0, vcc_lo
	v_and_b32_e32 v3, 0xfc, v3
	s_delay_alu instid0(VALU_DEP_2) | instskip(NEXT) | instid1(VALU_DEP_2)
	v_cmp_eq_u64_e32 vcc_lo, 0, v[0:1]
	v_and_or_b32 v0, v0, 3, v3
	s_and_b32 s10, s10, vcc_lo
	s_delay_alu instid0(VALU_DEP_1) | instid1(SALU_CYCLE_1)
	v_cndmask_b32_e64 v0, v0, 0, s10
	s_delay_alu instid0(VALU_DEP_1)
	v_or_b32_e32 v26, v0, v5
.LBB6_19341:                            ;   in Loop: Header=BB6_16763 Depth=2
	s_or_b32 exec_lo, exec_lo, s40
                                        ; implicit-def: $vgpr5
.LBB6_19342:                            ;   in Loop: Header=BB6_16763 Depth=2
	s_and_not1_saveexec_b32 s10, s29
; %bb.19343:                            ;   in Loop: Header=BB6_16763 Depth=2
	v_or_b32_e32 v26, 0x7b, v5
; %bb.19344:                            ;   in Loop: Header=BB6_16763 Depth=2
	s_or_b32 exec_lo, exec_lo, s10
                                        ; implicit-def: $vgpr0
                                        ; implicit-def: $vgpr1
.LBB6_19345:                            ;   in Loop: Header=BB6_16763 Depth=2
	s_and_not1_saveexec_b32 s10, s28
	s_cbranch_execz .LBB6_19351
; %bb.19346:                            ;   in Loop: Header=BB6_16763 Depth=2
	s_mov_b32 s28, exec_lo
                                        ; implicit-def: $vgpr26
	v_cmpx_ne_u64_e32 0, v[54:55]
	s_xor_b32 s28, exec_lo, s28
; %bb.19347:                            ;   in Loop: Header=BB6_16763 Depth=2
	v_or_b32_e32 v26, 0x7f, v1
                                        ; implicit-def: $vgpr0
; %bb.19348:                            ;   in Loop: Header=BB6_16763 Depth=2
	s_and_not1_saveexec_b32 s28, s28
; %bb.19349:                            ;   in Loop: Header=BB6_16763 Depth=2
	v_cmp_lt_i32_e32 vcc_lo, -1, v0
	v_cndmask_b32_e32 v26, 0xfc, v30, vcc_lo
; %bb.19350:                            ;   in Loop: Header=BB6_16763 Depth=2
	s_or_b32 exec_lo, exec_lo, s28
.LBB6_19351:                            ;   in Loop: Header=BB6_16763 Depth=2
	s_delay_alu instid0(SALU_CYCLE_1) | instskip(SKIP_2) | instid1(VALU_DEP_1)
	s_or_b32 exec_lo, exec_lo, s10
	v_dual_mov_b32 v1, 0 :: v_dual_lshrrev_b32 v0, 16, v11
	s_mov_b32 s28, exec_lo
	v_and_b32_e32 v2, 0xff, v0
	s_delay_alu instid0(VALU_DEP_1)
	v_cmpx_ne_u16_e32 0, v2
	s_cbranch_execz .LBB6_19361
; %bb.19352:                            ;   in Loop: Header=BB6_16763 Depth=2
	v_bfrev_b32_e32 v1, 1
	s_mov_b32 s29, exec_lo
	v_cmpx_ne_u16_e32 0x80, v2
	s_cbranch_execz .LBB6_19360
; %bb.19353:                            ;   in Loop: Header=BB6_16763 Depth=2
	v_and_b32_e32 v1, 0x7c0000, v11
	v_bfe_u32 v2, v11, 16, 2
	s_delay_alu instid0(VALU_DEP_2) | instskip(SKIP_1) | instid1(SALU_CYCLE_1)
	v_cmp_ne_u32_e32 vcc_lo, 0x7c0000, v1
                                        ; implicit-def: $vgpr1
	s_and_saveexec_b32 s10, vcc_lo
	s_xor_b32 s10, exec_lo, s10
	s_cbranch_execz .LBB6_19357
; %bb.19354:                            ;   in Loop: Header=BB6_16763 Depth=2
	v_bfe_u32 v1, v11, 18, 5
	s_mov_b32 s40, exec_lo
	s_delay_alu instid0(VALU_DEP_1)
	v_cmpx_eq_u32_e32 0, v1
; %bb.19355:                            ;   in Loop: Header=BB6_16763 Depth=2
	v_clz_i32_u32_e32 v1, v2
	s_delay_alu instid0(VALU_DEP_1) | instskip(NEXT) | instid1(VALU_DEP_1)
	v_min_u32_e32 v1, 32, v1
	v_subrev_nc_u32_e32 v2, 29, v1
	s_delay_alu instid0(VALU_DEP_1) | instskip(NEXT) | instid1(VALU_DEP_1)
	v_lshlrev_b64_e32 v[2:3], v2, v[0:1]
	v_dual_sub_nc_u32 v1, 30, v1 :: v_dual_bitop2_b32 v2, 3, v2 bitop3:0x40
; %bb.19356:                            ;   in Loop: Header=BB6_16763 Depth=2
	s_or_b32 exec_lo, exec_lo, s40
	v_lshlrev_b32_e32 v0, 24, v0
	s_delay_alu instid0(VALU_DEP_1) | instskip(NEXT) | instid1(VALU_DEP_1)
	v_and_b32_e32 v0, 0x80000000, v0
	v_lshl_add_u32 v0, v1, 23, v0
	s_delay_alu instid0(VALU_DEP_1) | instskip(NEXT) | instid1(VALU_DEP_1)
	v_lshl_or_b32 v0, v2, 21, v0
                                        ; implicit-def: $vgpr2
	v_add_nc_u32_e32 v1, 0x38000000, v0
                                        ; implicit-def: $vgpr0
.LBB6_19357:                            ;   in Loop: Header=BB6_16763 Depth=2
	s_and_not1_saveexec_b32 s40, s10
; %bb.19358:                            ;   in Loop: Header=BB6_16763 Depth=2
	v_bfe_i32 v0, v0, 0, 8
	v_cmp_eq_u32_e32 vcc_lo, 0, v2
	s_delay_alu instid0(VALU_DEP_2) | instskip(NEXT) | instid1(VALU_DEP_1)
	v_cmp_lt_i16_e64 s10, -1, v0
	v_cndmask_b32_e64 v0, 0xff800000, v29, s10
	s_delay_alu instid0(VALU_DEP_1)
	v_cndmask_b32_e32 v1, 0x7f800001, v0, vcc_lo
; %bb.19359:                            ;   in Loop: Header=BB6_16763 Depth=2
	s_or_b32 exec_lo, exec_lo, s40
.LBB6_19360:                            ;   in Loop: Header=BB6_16763 Depth=2
	s_delay_alu instid0(SALU_CYCLE_1)
	s_or_b32 exec_lo, exec_lo, s29
.LBB6_19361:                            ;   in Loop: Header=BB6_16763 Depth=2
	s_delay_alu instid0(SALU_CYCLE_1) | instskip(NEXT) | instid1(VALU_DEP_1)
	s_or_b32 exec_lo, exec_lo, s28
	v_dual_mul_f32 v0, s27, v1 :: v_dual_mov_b32 v3, v55
                                        ; implicit-def: $vgpr28
	s_mov_b32 s10, exec_lo
	s_delay_alu instid0(VALU_DEP_1) | instskip(SKIP_2) | instid1(VALU_DEP_3)
	v_and_b32_e32 v2, 0x7f800000, v0
	v_and_b32_e32 v54, 0x7fffff, v0
	v_lshrrev_b32_e32 v1, 24, v0
	v_cmpx_ne_u64_e32 0x7f800000, v[2:3]
	s_xor_b32 s28, exec_lo, s10
	s_cbranch_execz .LBB6_19375
; %bb.19362:                            ;   in Loop: Header=BB6_16763 Depth=2
	v_and_b32_e32 v2, 0x7fffffff, v0
	v_mov_b32_e32 v3, v55
	v_and_b32_e32 v5, 0x80, v1
                                        ; implicit-def: $vgpr28
	s_mov_b32 s10, exec_lo
	s_delay_alu instid0(VALU_DEP_2)
	v_cmpx_gt_u64_e32 0x47600001, v[2:3]
	s_xor_b32 s29, exec_lo, s10
	s_cbranch_execz .LBB6_19372
; %bb.19363:                            ;   in Loop: Header=BB6_16763 Depth=2
	v_mov_b32_e32 v28, 0
	s_mov_b32 s40, exec_lo
	v_cmpx_ne_u32_e32 0, v0
	s_cbranch_execz .LBB6_19371
; %bb.19364:                            ;   in Loop: Header=BB6_16763 Depth=2
	v_bfe_u32 v6, v0, 23, 8
	v_or_b32_e32 v1, 0x800000, v54
	s_delay_alu instid0(VALU_DEP_2) | instskip(SKIP_2) | instid1(VALU_DEP_2)
	v_cmp_gt_u32_e64 s10, 0x72, v6
	v_sub_nc_u32_e32 v0, 0x71, v6
	v_cmp_eq_u32_e32 vcc_lo, 0, v6
	v_cndmask_b32_e64 v0, 0, v0, s10
	s_delay_alu instid0(VALU_DEP_1) | instskip(SKIP_1) | instid1(VALU_DEP_2)
	v_cndmask_b32_e64 v7, v0, 0x70, vcc_lo
	v_dual_cndmask_b32 v0, v1, v54 :: v_dual_mov_b32 v1, v55
	v_dual_add_nc_u32 v2, 21, v7 :: v_dual_add_nc_u32 v8, 20, v7
	s_delay_alu instid0(VALU_DEP_1) | instskip(NEXT) | instid1(VALU_DEP_2)
	v_lshlrev_b64_e64 v[2:3], v2, -1
	v_lshlrev_b64_e64 v[8:9], v8, 1
	s_delay_alu instid0(VALU_DEP_2) | instskip(SKIP_1) | instid1(VALU_DEP_4)
	v_bfi_b32 v2, v2, 0, v0
	v_lshrrev_b64 v[0:1], v7, v[0:1]
	v_bfi_b32 v3, v3, 0, 0
	s_delay_alu instid0(VALU_DEP_1) | instskip(NEXT) | instid1(VALU_DEP_3)
	v_cmp_eq_u64_e64 s10, v[2:3], v[8:9]
	v_mov_b64_e32 v[2:3], v[0:1]
	s_and_saveexec_b32 s41, s10
; %bb.19365:                            ;   in Loop: Header=BB6_16763 Depth=2
	v_bfe_u32 v2, v0, 21, 1
	v_mov_b32_e32 v3, v55
	s_delay_alu instid0(VALU_DEP_1) | instskip(NEXT) | instid1(VALU_DEP_1)
	v_add_nc_u64_e32 v[2:3], v[0:1], v[2:3]
	v_add_nc_u64_e32 v[2:3], -1, v[2:3]
; %bb.19366:                            ;   in Loop: Header=BB6_16763 Depth=2
	s_or_b32 exec_lo, exec_lo, s41
	v_add_nc_u32_e32 v1, 0xffffff81, v6
	s_delay_alu instid0(VALU_DEP_2) | instskip(SKIP_2) | instid1(VALU_DEP_3)
	v_and_b32_e32 v2, 0x1fffff, v2
	v_lshrrev_b32_e32 v3, 23, v0
	s_mov_b32 s10, exec_lo
	v_cndmask_b32_e64 v1, v1, 0xffffff82, vcc_lo
	s_delay_alu instid0(VALU_DEP_3) | instskip(NEXT) | instid1(VALU_DEP_2)
	v_add_nc_u32_e32 v54, v2, v0
                                        ; implicit-def: $vgpr2
	v_add3_u32 v6, v7, v1, v3
                                        ; implicit-def: $vgpr0_vgpr1
	s_delay_alu instid0(VALU_DEP_1) | instskip(NEXT) | instid1(VALU_DEP_1)
	v_add_nc_u32_e32 v3, 14, v6
	v_cmpx_ne_u32_e32 0, v3
	s_xor_b32 s10, exec_lo, s10
; %bb.19367:                            ;   in Loop: Header=BB6_16763 Depth=2
	v_cmp_lt_u64_e32 vcc_lo, 0xffffff, v[54:55]
	v_add_nc_u32_e32 v0, 15, v6
	s_delay_alu instid0(VALU_DEP_1) | instskip(SKIP_1) | instid1(VALU_DEP_1)
	v_cndmask_b32_e32 v2, v3, v0, vcc_lo
	v_cndmask_b32_e64 v0, 0, 1, vcc_lo
	v_lshrrev_b64 v[0:1], v0, v[54:55]
; %bb.19368:                            ;   in Loop: Header=BB6_16763 Depth=2
	s_and_not1_saveexec_b32 s10, s10
; %bb.19369:                            ;   in Loop: Header=BB6_16763 Depth=2
	v_mov_b64_e32 v[0:1], v[54:55]
	v_bfe_u32 v2, v54, 23, 1
; %bb.19370:                            ;   in Loop: Header=BB6_16763 Depth=2
	s_or_b32 exec_lo, exec_lo, s10
	s_delay_alu instid0(VALU_DEP_2) | instskip(NEXT) | instid1(VALU_DEP_2)
	v_lshrrev_b64 v[0:1], 21, v[0:1]
	v_cmp_gt_i32_e32 vcc_lo, 32, v2
	v_min_i32_e32 v3, 31, v2
	v_cmp_eq_u32_e64 s10, 0, v2
	s_delay_alu instid0(VALU_DEP_2) | instskip(SKIP_1) | instid1(VALU_DEP_2)
	v_dual_cndmask_b32 v1, 0, v1, vcc_lo :: v_dual_lshlrev_b32 v3, 2, v3
	v_cndmask_b32_e32 v0, 3, v0, vcc_lo
	v_and_b32_e32 v3, 0xfc, v3
	s_delay_alu instid0(VALU_DEP_2) | instskip(NEXT) | instid1(VALU_DEP_2)
	v_cmp_eq_u64_e32 vcc_lo, 0, v[0:1]
	v_and_or_b32 v0, v0, 3, v3
	s_and_b32 s10, s10, vcc_lo
	s_delay_alu instid0(VALU_DEP_1) | instid1(SALU_CYCLE_1)
	v_cndmask_b32_e64 v0, v0, 0, s10
	s_delay_alu instid0(VALU_DEP_1)
	v_or_b32_e32 v28, v0, v5
.LBB6_19371:                            ;   in Loop: Header=BB6_16763 Depth=2
	s_or_b32 exec_lo, exec_lo, s40
                                        ; implicit-def: $vgpr5
.LBB6_19372:                            ;   in Loop: Header=BB6_16763 Depth=2
	s_and_not1_saveexec_b32 s10, s29
; %bb.19373:                            ;   in Loop: Header=BB6_16763 Depth=2
	v_or_b32_e32 v28, 0x7b, v5
; %bb.19374:                            ;   in Loop: Header=BB6_16763 Depth=2
	s_or_b32 exec_lo, exec_lo, s10
                                        ; implicit-def: $vgpr0
                                        ; implicit-def: $vgpr1
.LBB6_19375:                            ;   in Loop: Header=BB6_16763 Depth=2
	s_and_not1_saveexec_b32 s10, s28
	s_cbranch_execz .LBB6_19381
; %bb.19376:                            ;   in Loop: Header=BB6_16763 Depth=2
	s_mov_b32 s28, exec_lo
                                        ; implicit-def: $vgpr28
	v_cmpx_ne_u64_e32 0, v[54:55]
	s_xor_b32 s28, exec_lo, s28
; %bb.19377:                            ;   in Loop: Header=BB6_16763 Depth=2
	v_or_b32_e32 v28, 0x7f, v1
                                        ; implicit-def: $vgpr0
; %bb.19378:                            ;   in Loop: Header=BB6_16763 Depth=2
	s_and_not1_saveexec_b32 s28, s28
; %bb.19379:                            ;   in Loop: Header=BB6_16763 Depth=2
	v_cmp_lt_i32_e32 vcc_lo, -1, v0
	v_cndmask_b32_e32 v28, 0xfc, v30, vcc_lo
; %bb.19380:                            ;   in Loop: Header=BB6_16763 Depth=2
	s_or_b32 exec_lo, exec_lo, s28
.LBB6_19381:                            ;   in Loop: Header=BB6_16763 Depth=2
	s_delay_alu instid0(SALU_CYCLE_1)
	s_or_b32 exec_lo, exec_lo, s10
	v_mov_b32_e32 v1, 0
	s_mov_b32 s28, exec_lo
	v_cmpx_lt_u64_e64 s[12:13], v[10:11]
	s_cbranch_execz .LBB6_19391
; %bb.19382:                            ;   in Loop: Header=BB6_16763 Depth=2
	v_lshrrev_b32_e32 v0, 24, v11
	v_bfrev_b32_e32 v1, 1
	s_mov_b32 s29, exec_lo
	s_delay_alu instid0(VALU_DEP_2)
	v_cmpx_ne_u32_e32 0x80, v0
	s_cbranch_execz .LBB6_19390
; %bb.19383:                            ;   in Loop: Header=BB6_16763 Depth=2
	v_and_b32_e32 v1, 0x7c000000, v11
	v_bfe_u32 v2, v11, 24, 2
	s_delay_alu instid0(VALU_DEP_2) | instskip(SKIP_1) | instid1(SALU_CYCLE_1)
	v_cmp_ne_u32_e32 vcc_lo, 0x7c000000, v1
                                        ; implicit-def: $vgpr1
	s_and_saveexec_b32 s10, vcc_lo
	s_xor_b32 s10, exec_lo, s10
	s_cbranch_execz .LBB6_19387
; %bb.19384:                            ;   in Loop: Header=BB6_16763 Depth=2
	v_bfe_u32 v1, v11, 26, 5
	s_mov_b32 s40, exec_lo
	s_delay_alu instid0(VALU_DEP_1)
	v_cmpx_eq_u32_e32 0, v1
; %bb.19385:                            ;   in Loop: Header=BB6_16763 Depth=2
	v_clz_i32_u32_e32 v1, v2
	s_delay_alu instid0(VALU_DEP_1) | instskip(NEXT) | instid1(VALU_DEP_1)
	v_min_u32_e32 v2, 32, v1
	v_subrev_nc_u32_e32 v1, 29, v2
	s_delay_alu instid0(VALU_DEP_1) | instskip(NEXT) | instid1(VALU_DEP_1)
	v_lshlrev_b64_e32 v[0:1], v1, v[0:1]
	v_dual_sub_nc_u32 v1, 30, v2 :: v_dual_bitop2_b32 v2, 3, v0 bitop3:0x40
; %bb.19386:                            ;   in Loop: Header=BB6_16763 Depth=2
	s_or_b32 exec_lo, exec_lo, s40
	v_and_b32_e32 v0, 0x80000000, v11
	s_delay_alu instid0(VALU_DEP_1) | instskip(NEXT) | instid1(VALU_DEP_1)
	v_lshl_add_u32 v0, v1, 23, v0
	v_lshl_or_b32 v0, v2, 21, v0
                                        ; implicit-def: $vgpr2
	s_delay_alu instid0(VALU_DEP_1)
	v_add_nc_u32_e32 v1, 0x38000000, v0
.LBB6_19387:                            ;   in Loop: Header=BB6_16763 Depth=2
	s_and_not1_saveexec_b32 s40, s10
; %bb.19388:                            ;   in Loop: Header=BB6_16763 Depth=2
	v_cmp_lt_i64_e64 s10, -1, v[10:11]
	v_cmp_eq_u32_e32 vcc_lo, 0, v2
	s_delay_alu instid0(VALU_DEP_2) | instskip(NEXT) | instid1(VALU_DEP_1)
	v_cndmask_b32_e64 v0, 0xff800000, v29, s10
	v_cndmask_b32_e32 v1, 0x7f800001, v0, vcc_lo
; %bb.19389:                            ;   in Loop: Header=BB6_16763 Depth=2
	s_or_b32 exec_lo, exec_lo, s40
.LBB6_19390:                            ;   in Loop: Header=BB6_16763 Depth=2
	s_delay_alu instid0(SALU_CYCLE_1)
	s_or_b32 exec_lo, exec_lo, s29
.LBB6_19391:                            ;   in Loop: Header=BB6_16763 Depth=2
	s_delay_alu instid0(SALU_CYCLE_1) | instskip(NEXT) | instid1(VALU_DEP_1)
	s_or_b32 exec_lo, exec_lo, s28
	v_dual_mul_f32 v0, s27, v1 :: v_dual_mov_b32 v3, v55
                                        ; implicit-def: $vgpr31
	s_mov_b32 s10, exec_lo
	s_delay_alu instid0(VALU_DEP_1) | instskip(SKIP_2) | instid1(VALU_DEP_3)
	v_and_b32_e32 v2, 0x7f800000, v0
	v_and_b32_e32 v54, 0x7fffff, v0
	v_lshrrev_b32_e32 v1, 24, v0
	v_cmpx_ne_u64_e32 0x7f800000, v[2:3]
	s_xor_b32 s28, exec_lo, s10
	s_cbranch_execz .LBB6_19405
; %bb.19392:                            ;   in Loop: Header=BB6_16763 Depth=2
	v_and_b32_e32 v2, 0x7fffffff, v0
	v_mov_b32_e32 v3, v55
	v_and_b32_e32 v5, 0x80, v1
                                        ; implicit-def: $vgpr31
	s_mov_b32 s10, exec_lo
	s_delay_alu instid0(VALU_DEP_2)
	v_cmpx_gt_u64_e32 0x47600001, v[2:3]
	s_xor_b32 s29, exec_lo, s10
	s_cbranch_execz .LBB6_19402
; %bb.19393:                            ;   in Loop: Header=BB6_16763 Depth=2
	v_mov_b32_e32 v31, 0
	s_mov_b32 s40, exec_lo
	v_cmpx_ne_u32_e32 0, v0
	s_cbranch_execz .LBB6_19401
; %bb.19394:                            ;   in Loop: Header=BB6_16763 Depth=2
	v_bfe_u32 v6, v0, 23, 8
	v_or_b32_e32 v1, 0x800000, v54
	s_delay_alu instid0(VALU_DEP_2) | instskip(SKIP_2) | instid1(VALU_DEP_2)
	v_cmp_gt_u32_e64 s10, 0x72, v6
	v_sub_nc_u32_e32 v0, 0x71, v6
	v_cmp_eq_u32_e32 vcc_lo, 0, v6
	v_cndmask_b32_e64 v0, 0, v0, s10
	s_delay_alu instid0(VALU_DEP_1) | instskip(SKIP_1) | instid1(VALU_DEP_2)
	v_cndmask_b32_e64 v7, v0, 0x70, vcc_lo
	v_dual_cndmask_b32 v0, v1, v54 :: v_dual_mov_b32 v1, v55
	v_dual_add_nc_u32 v2, 21, v7 :: v_dual_add_nc_u32 v8, 20, v7
	s_delay_alu instid0(VALU_DEP_1) | instskip(NEXT) | instid1(VALU_DEP_2)
	v_lshlrev_b64_e64 v[2:3], v2, -1
	v_lshlrev_b64_e64 v[8:9], v8, 1
	s_delay_alu instid0(VALU_DEP_2) | instskip(SKIP_1) | instid1(VALU_DEP_4)
	v_bfi_b32 v2, v2, 0, v0
	v_lshrrev_b64 v[0:1], v7, v[0:1]
	v_bfi_b32 v3, v3, 0, 0
	s_delay_alu instid0(VALU_DEP_1) | instskip(NEXT) | instid1(VALU_DEP_3)
	v_cmp_eq_u64_e64 s10, v[2:3], v[8:9]
	v_mov_b64_e32 v[2:3], v[0:1]
	s_and_saveexec_b32 s41, s10
; %bb.19395:                            ;   in Loop: Header=BB6_16763 Depth=2
	v_bfe_u32 v2, v0, 21, 1
	v_mov_b32_e32 v3, v55
	s_delay_alu instid0(VALU_DEP_1) | instskip(NEXT) | instid1(VALU_DEP_1)
	v_add_nc_u64_e32 v[2:3], v[0:1], v[2:3]
	v_add_nc_u64_e32 v[2:3], -1, v[2:3]
; %bb.19396:                            ;   in Loop: Header=BB6_16763 Depth=2
	s_or_b32 exec_lo, exec_lo, s41
	v_add_nc_u32_e32 v1, 0xffffff81, v6
	s_delay_alu instid0(VALU_DEP_2) | instskip(SKIP_2) | instid1(VALU_DEP_3)
	v_and_b32_e32 v2, 0x1fffff, v2
	v_lshrrev_b32_e32 v3, 23, v0
	s_mov_b32 s10, exec_lo
	v_cndmask_b32_e64 v1, v1, 0xffffff82, vcc_lo
	s_delay_alu instid0(VALU_DEP_3) | instskip(NEXT) | instid1(VALU_DEP_2)
	v_add_nc_u32_e32 v54, v2, v0
                                        ; implicit-def: $vgpr2
	v_add3_u32 v6, v7, v1, v3
                                        ; implicit-def: $vgpr0_vgpr1
	s_delay_alu instid0(VALU_DEP_1) | instskip(NEXT) | instid1(VALU_DEP_1)
	v_add_nc_u32_e32 v3, 14, v6
	v_cmpx_ne_u32_e32 0, v3
	s_xor_b32 s10, exec_lo, s10
; %bb.19397:                            ;   in Loop: Header=BB6_16763 Depth=2
	v_cmp_lt_u64_e32 vcc_lo, 0xffffff, v[54:55]
	v_add_nc_u32_e32 v0, 15, v6
	s_delay_alu instid0(VALU_DEP_1) | instskip(SKIP_1) | instid1(VALU_DEP_1)
	v_cndmask_b32_e32 v2, v3, v0, vcc_lo
	v_cndmask_b32_e64 v0, 0, 1, vcc_lo
	v_lshrrev_b64 v[0:1], v0, v[54:55]
; %bb.19398:                            ;   in Loop: Header=BB6_16763 Depth=2
	s_and_not1_saveexec_b32 s10, s10
; %bb.19399:                            ;   in Loop: Header=BB6_16763 Depth=2
	v_mov_b64_e32 v[0:1], v[54:55]
	v_bfe_u32 v2, v54, 23, 1
; %bb.19400:                            ;   in Loop: Header=BB6_16763 Depth=2
	s_or_b32 exec_lo, exec_lo, s10
	s_delay_alu instid0(VALU_DEP_2) | instskip(NEXT) | instid1(VALU_DEP_2)
	v_lshrrev_b64 v[0:1], 21, v[0:1]
	v_cmp_gt_i32_e32 vcc_lo, 32, v2
	v_min_i32_e32 v3, 31, v2
	v_cmp_eq_u32_e64 s10, 0, v2
	s_delay_alu instid0(VALU_DEP_2) | instskip(SKIP_1) | instid1(VALU_DEP_2)
	v_dual_cndmask_b32 v1, 0, v1, vcc_lo :: v_dual_lshlrev_b32 v3, 2, v3
	v_cndmask_b32_e32 v0, 3, v0, vcc_lo
	v_and_b32_e32 v3, 0xfc, v3
	s_delay_alu instid0(VALU_DEP_2) | instskip(NEXT) | instid1(VALU_DEP_2)
	v_cmp_eq_u64_e32 vcc_lo, 0, v[0:1]
	v_and_or_b32 v0, v0, 3, v3
	s_and_b32 s10, s10, vcc_lo
	s_delay_alu instid0(VALU_DEP_1) | instid1(SALU_CYCLE_1)
	v_cndmask_b32_e64 v0, v0, 0, s10
	s_delay_alu instid0(VALU_DEP_1)
	v_or_b32_e32 v31, v0, v5
.LBB6_19401:                            ;   in Loop: Header=BB6_16763 Depth=2
	s_or_b32 exec_lo, exec_lo, s40
                                        ; implicit-def: $vgpr5
.LBB6_19402:                            ;   in Loop: Header=BB6_16763 Depth=2
	s_and_not1_saveexec_b32 s10, s29
; %bb.19403:                            ;   in Loop: Header=BB6_16763 Depth=2
	v_or_b32_e32 v31, 0x7b, v5
; %bb.19404:                            ;   in Loop: Header=BB6_16763 Depth=2
	s_or_b32 exec_lo, exec_lo, s10
                                        ; implicit-def: $vgpr0
                                        ; implicit-def: $vgpr1
.LBB6_19405:                            ;   in Loop: Header=BB6_16763 Depth=2
	s_and_not1_saveexec_b32 s10, s28
	s_cbranch_execz .LBB6_19411
; %bb.19406:                            ;   in Loop: Header=BB6_16763 Depth=2
	s_mov_b32 s28, exec_lo
                                        ; implicit-def: $vgpr31
	v_cmpx_ne_u64_e32 0, v[54:55]
	s_xor_b32 s28, exec_lo, s28
; %bb.19407:                            ;   in Loop: Header=BB6_16763 Depth=2
	v_or_b32_e32 v31, 0x7f, v1
                                        ; implicit-def: $vgpr0
; %bb.19408:                            ;   in Loop: Header=BB6_16763 Depth=2
	s_and_not1_saveexec_b32 s28, s28
; %bb.19409:                            ;   in Loop: Header=BB6_16763 Depth=2
	v_cmp_lt_i32_e32 vcc_lo, -1, v0
	v_cndmask_b32_e32 v31, 0xfc, v30, vcc_lo
; %bb.19410:                            ;   in Loop: Header=BB6_16763 Depth=2
	s_or_b32 exec_lo, exec_lo, s28
.LBB6_19411:                            ;   in Loop: Header=BB6_16763 Depth=2
	s_delay_alu instid0(SALU_CYCLE_1) | instskip(SKIP_1) | instid1(VALU_DEP_1)
	s_or_b32 exec_lo, exec_lo, s10
	v_and_b32_e32 v0, 0xff, v12
	v_cmp_ne_u16_e32 vcc_lo, 0, v0
	v_mov_b32_e32 v0, 0
	s_and_saveexec_b32 s28, vcc_lo
	s_cbranch_execz .LBB6_19421
; %bb.19412:                            ;   in Loop: Header=BB6_16763 Depth=2
	v_bfe_i32 v2, v12, 0, 8
	v_bfrev_b32_e32 v0, 1
	s_mov_b32 s29, exec_lo
	s_delay_alu instid0(VALU_DEP_2)
	v_cmpx_ne_u16_e32 0xff80, v2
	s_cbranch_execz .LBB6_19420
; %bb.19413:                            ;   in Loop: Header=BB6_16763 Depth=2
	v_and_b32_e32 v0, 0x7c, v12
	v_and_b32_e32 v1, 3, v12
	s_delay_alu instid0(VALU_DEP_2) | instskip(SKIP_1) | instid1(SALU_CYCLE_1)
	v_cmp_ne_u32_e32 vcc_lo, 0x7c, v0
                                        ; implicit-def: $vgpr0
	s_and_saveexec_b32 s10, vcc_lo
	s_xor_b32 s10, exec_lo, s10
	s_cbranch_execz .LBB6_19417
; %bb.19414:                            ;   in Loop: Header=BB6_16763 Depth=2
	v_bfe_u32 v0, v12, 2, 5
	s_mov_b32 s40, exec_lo
	s_delay_alu instid0(VALU_DEP_1)
	v_cmpx_eq_u32_e32 0, v0
; %bb.19415:                            ;   in Loop: Header=BB6_16763 Depth=2
	v_clz_i32_u32_e32 v0, v1
	s_delay_alu instid0(VALU_DEP_1) | instskip(NEXT) | instid1(VALU_DEP_1)
	v_min_u32_e32 v0, 32, v0
	v_subrev_nc_u32_e32 v1, 29, v0
	s_delay_alu instid0(VALU_DEP_1) | instskip(NEXT) | instid1(VALU_DEP_1)
	v_lshlrev_b64_e32 v[2:3], v1, v[12:13]
	v_dual_sub_nc_u32 v0, 30, v0 :: v_dual_bitop2_b32 v1, 3, v2 bitop3:0x40
; %bb.19416:                            ;   in Loop: Header=BB6_16763 Depth=2
	s_or_b32 exec_lo, exec_lo, s40
	v_lshlrev_b32_e32 v2, 24, v12
	s_delay_alu instid0(VALU_DEP_1) | instskip(NEXT) | instid1(VALU_DEP_1)
	v_and_b32_e32 v2, 0x80000000, v2
	v_lshl_add_u32 v0, v0, 23, v2
                                        ; implicit-def: $vgpr2
	s_delay_alu instid0(VALU_DEP_1) | instskip(NEXT) | instid1(VALU_DEP_1)
	v_lshl_or_b32 v0, v1, 21, v0
                                        ; implicit-def: $vgpr1
	v_add_nc_u32_e32 v0, 0x38000000, v0
.LBB6_19417:                            ;   in Loop: Header=BB6_16763 Depth=2
	s_and_not1_saveexec_b32 s40, s10
; %bb.19418:                            ;   in Loop: Header=BB6_16763 Depth=2
	v_cmp_lt_i16_e64 s10, -1, v2
	v_cmp_eq_u32_e32 vcc_lo, 0, v1
	s_delay_alu instid0(VALU_DEP_2) | instskip(NEXT) | instid1(VALU_DEP_1)
	v_cndmask_b32_e64 v0, 0xff800000, v29, s10
	v_cndmask_b32_e32 v0, 0x7f800001, v0, vcc_lo
; %bb.19419:                            ;   in Loop: Header=BB6_16763 Depth=2
	s_or_b32 exec_lo, exec_lo, s40
.LBB6_19420:                            ;   in Loop: Header=BB6_16763 Depth=2
	s_delay_alu instid0(SALU_CYCLE_1)
	s_or_b32 exec_lo, exec_lo, s29
.LBB6_19421:                            ;   in Loop: Header=BB6_16763 Depth=2
	s_delay_alu instid0(SALU_CYCLE_1) | instskip(NEXT) | instid1(VALU_DEP_1)
	s_or_b32 exec_lo, exec_lo, s28
	v_dual_mul_f32 v0, s27, v0 :: v_dual_mov_b32 v3, v55
                                        ; implicit-def: $vgpr68
	s_mov_b32 s10, exec_lo
	s_delay_alu instid0(VALU_DEP_1) | instskip(SKIP_2) | instid1(VALU_DEP_3)
	v_and_b32_e32 v2, 0x7f800000, v0
	v_and_b32_e32 v54, 0x7fffff, v0
	v_lshrrev_b32_e32 v1, 24, v0
	v_cmpx_ne_u64_e32 0x7f800000, v[2:3]
	s_xor_b32 s28, exec_lo, s10
	s_cbranch_execz .LBB6_19435
; %bb.19422:                            ;   in Loop: Header=BB6_16763 Depth=2
	v_and_b32_e32 v2, 0x7fffffff, v0
	v_mov_b32_e32 v3, v55
	v_and_b32_e32 v5, 0x80, v1
                                        ; implicit-def: $vgpr68
	s_mov_b32 s10, exec_lo
	s_delay_alu instid0(VALU_DEP_2)
	v_cmpx_gt_u64_e32 0x47600001, v[2:3]
	s_xor_b32 s29, exec_lo, s10
	s_cbranch_execz .LBB6_19432
; %bb.19423:                            ;   in Loop: Header=BB6_16763 Depth=2
	v_mov_b32_e32 v68, 0
	s_mov_b32 s40, exec_lo
	v_cmpx_ne_u32_e32 0, v0
	s_cbranch_execz .LBB6_19431
; %bb.19424:                            ;   in Loop: Header=BB6_16763 Depth=2
	v_bfe_u32 v6, v0, 23, 8
	v_or_b32_e32 v1, 0x800000, v54
	s_delay_alu instid0(VALU_DEP_2) | instskip(SKIP_2) | instid1(VALU_DEP_2)
	v_cmp_gt_u32_e64 s10, 0x72, v6
	v_sub_nc_u32_e32 v0, 0x71, v6
	v_cmp_eq_u32_e32 vcc_lo, 0, v6
	v_cndmask_b32_e64 v0, 0, v0, s10
	s_delay_alu instid0(VALU_DEP_1) | instskip(SKIP_1) | instid1(VALU_DEP_2)
	v_cndmask_b32_e64 v7, v0, 0x70, vcc_lo
	v_dual_cndmask_b32 v0, v1, v54 :: v_dual_mov_b32 v1, v55
	v_dual_add_nc_u32 v2, 21, v7 :: v_dual_add_nc_u32 v8, 20, v7
	s_delay_alu instid0(VALU_DEP_1) | instskip(NEXT) | instid1(VALU_DEP_2)
	v_lshlrev_b64_e64 v[2:3], v2, -1
	v_lshlrev_b64_e64 v[8:9], v8, 1
	s_delay_alu instid0(VALU_DEP_2) | instskip(SKIP_1) | instid1(VALU_DEP_4)
	v_bfi_b32 v2, v2, 0, v0
	v_lshrrev_b64 v[0:1], v7, v[0:1]
	v_bfi_b32 v3, v3, 0, 0
	s_delay_alu instid0(VALU_DEP_1) | instskip(NEXT) | instid1(VALU_DEP_3)
	v_cmp_eq_u64_e64 s10, v[2:3], v[8:9]
	v_mov_b64_e32 v[2:3], v[0:1]
	s_and_saveexec_b32 s41, s10
; %bb.19425:                            ;   in Loop: Header=BB6_16763 Depth=2
	v_bfe_u32 v2, v0, 21, 1
	v_mov_b32_e32 v3, v55
	s_delay_alu instid0(VALU_DEP_1) | instskip(NEXT) | instid1(VALU_DEP_1)
	v_add_nc_u64_e32 v[2:3], v[0:1], v[2:3]
	v_add_nc_u64_e32 v[2:3], -1, v[2:3]
; %bb.19426:                            ;   in Loop: Header=BB6_16763 Depth=2
	s_or_b32 exec_lo, exec_lo, s41
	v_add_nc_u32_e32 v1, 0xffffff81, v6
	s_delay_alu instid0(VALU_DEP_2) | instskip(SKIP_2) | instid1(VALU_DEP_3)
	v_and_b32_e32 v2, 0x1fffff, v2
	v_lshrrev_b32_e32 v3, 23, v0
	s_mov_b32 s10, exec_lo
	v_cndmask_b32_e64 v1, v1, 0xffffff82, vcc_lo
	s_delay_alu instid0(VALU_DEP_3) | instskip(NEXT) | instid1(VALU_DEP_2)
	v_add_nc_u32_e32 v54, v2, v0
                                        ; implicit-def: $vgpr2
	v_add3_u32 v6, v7, v1, v3
                                        ; implicit-def: $vgpr0_vgpr1
	s_delay_alu instid0(VALU_DEP_1) | instskip(NEXT) | instid1(VALU_DEP_1)
	v_add_nc_u32_e32 v3, 14, v6
	v_cmpx_ne_u32_e32 0, v3
	s_xor_b32 s10, exec_lo, s10
; %bb.19427:                            ;   in Loop: Header=BB6_16763 Depth=2
	v_cmp_lt_u64_e32 vcc_lo, 0xffffff, v[54:55]
	v_add_nc_u32_e32 v0, 15, v6
	s_delay_alu instid0(VALU_DEP_1) | instskip(SKIP_1) | instid1(VALU_DEP_1)
	v_cndmask_b32_e32 v2, v3, v0, vcc_lo
	v_cndmask_b32_e64 v0, 0, 1, vcc_lo
	v_lshrrev_b64 v[0:1], v0, v[54:55]
; %bb.19428:                            ;   in Loop: Header=BB6_16763 Depth=2
	s_and_not1_saveexec_b32 s10, s10
; %bb.19429:                            ;   in Loop: Header=BB6_16763 Depth=2
	v_mov_b64_e32 v[0:1], v[54:55]
	v_bfe_u32 v2, v54, 23, 1
; %bb.19430:                            ;   in Loop: Header=BB6_16763 Depth=2
	s_or_b32 exec_lo, exec_lo, s10
	s_delay_alu instid0(VALU_DEP_2) | instskip(NEXT) | instid1(VALU_DEP_2)
	v_lshrrev_b64 v[0:1], 21, v[0:1]
	v_cmp_gt_i32_e32 vcc_lo, 32, v2
	v_min_i32_e32 v3, 31, v2
	v_cmp_eq_u32_e64 s10, 0, v2
	s_delay_alu instid0(VALU_DEP_2) | instskip(SKIP_1) | instid1(VALU_DEP_2)
	v_dual_cndmask_b32 v1, 0, v1, vcc_lo :: v_dual_lshlrev_b32 v3, 2, v3
	v_cndmask_b32_e32 v0, 3, v0, vcc_lo
	v_and_b32_e32 v3, 0xfc, v3
	s_delay_alu instid0(VALU_DEP_2) | instskip(NEXT) | instid1(VALU_DEP_2)
	v_cmp_eq_u64_e32 vcc_lo, 0, v[0:1]
	v_and_or_b32 v0, v0, 3, v3
	s_and_b32 s10, s10, vcc_lo
	s_delay_alu instid0(VALU_DEP_1) | instid1(SALU_CYCLE_1)
	v_cndmask_b32_e64 v0, v0, 0, s10
	s_delay_alu instid0(VALU_DEP_1)
	v_or_b32_e32 v68, v0, v5
.LBB6_19431:                            ;   in Loop: Header=BB6_16763 Depth=2
	s_or_b32 exec_lo, exec_lo, s40
                                        ; implicit-def: $vgpr5
.LBB6_19432:                            ;   in Loop: Header=BB6_16763 Depth=2
	s_and_not1_saveexec_b32 s10, s29
; %bb.19433:                            ;   in Loop: Header=BB6_16763 Depth=2
	v_or_b32_e32 v68, 0x7b, v5
; %bb.19434:                            ;   in Loop: Header=BB6_16763 Depth=2
	s_or_b32 exec_lo, exec_lo, s10
                                        ; implicit-def: $vgpr0
                                        ; implicit-def: $vgpr1
.LBB6_19435:                            ;   in Loop: Header=BB6_16763 Depth=2
	s_and_not1_saveexec_b32 s10, s28
	s_cbranch_execz .LBB6_19441
; %bb.19436:                            ;   in Loop: Header=BB6_16763 Depth=2
	s_mov_b32 s28, exec_lo
                                        ; implicit-def: $vgpr68
	v_cmpx_ne_u64_e32 0, v[54:55]
	s_xor_b32 s28, exec_lo, s28
; %bb.19437:                            ;   in Loop: Header=BB6_16763 Depth=2
	v_or_b32_e32 v68, 0x7f, v1
                                        ; implicit-def: $vgpr0
; %bb.19438:                            ;   in Loop: Header=BB6_16763 Depth=2
	s_and_not1_saveexec_b32 s28, s28
; %bb.19439:                            ;   in Loop: Header=BB6_16763 Depth=2
	v_cmp_lt_i32_e32 vcc_lo, -1, v0
	v_cndmask_b32_e32 v68, 0xfc, v30, vcc_lo
; %bb.19440:                            ;   in Loop: Header=BB6_16763 Depth=2
	s_or_b32 exec_lo, exec_lo, s28
.LBB6_19441:                            ;   in Loop: Header=BB6_16763 Depth=2
	s_delay_alu instid0(SALU_CYCLE_1) | instskip(SKIP_3) | instid1(VALU_DEP_2)
	s_or_b32 exec_lo, exec_lo, s10
	v_lshrrev_b16 v0, 8, v12
	v_mov_b32_e32 v1, 0
	s_mov_b32 s28, exec_lo
	v_cmpx_ne_u16_e32 0, v0
	s_cbranch_execz .LBB6_19451
; %bb.19442:                            ;   in Loop: Header=BB6_16763 Depth=2
	v_bfrev_b32_e32 v1, 1
	s_mov_b32 s29, exec_lo
	v_cmpx_ne_u16_e32 0x80, v0
	s_cbranch_execz .LBB6_19450
; %bb.19443:                            ;   in Loop: Header=BB6_16763 Depth=2
	v_and_b32_e32 v3, 0xffff, v0
	s_delay_alu instid0(VALU_DEP_1) | instskip(SKIP_1) | instid1(VALU_DEP_2)
	v_and_b32_e32 v1, 0x7c, v3
	v_and_b32_e32 v2, 3, v3
	v_cmp_ne_u32_e32 vcc_lo, 0x7c, v1
                                        ; implicit-def: $vgpr1
	s_and_saveexec_b32 s10, vcc_lo
	s_delay_alu instid0(SALU_CYCLE_1)
	s_xor_b32 s10, exec_lo, s10
	s_cbranch_execz .LBB6_19447
; %bb.19444:                            ;   in Loop: Header=BB6_16763 Depth=2
	v_bfe_u32 v1, v3, 2, 5
	s_mov_b32 s40, exec_lo
	s_delay_alu instid0(VALU_DEP_1)
	v_cmpx_eq_u32_e32 0, v1
; %bb.19445:                            ;   in Loop: Header=BB6_16763 Depth=2
	v_clz_i32_u32_e32 v1, v2
	s_delay_alu instid0(VALU_DEP_1) | instskip(SKIP_1) | instid1(VALU_DEP_2)
	v_min_u32_e32 v2, 32, v1
	v_mov_b32_e32 v1, v55
	v_subrev_nc_u32_e32 v3, 29, v2
	s_delay_alu instid0(VALU_DEP_1) | instskip(NEXT) | instid1(VALU_DEP_1)
	v_lshlrev_b64_e32 v[0:1], v3, v[0:1]
	v_dual_sub_nc_u32 v1, 30, v2 :: v_dual_bitop2_b32 v2, 3, v0 bitop3:0x40
; %bb.19446:                            ;   in Loop: Header=BB6_16763 Depth=2
	s_or_b32 exec_lo, exec_lo, s40
	v_lshlrev_b32_e32 v0, 16, v12
	s_delay_alu instid0(VALU_DEP_1) | instskip(NEXT) | instid1(VALU_DEP_1)
	v_and_b32_e32 v0, 0x80000000, v0
	v_lshl_add_u32 v0, v1, 23, v0
	s_delay_alu instid0(VALU_DEP_1) | instskip(NEXT) | instid1(VALU_DEP_1)
	v_lshl_or_b32 v0, v2, 21, v0
                                        ; implicit-def: $vgpr2
	v_add_nc_u32_e32 v1, 0x38000000, v0
.LBB6_19447:                            ;   in Loop: Header=BB6_16763 Depth=2
	s_and_not1_saveexec_b32 s40, s10
; %bb.19448:                            ;   in Loop: Header=BB6_16763 Depth=2
	v_cmp_lt_i16_e64 s10, -1, v12
	v_cmp_eq_u32_e32 vcc_lo, 0, v2
	s_delay_alu instid0(VALU_DEP_2) | instskip(NEXT) | instid1(VALU_DEP_1)
	v_cndmask_b32_e64 v0, 0xff800000, v29, s10
	v_cndmask_b32_e32 v1, 0x7f800001, v0, vcc_lo
; %bb.19449:                            ;   in Loop: Header=BB6_16763 Depth=2
	s_or_b32 exec_lo, exec_lo, s40
.LBB6_19450:                            ;   in Loop: Header=BB6_16763 Depth=2
	s_delay_alu instid0(SALU_CYCLE_1)
	s_or_b32 exec_lo, exec_lo, s29
.LBB6_19451:                            ;   in Loop: Header=BB6_16763 Depth=2
	s_delay_alu instid0(SALU_CYCLE_1) | instskip(NEXT) | instid1(VALU_DEP_1)
	s_or_b32 exec_lo, exec_lo, s28
	v_dual_mul_f32 v0, s27, v1 :: v_dual_mov_b32 v3, v55
                                        ; implicit-def: $vgpr69
	s_mov_b32 s10, exec_lo
	s_delay_alu instid0(VALU_DEP_1) | instskip(SKIP_2) | instid1(VALU_DEP_3)
	v_and_b32_e32 v2, 0x7f800000, v0
	v_and_b32_e32 v54, 0x7fffff, v0
	v_lshrrev_b32_e32 v1, 24, v0
	v_cmpx_ne_u64_e32 0x7f800000, v[2:3]
	s_xor_b32 s28, exec_lo, s10
	s_cbranch_execz .LBB6_19465
; %bb.19452:                            ;   in Loop: Header=BB6_16763 Depth=2
	v_and_b32_e32 v2, 0x7fffffff, v0
	v_mov_b32_e32 v3, v55
	v_and_b32_e32 v5, 0x80, v1
                                        ; implicit-def: $vgpr69
	s_mov_b32 s10, exec_lo
	s_delay_alu instid0(VALU_DEP_2)
	v_cmpx_gt_u64_e32 0x47600001, v[2:3]
	s_xor_b32 s29, exec_lo, s10
	s_cbranch_execz .LBB6_19462
; %bb.19453:                            ;   in Loop: Header=BB6_16763 Depth=2
	v_mov_b32_e32 v69, 0
	s_mov_b32 s40, exec_lo
	v_cmpx_ne_u32_e32 0, v0
	s_cbranch_execz .LBB6_19461
; %bb.19454:                            ;   in Loop: Header=BB6_16763 Depth=2
	v_bfe_u32 v6, v0, 23, 8
	v_or_b32_e32 v1, 0x800000, v54
	s_delay_alu instid0(VALU_DEP_2) | instskip(SKIP_2) | instid1(VALU_DEP_2)
	v_cmp_gt_u32_e64 s10, 0x72, v6
	v_sub_nc_u32_e32 v0, 0x71, v6
	v_cmp_eq_u32_e32 vcc_lo, 0, v6
	v_cndmask_b32_e64 v0, 0, v0, s10
	s_delay_alu instid0(VALU_DEP_1) | instskip(SKIP_1) | instid1(VALU_DEP_2)
	v_cndmask_b32_e64 v7, v0, 0x70, vcc_lo
	v_dual_cndmask_b32 v0, v1, v54 :: v_dual_mov_b32 v1, v55
	v_dual_add_nc_u32 v2, 21, v7 :: v_dual_add_nc_u32 v8, 20, v7
	s_delay_alu instid0(VALU_DEP_1) | instskip(NEXT) | instid1(VALU_DEP_2)
	v_lshlrev_b64_e64 v[2:3], v2, -1
	v_lshlrev_b64_e64 v[8:9], v8, 1
	s_delay_alu instid0(VALU_DEP_2) | instskip(SKIP_1) | instid1(VALU_DEP_4)
	v_bfi_b32 v2, v2, 0, v0
	v_lshrrev_b64 v[0:1], v7, v[0:1]
	v_bfi_b32 v3, v3, 0, 0
	s_delay_alu instid0(VALU_DEP_1) | instskip(NEXT) | instid1(VALU_DEP_3)
	v_cmp_eq_u64_e64 s10, v[2:3], v[8:9]
	v_mov_b64_e32 v[2:3], v[0:1]
	s_and_saveexec_b32 s41, s10
; %bb.19455:                            ;   in Loop: Header=BB6_16763 Depth=2
	v_bfe_u32 v2, v0, 21, 1
	v_mov_b32_e32 v3, v55
	s_delay_alu instid0(VALU_DEP_1) | instskip(NEXT) | instid1(VALU_DEP_1)
	v_add_nc_u64_e32 v[2:3], v[0:1], v[2:3]
	v_add_nc_u64_e32 v[2:3], -1, v[2:3]
; %bb.19456:                            ;   in Loop: Header=BB6_16763 Depth=2
	s_or_b32 exec_lo, exec_lo, s41
	v_add_nc_u32_e32 v1, 0xffffff81, v6
	s_delay_alu instid0(VALU_DEP_2) | instskip(SKIP_2) | instid1(VALU_DEP_3)
	v_and_b32_e32 v2, 0x1fffff, v2
	v_lshrrev_b32_e32 v3, 23, v0
	s_mov_b32 s10, exec_lo
	v_cndmask_b32_e64 v1, v1, 0xffffff82, vcc_lo
	s_delay_alu instid0(VALU_DEP_3) | instskip(NEXT) | instid1(VALU_DEP_2)
	v_add_nc_u32_e32 v54, v2, v0
                                        ; implicit-def: $vgpr2
	v_add3_u32 v6, v7, v1, v3
                                        ; implicit-def: $vgpr0_vgpr1
	s_delay_alu instid0(VALU_DEP_1) | instskip(NEXT) | instid1(VALU_DEP_1)
	v_add_nc_u32_e32 v3, 14, v6
	v_cmpx_ne_u32_e32 0, v3
	s_xor_b32 s10, exec_lo, s10
; %bb.19457:                            ;   in Loop: Header=BB6_16763 Depth=2
	v_cmp_lt_u64_e32 vcc_lo, 0xffffff, v[54:55]
	v_add_nc_u32_e32 v0, 15, v6
	s_delay_alu instid0(VALU_DEP_1) | instskip(SKIP_1) | instid1(VALU_DEP_1)
	v_cndmask_b32_e32 v2, v3, v0, vcc_lo
	v_cndmask_b32_e64 v0, 0, 1, vcc_lo
	v_lshrrev_b64 v[0:1], v0, v[54:55]
; %bb.19458:                            ;   in Loop: Header=BB6_16763 Depth=2
	s_and_not1_saveexec_b32 s10, s10
; %bb.19459:                            ;   in Loop: Header=BB6_16763 Depth=2
	v_mov_b64_e32 v[0:1], v[54:55]
	v_bfe_u32 v2, v54, 23, 1
; %bb.19460:                            ;   in Loop: Header=BB6_16763 Depth=2
	s_or_b32 exec_lo, exec_lo, s10
	s_delay_alu instid0(VALU_DEP_2) | instskip(NEXT) | instid1(VALU_DEP_2)
	v_lshrrev_b64 v[0:1], 21, v[0:1]
	v_cmp_gt_i32_e32 vcc_lo, 32, v2
	v_min_i32_e32 v3, 31, v2
	v_cmp_eq_u32_e64 s10, 0, v2
	s_delay_alu instid0(VALU_DEP_2) | instskip(SKIP_1) | instid1(VALU_DEP_2)
	v_dual_cndmask_b32 v1, 0, v1, vcc_lo :: v_dual_lshlrev_b32 v3, 2, v3
	v_cndmask_b32_e32 v0, 3, v0, vcc_lo
	v_and_b32_e32 v3, 0xfc, v3
	s_delay_alu instid0(VALU_DEP_2) | instskip(NEXT) | instid1(VALU_DEP_2)
	v_cmp_eq_u64_e32 vcc_lo, 0, v[0:1]
	v_and_or_b32 v0, v0, 3, v3
	s_and_b32 s10, s10, vcc_lo
	s_delay_alu instid0(VALU_DEP_1) | instid1(SALU_CYCLE_1)
	v_cndmask_b32_e64 v0, v0, 0, s10
	s_delay_alu instid0(VALU_DEP_1)
	v_or_b32_e32 v69, v0, v5
.LBB6_19461:                            ;   in Loop: Header=BB6_16763 Depth=2
	s_or_b32 exec_lo, exec_lo, s40
                                        ; implicit-def: $vgpr5
.LBB6_19462:                            ;   in Loop: Header=BB6_16763 Depth=2
	s_and_not1_saveexec_b32 s10, s29
; %bb.19463:                            ;   in Loop: Header=BB6_16763 Depth=2
	v_or_b32_e32 v69, 0x7b, v5
; %bb.19464:                            ;   in Loop: Header=BB6_16763 Depth=2
	s_or_b32 exec_lo, exec_lo, s10
                                        ; implicit-def: $vgpr0
                                        ; implicit-def: $vgpr1
.LBB6_19465:                            ;   in Loop: Header=BB6_16763 Depth=2
	s_and_not1_saveexec_b32 s10, s28
	s_cbranch_execz .LBB6_19471
; %bb.19466:                            ;   in Loop: Header=BB6_16763 Depth=2
	s_mov_b32 s28, exec_lo
                                        ; implicit-def: $vgpr69
	v_cmpx_ne_u64_e32 0, v[54:55]
	s_xor_b32 s28, exec_lo, s28
; %bb.19467:                            ;   in Loop: Header=BB6_16763 Depth=2
	v_or_b32_e32 v69, 0x7f, v1
                                        ; implicit-def: $vgpr0
; %bb.19468:                            ;   in Loop: Header=BB6_16763 Depth=2
	s_and_not1_saveexec_b32 s28, s28
; %bb.19469:                            ;   in Loop: Header=BB6_16763 Depth=2
	v_cmp_lt_i32_e32 vcc_lo, -1, v0
	v_cndmask_b32_e32 v69, 0xfc, v30, vcc_lo
; %bb.19470:                            ;   in Loop: Header=BB6_16763 Depth=2
	s_or_b32 exec_lo, exec_lo, s28
.LBB6_19471:                            ;   in Loop: Header=BB6_16763 Depth=2
	s_delay_alu instid0(SALU_CYCLE_1) | instskip(SKIP_2) | instid1(VALU_DEP_1)
	s_or_b32 exec_lo, exec_lo, s10
	v_dual_mov_b32 v1, 0 :: v_dual_lshrrev_b32 v0, 16, v12
	s_mov_b32 s28, exec_lo
	v_and_b32_e32 v2, 0xff, v0
	s_delay_alu instid0(VALU_DEP_1)
	v_cmpx_ne_u16_e32 0, v2
	s_cbranch_execz .LBB6_19481
; %bb.19472:                            ;   in Loop: Header=BB6_16763 Depth=2
	v_bfrev_b32_e32 v1, 1
	s_mov_b32 s29, exec_lo
	v_cmpx_ne_u16_e32 0x80, v2
	s_cbranch_execz .LBB6_19480
; %bb.19473:                            ;   in Loop: Header=BB6_16763 Depth=2
	v_and_b32_e32 v1, 0x7c0000, v12
	v_bfe_u32 v2, v12, 16, 2
	s_delay_alu instid0(VALU_DEP_2) | instskip(SKIP_1) | instid1(SALU_CYCLE_1)
	v_cmp_ne_u32_e32 vcc_lo, 0x7c0000, v1
                                        ; implicit-def: $vgpr1
	s_and_saveexec_b32 s10, vcc_lo
	s_xor_b32 s10, exec_lo, s10
	s_cbranch_execz .LBB6_19477
; %bb.19474:                            ;   in Loop: Header=BB6_16763 Depth=2
	v_bfe_u32 v1, v12, 18, 5
	s_mov_b32 s40, exec_lo
	s_delay_alu instid0(VALU_DEP_1)
	v_cmpx_eq_u32_e32 0, v1
; %bb.19475:                            ;   in Loop: Header=BB6_16763 Depth=2
	v_clz_i32_u32_e32 v1, v2
	s_delay_alu instid0(VALU_DEP_1) | instskip(NEXT) | instid1(VALU_DEP_1)
	v_min_u32_e32 v1, 32, v1
	v_subrev_nc_u32_e32 v2, 29, v1
	s_delay_alu instid0(VALU_DEP_1) | instskip(NEXT) | instid1(VALU_DEP_1)
	v_lshlrev_b64_e32 v[2:3], v2, v[0:1]
	v_dual_sub_nc_u32 v1, 30, v1 :: v_dual_bitop2_b32 v2, 3, v2 bitop3:0x40
; %bb.19476:                            ;   in Loop: Header=BB6_16763 Depth=2
	s_or_b32 exec_lo, exec_lo, s40
	v_lshlrev_b32_e32 v0, 24, v0
	s_delay_alu instid0(VALU_DEP_1) | instskip(NEXT) | instid1(VALU_DEP_1)
	v_and_b32_e32 v0, 0x80000000, v0
	v_lshl_add_u32 v0, v1, 23, v0
	s_delay_alu instid0(VALU_DEP_1) | instskip(NEXT) | instid1(VALU_DEP_1)
	v_lshl_or_b32 v0, v2, 21, v0
                                        ; implicit-def: $vgpr2
	v_add_nc_u32_e32 v1, 0x38000000, v0
                                        ; implicit-def: $vgpr0
.LBB6_19477:                            ;   in Loop: Header=BB6_16763 Depth=2
	s_and_not1_saveexec_b32 s40, s10
; %bb.19478:                            ;   in Loop: Header=BB6_16763 Depth=2
	v_bfe_i32 v0, v0, 0, 8
	v_cmp_eq_u32_e32 vcc_lo, 0, v2
	s_delay_alu instid0(VALU_DEP_2) | instskip(NEXT) | instid1(VALU_DEP_1)
	v_cmp_lt_i16_e64 s10, -1, v0
	v_cndmask_b32_e64 v0, 0xff800000, v29, s10
	s_delay_alu instid0(VALU_DEP_1)
	v_cndmask_b32_e32 v1, 0x7f800001, v0, vcc_lo
; %bb.19479:                            ;   in Loop: Header=BB6_16763 Depth=2
	s_or_b32 exec_lo, exec_lo, s40
.LBB6_19480:                            ;   in Loop: Header=BB6_16763 Depth=2
	s_delay_alu instid0(SALU_CYCLE_1)
	s_or_b32 exec_lo, exec_lo, s29
.LBB6_19481:                            ;   in Loop: Header=BB6_16763 Depth=2
	s_delay_alu instid0(SALU_CYCLE_1) | instskip(NEXT) | instid1(VALU_DEP_1)
	s_or_b32 exec_lo, exec_lo, s28
	v_dual_mul_f32 v0, s27, v1 :: v_dual_mov_b32 v3, v55
                                        ; implicit-def: $vgpr80
	s_mov_b32 s10, exec_lo
	s_delay_alu instid0(VALU_DEP_1) | instskip(SKIP_2) | instid1(VALU_DEP_3)
	v_and_b32_e32 v2, 0x7f800000, v0
	v_and_b32_e32 v54, 0x7fffff, v0
	v_lshrrev_b32_e32 v1, 24, v0
	v_cmpx_ne_u64_e32 0x7f800000, v[2:3]
	s_xor_b32 s28, exec_lo, s10
	s_cbranch_execz .LBB6_19495
; %bb.19482:                            ;   in Loop: Header=BB6_16763 Depth=2
	v_and_b32_e32 v2, 0x7fffffff, v0
	v_mov_b32_e32 v3, v55
	v_and_b32_e32 v5, 0x80, v1
                                        ; implicit-def: $vgpr80
	s_mov_b32 s10, exec_lo
	s_delay_alu instid0(VALU_DEP_2)
	v_cmpx_gt_u64_e32 0x47600001, v[2:3]
	s_xor_b32 s29, exec_lo, s10
	s_cbranch_execz .LBB6_19492
; %bb.19483:                            ;   in Loop: Header=BB6_16763 Depth=2
	v_mov_b32_e32 v80, 0
	s_mov_b32 s40, exec_lo
	v_cmpx_ne_u32_e32 0, v0
	s_cbranch_execz .LBB6_19491
; %bb.19484:                            ;   in Loop: Header=BB6_16763 Depth=2
	v_bfe_u32 v6, v0, 23, 8
	v_or_b32_e32 v1, 0x800000, v54
	s_delay_alu instid0(VALU_DEP_2) | instskip(SKIP_2) | instid1(VALU_DEP_2)
	v_cmp_gt_u32_e64 s10, 0x72, v6
	v_sub_nc_u32_e32 v0, 0x71, v6
	v_cmp_eq_u32_e32 vcc_lo, 0, v6
	v_cndmask_b32_e64 v0, 0, v0, s10
	s_delay_alu instid0(VALU_DEP_1) | instskip(SKIP_1) | instid1(VALU_DEP_2)
	v_cndmask_b32_e64 v7, v0, 0x70, vcc_lo
	v_dual_cndmask_b32 v0, v1, v54 :: v_dual_mov_b32 v1, v55
	v_dual_add_nc_u32 v2, 21, v7 :: v_dual_add_nc_u32 v8, 20, v7
	s_delay_alu instid0(VALU_DEP_1) | instskip(NEXT) | instid1(VALU_DEP_2)
	v_lshlrev_b64_e64 v[2:3], v2, -1
	v_lshlrev_b64_e64 v[8:9], v8, 1
	s_delay_alu instid0(VALU_DEP_2) | instskip(SKIP_1) | instid1(VALU_DEP_4)
	v_bfi_b32 v2, v2, 0, v0
	v_lshrrev_b64 v[0:1], v7, v[0:1]
	v_bfi_b32 v3, v3, 0, 0
	s_delay_alu instid0(VALU_DEP_1) | instskip(NEXT) | instid1(VALU_DEP_3)
	v_cmp_eq_u64_e64 s10, v[2:3], v[8:9]
	v_mov_b64_e32 v[2:3], v[0:1]
	s_and_saveexec_b32 s41, s10
; %bb.19485:                            ;   in Loop: Header=BB6_16763 Depth=2
	v_bfe_u32 v2, v0, 21, 1
	v_mov_b32_e32 v3, v55
	s_delay_alu instid0(VALU_DEP_1) | instskip(NEXT) | instid1(VALU_DEP_1)
	v_add_nc_u64_e32 v[2:3], v[0:1], v[2:3]
	v_add_nc_u64_e32 v[2:3], -1, v[2:3]
; %bb.19486:                            ;   in Loop: Header=BB6_16763 Depth=2
	s_or_b32 exec_lo, exec_lo, s41
	v_add_nc_u32_e32 v1, 0xffffff81, v6
	s_delay_alu instid0(VALU_DEP_2) | instskip(SKIP_2) | instid1(VALU_DEP_3)
	v_and_b32_e32 v2, 0x1fffff, v2
	v_lshrrev_b32_e32 v3, 23, v0
	s_mov_b32 s10, exec_lo
	v_cndmask_b32_e64 v1, v1, 0xffffff82, vcc_lo
	s_delay_alu instid0(VALU_DEP_3) | instskip(NEXT) | instid1(VALU_DEP_2)
	v_add_nc_u32_e32 v54, v2, v0
                                        ; implicit-def: $vgpr2
	v_add3_u32 v6, v7, v1, v3
                                        ; implicit-def: $vgpr0_vgpr1
	s_delay_alu instid0(VALU_DEP_1) | instskip(NEXT) | instid1(VALU_DEP_1)
	v_add_nc_u32_e32 v3, 14, v6
	v_cmpx_ne_u32_e32 0, v3
	s_xor_b32 s10, exec_lo, s10
; %bb.19487:                            ;   in Loop: Header=BB6_16763 Depth=2
	v_cmp_lt_u64_e32 vcc_lo, 0xffffff, v[54:55]
	v_add_nc_u32_e32 v0, 15, v6
	s_delay_alu instid0(VALU_DEP_1) | instskip(SKIP_1) | instid1(VALU_DEP_1)
	v_cndmask_b32_e32 v2, v3, v0, vcc_lo
	v_cndmask_b32_e64 v0, 0, 1, vcc_lo
	v_lshrrev_b64 v[0:1], v0, v[54:55]
; %bb.19488:                            ;   in Loop: Header=BB6_16763 Depth=2
	s_and_not1_saveexec_b32 s10, s10
; %bb.19489:                            ;   in Loop: Header=BB6_16763 Depth=2
	v_mov_b64_e32 v[0:1], v[54:55]
	v_bfe_u32 v2, v54, 23, 1
; %bb.19490:                            ;   in Loop: Header=BB6_16763 Depth=2
	s_or_b32 exec_lo, exec_lo, s10
	s_delay_alu instid0(VALU_DEP_2) | instskip(NEXT) | instid1(VALU_DEP_2)
	v_lshrrev_b64 v[0:1], 21, v[0:1]
	v_cmp_gt_i32_e32 vcc_lo, 32, v2
	v_min_i32_e32 v3, 31, v2
	v_cmp_eq_u32_e64 s10, 0, v2
	s_delay_alu instid0(VALU_DEP_2) | instskip(SKIP_1) | instid1(VALU_DEP_2)
	v_dual_cndmask_b32 v1, 0, v1, vcc_lo :: v_dual_lshlrev_b32 v3, 2, v3
	v_cndmask_b32_e32 v0, 3, v0, vcc_lo
	v_and_b32_e32 v3, 0xfc, v3
	s_delay_alu instid0(VALU_DEP_2) | instskip(NEXT) | instid1(VALU_DEP_2)
	v_cmp_eq_u64_e32 vcc_lo, 0, v[0:1]
	v_and_or_b32 v0, v0, 3, v3
	s_and_b32 s10, s10, vcc_lo
	s_delay_alu instid0(VALU_DEP_1) | instid1(SALU_CYCLE_1)
	v_cndmask_b32_e64 v0, v0, 0, s10
	s_delay_alu instid0(VALU_DEP_1)
	v_or_b32_e32 v80, v0, v5
.LBB6_19491:                            ;   in Loop: Header=BB6_16763 Depth=2
	s_or_b32 exec_lo, exec_lo, s40
                                        ; implicit-def: $vgpr5
.LBB6_19492:                            ;   in Loop: Header=BB6_16763 Depth=2
	s_and_not1_saveexec_b32 s10, s29
; %bb.19493:                            ;   in Loop: Header=BB6_16763 Depth=2
	v_or_b32_e32 v80, 0x7b, v5
; %bb.19494:                            ;   in Loop: Header=BB6_16763 Depth=2
	s_or_b32 exec_lo, exec_lo, s10
                                        ; implicit-def: $vgpr0
                                        ; implicit-def: $vgpr1
.LBB6_19495:                            ;   in Loop: Header=BB6_16763 Depth=2
	s_and_not1_saveexec_b32 s10, s28
	s_cbranch_execz .LBB6_19501
; %bb.19496:                            ;   in Loop: Header=BB6_16763 Depth=2
	s_mov_b32 s28, exec_lo
                                        ; implicit-def: $vgpr80
	v_cmpx_ne_u64_e32 0, v[54:55]
	s_xor_b32 s28, exec_lo, s28
; %bb.19497:                            ;   in Loop: Header=BB6_16763 Depth=2
	v_or_b32_e32 v80, 0x7f, v1
                                        ; implicit-def: $vgpr0
; %bb.19498:                            ;   in Loop: Header=BB6_16763 Depth=2
	s_and_not1_saveexec_b32 s28, s28
; %bb.19499:                            ;   in Loop: Header=BB6_16763 Depth=2
	v_cmp_lt_i32_e32 vcc_lo, -1, v0
	v_cndmask_b32_e32 v80, 0xfc, v30, vcc_lo
; %bb.19500:                            ;   in Loop: Header=BB6_16763 Depth=2
	s_or_b32 exec_lo, exec_lo, s28
.LBB6_19501:                            ;   in Loop: Header=BB6_16763 Depth=2
	s_delay_alu instid0(SALU_CYCLE_1)
	s_or_b32 exec_lo, exec_lo, s10
	v_mov_b32_e32 v1, 0
	s_mov_b32 s28, exec_lo
	v_cmpx_lt_u32_e32 0xffffff, v12
	s_cbranch_execz .LBB6_19511
; %bb.19502:                            ;   in Loop: Header=BB6_16763 Depth=2
	v_lshrrev_b32_e32 v0, 24, v12
	v_bfrev_b32_e32 v1, 1
	s_mov_b32 s29, exec_lo
	s_delay_alu instid0(VALU_DEP_2)
	v_cmpx_ne_u32_e32 0x80, v0
	s_cbranch_execz .LBB6_19510
; %bb.19503:                            ;   in Loop: Header=BB6_16763 Depth=2
	v_and_b32_e32 v1, 0x7c000000, v12
	v_bfe_u32 v2, v12, 24, 2
	s_delay_alu instid0(VALU_DEP_2) | instskip(SKIP_1) | instid1(SALU_CYCLE_1)
	v_cmp_ne_u32_e32 vcc_lo, 0x7c000000, v1
                                        ; implicit-def: $vgpr1
	s_and_saveexec_b32 s10, vcc_lo
	s_xor_b32 s10, exec_lo, s10
	s_cbranch_execz .LBB6_19507
; %bb.19504:                            ;   in Loop: Header=BB6_16763 Depth=2
	v_bfe_u32 v1, v12, 26, 5
	s_mov_b32 s40, exec_lo
	s_delay_alu instid0(VALU_DEP_1)
	v_cmpx_eq_u32_e32 0, v1
; %bb.19505:                            ;   in Loop: Header=BB6_16763 Depth=2
	v_clz_i32_u32_e32 v1, v2
	s_delay_alu instid0(VALU_DEP_1) | instskip(NEXT) | instid1(VALU_DEP_1)
	v_min_u32_e32 v2, 32, v1
	v_subrev_nc_u32_e32 v1, 29, v2
	s_delay_alu instid0(VALU_DEP_1) | instskip(NEXT) | instid1(VALU_DEP_1)
	v_lshlrev_b64_e32 v[0:1], v1, v[0:1]
	v_dual_sub_nc_u32 v1, 30, v2 :: v_dual_bitop2_b32 v2, 3, v0 bitop3:0x40
; %bb.19506:                            ;   in Loop: Header=BB6_16763 Depth=2
	s_or_b32 exec_lo, exec_lo, s40
	v_and_b32_e32 v0, 0x80000000, v12
	s_delay_alu instid0(VALU_DEP_1) | instskip(NEXT) | instid1(VALU_DEP_1)
	v_lshl_add_u32 v0, v1, 23, v0
	v_lshl_or_b32 v0, v2, 21, v0
                                        ; implicit-def: $vgpr2
	s_delay_alu instid0(VALU_DEP_1)
	v_add_nc_u32_e32 v1, 0x38000000, v0
.LBB6_19507:                            ;   in Loop: Header=BB6_16763 Depth=2
	s_and_not1_saveexec_b32 s40, s10
; %bb.19508:                            ;   in Loop: Header=BB6_16763 Depth=2
	v_cmp_lt_i32_e64 s10, -1, v12
	v_cmp_eq_u32_e32 vcc_lo, 0, v2
	s_delay_alu instid0(VALU_DEP_2) | instskip(NEXT) | instid1(VALU_DEP_1)
	v_cndmask_b32_e64 v0, 0xff800000, v29, s10
	v_cndmask_b32_e32 v1, 0x7f800001, v0, vcc_lo
; %bb.19509:                            ;   in Loop: Header=BB6_16763 Depth=2
	s_or_b32 exec_lo, exec_lo, s40
.LBB6_19510:                            ;   in Loop: Header=BB6_16763 Depth=2
	s_delay_alu instid0(SALU_CYCLE_1)
	s_or_b32 exec_lo, exec_lo, s29
.LBB6_19511:                            ;   in Loop: Header=BB6_16763 Depth=2
	s_delay_alu instid0(SALU_CYCLE_1) | instskip(NEXT) | instid1(VALU_DEP_1)
	s_or_b32 exec_lo, exec_lo, s28
	v_dual_mul_f32 v0, s27, v1 :: v_dual_mov_b32 v3, v55
                                        ; implicit-def: $vgpr81
	s_mov_b32 s10, exec_lo
	s_delay_alu instid0(VALU_DEP_1) | instskip(SKIP_2) | instid1(VALU_DEP_3)
	v_and_b32_e32 v2, 0x7f800000, v0
	v_and_b32_e32 v54, 0x7fffff, v0
	v_lshrrev_b32_e32 v1, 24, v0
	v_cmpx_ne_u64_e32 0x7f800000, v[2:3]
	s_xor_b32 s28, exec_lo, s10
	s_cbranch_execz .LBB6_19525
; %bb.19512:                            ;   in Loop: Header=BB6_16763 Depth=2
	v_and_b32_e32 v2, 0x7fffffff, v0
	v_mov_b32_e32 v3, v55
	v_and_b32_e32 v5, 0x80, v1
                                        ; implicit-def: $vgpr81
	s_mov_b32 s10, exec_lo
	s_delay_alu instid0(VALU_DEP_2)
	v_cmpx_gt_u64_e32 0x47600001, v[2:3]
	s_xor_b32 s29, exec_lo, s10
	s_cbranch_execz .LBB6_19522
; %bb.19513:                            ;   in Loop: Header=BB6_16763 Depth=2
	v_mov_b32_e32 v81, 0
	s_mov_b32 s40, exec_lo
	v_cmpx_ne_u32_e32 0, v0
	s_cbranch_execz .LBB6_19521
; %bb.19514:                            ;   in Loop: Header=BB6_16763 Depth=2
	v_bfe_u32 v6, v0, 23, 8
	v_or_b32_e32 v1, 0x800000, v54
	s_delay_alu instid0(VALU_DEP_2) | instskip(SKIP_2) | instid1(VALU_DEP_2)
	v_cmp_gt_u32_e64 s10, 0x72, v6
	v_sub_nc_u32_e32 v0, 0x71, v6
	v_cmp_eq_u32_e32 vcc_lo, 0, v6
	v_cndmask_b32_e64 v0, 0, v0, s10
	s_delay_alu instid0(VALU_DEP_1) | instskip(SKIP_1) | instid1(VALU_DEP_2)
	v_cndmask_b32_e64 v7, v0, 0x70, vcc_lo
	v_dual_cndmask_b32 v0, v1, v54 :: v_dual_mov_b32 v1, v55
	v_dual_add_nc_u32 v2, 21, v7 :: v_dual_add_nc_u32 v8, 20, v7
	s_delay_alu instid0(VALU_DEP_1) | instskip(NEXT) | instid1(VALU_DEP_2)
	v_lshlrev_b64_e64 v[2:3], v2, -1
	v_lshlrev_b64_e64 v[8:9], v8, 1
	s_delay_alu instid0(VALU_DEP_2) | instskip(SKIP_1) | instid1(VALU_DEP_4)
	v_bfi_b32 v2, v2, 0, v0
	v_lshrrev_b64 v[0:1], v7, v[0:1]
	v_bfi_b32 v3, v3, 0, 0
	s_delay_alu instid0(VALU_DEP_1) | instskip(NEXT) | instid1(VALU_DEP_3)
	v_cmp_eq_u64_e64 s10, v[2:3], v[8:9]
	v_mov_b64_e32 v[2:3], v[0:1]
	s_and_saveexec_b32 s41, s10
; %bb.19515:                            ;   in Loop: Header=BB6_16763 Depth=2
	v_bfe_u32 v2, v0, 21, 1
	v_mov_b32_e32 v3, v55
	s_delay_alu instid0(VALU_DEP_1) | instskip(NEXT) | instid1(VALU_DEP_1)
	v_add_nc_u64_e32 v[2:3], v[0:1], v[2:3]
	v_add_nc_u64_e32 v[2:3], -1, v[2:3]
; %bb.19516:                            ;   in Loop: Header=BB6_16763 Depth=2
	s_or_b32 exec_lo, exec_lo, s41
	v_add_nc_u32_e32 v1, 0xffffff81, v6
	s_delay_alu instid0(VALU_DEP_2) | instskip(SKIP_2) | instid1(VALU_DEP_3)
	v_and_b32_e32 v2, 0x1fffff, v2
	v_lshrrev_b32_e32 v3, 23, v0
	s_mov_b32 s10, exec_lo
	v_cndmask_b32_e64 v1, v1, 0xffffff82, vcc_lo
	s_delay_alu instid0(VALU_DEP_3) | instskip(NEXT) | instid1(VALU_DEP_2)
	v_add_nc_u32_e32 v54, v2, v0
                                        ; implicit-def: $vgpr2
	v_add3_u32 v6, v7, v1, v3
                                        ; implicit-def: $vgpr0_vgpr1
	s_delay_alu instid0(VALU_DEP_1) | instskip(NEXT) | instid1(VALU_DEP_1)
	v_add_nc_u32_e32 v3, 14, v6
	v_cmpx_ne_u32_e32 0, v3
	s_xor_b32 s10, exec_lo, s10
; %bb.19517:                            ;   in Loop: Header=BB6_16763 Depth=2
	v_cmp_lt_u64_e32 vcc_lo, 0xffffff, v[54:55]
	v_add_nc_u32_e32 v0, 15, v6
	s_delay_alu instid0(VALU_DEP_1) | instskip(SKIP_1) | instid1(VALU_DEP_1)
	v_cndmask_b32_e32 v2, v3, v0, vcc_lo
	v_cndmask_b32_e64 v0, 0, 1, vcc_lo
	v_lshrrev_b64 v[0:1], v0, v[54:55]
; %bb.19518:                            ;   in Loop: Header=BB6_16763 Depth=2
	s_and_not1_saveexec_b32 s10, s10
; %bb.19519:                            ;   in Loop: Header=BB6_16763 Depth=2
	v_mov_b64_e32 v[0:1], v[54:55]
	v_bfe_u32 v2, v54, 23, 1
; %bb.19520:                            ;   in Loop: Header=BB6_16763 Depth=2
	s_or_b32 exec_lo, exec_lo, s10
	s_delay_alu instid0(VALU_DEP_2) | instskip(NEXT) | instid1(VALU_DEP_2)
	v_lshrrev_b64 v[0:1], 21, v[0:1]
	v_cmp_gt_i32_e32 vcc_lo, 32, v2
	v_min_i32_e32 v3, 31, v2
	v_cmp_eq_u32_e64 s10, 0, v2
	s_delay_alu instid0(VALU_DEP_2) | instskip(SKIP_1) | instid1(VALU_DEP_2)
	v_dual_cndmask_b32 v1, 0, v1, vcc_lo :: v_dual_lshlrev_b32 v3, 2, v3
	v_cndmask_b32_e32 v0, 3, v0, vcc_lo
	v_and_b32_e32 v3, 0xfc, v3
	s_delay_alu instid0(VALU_DEP_2) | instskip(NEXT) | instid1(VALU_DEP_2)
	v_cmp_eq_u64_e32 vcc_lo, 0, v[0:1]
	v_and_or_b32 v0, v0, 3, v3
	s_and_b32 s10, s10, vcc_lo
	s_delay_alu instid0(VALU_DEP_1) | instid1(SALU_CYCLE_1)
	v_cndmask_b32_e64 v0, v0, 0, s10
	s_delay_alu instid0(VALU_DEP_1)
	v_or_b32_e32 v81, v0, v5
.LBB6_19521:                            ;   in Loop: Header=BB6_16763 Depth=2
	s_or_b32 exec_lo, exec_lo, s40
                                        ; implicit-def: $vgpr5
.LBB6_19522:                            ;   in Loop: Header=BB6_16763 Depth=2
	s_and_not1_saveexec_b32 s10, s29
; %bb.19523:                            ;   in Loop: Header=BB6_16763 Depth=2
	v_or_b32_e32 v81, 0x7b, v5
; %bb.19524:                            ;   in Loop: Header=BB6_16763 Depth=2
	s_or_b32 exec_lo, exec_lo, s10
                                        ; implicit-def: $vgpr0
                                        ; implicit-def: $vgpr1
.LBB6_19525:                            ;   in Loop: Header=BB6_16763 Depth=2
	s_and_not1_saveexec_b32 s10, s28
	s_cbranch_execz .LBB6_19531
; %bb.19526:                            ;   in Loop: Header=BB6_16763 Depth=2
	s_mov_b32 s28, exec_lo
                                        ; implicit-def: $vgpr81
	v_cmpx_ne_u64_e32 0, v[54:55]
	s_xor_b32 s28, exec_lo, s28
; %bb.19527:                            ;   in Loop: Header=BB6_16763 Depth=2
	v_or_b32_e32 v81, 0x7f, v1
                                        ; implicit-def: $vgpr0
; %bb.19528:                            ;   in Loop: Header=BB6_16763 Depth=2
	s_and_not1_saveexec_b32 s28, s28
; %bb.19529:                            ;   in Loop: Header=BB6_16763 Depth=2
	v_cmp_lt_i32_e32 vcc_lo, -1, v0
	v_cndmask_b32_e32 v81, 0xfc, v30, vcc_lo
; %bb.19530:                            ;   in Loop: Header=BB6_16763 Depth=2
	s_or_b32 exec_lo, exec_lo, s28
.LBB6_19531:                            ;   in Loop: Header=BB6_16763 Depth=2
	s_delay_alu instid0(SALU_CYCLE_1) | instskip(SKIP_3) | instid1(VALU_DEP_2)
	s_or_b32 exec_lo, exec_lo, s10
	v_and_b32_e32 v1, 0xff, v13
	v_dual_mov_b32 v54, v13 :: v_dual_mov_b32 v0, 0
	s_mov_b32 s28, exec_lo
	v_cmpx_ne_u16_e32 0, v1
	s_cbranch_execz .LBB6_19541
; %bb.19532:                            ;   in Loop: Header=BB6_16763 Depth=2
	v_bfrev_b32_e32 v0, 1
	s_mov_b32 s29, exec_lo
	v_cmpx_ne_u16_e32 0x80, v1
	s_cbranch_execz .LBB6_19540
; %bb.19533:                            ;   in Loop: Header=BB6_16763 Depth=2
	v_and_b32_e32 v0, 0x7c, v13
	v_and_b32_e32 v1, 3, v13
	s_delay_alu instid0(VALU_DEP_2) | instskip(SKIP_1) | instid1(SALU_CYCLE_1)
	v_cmp_ne_u32_e32 vcc_lo, 0x7c, v0
                                        ; implicit-def: $vgpr0
	s_and_saveexec_b32 s10, vcc_lo
	s_xor_b32 s10, exec_lo, s10
	s_cbranch_execz .LBB6_19537
; %bb.19534:                            ;   in Loop: Header=BB6_16763 Depth=2
	v_bfe_u32 v0, v13, 2, 5
	s_mov_b32 s40, exec_lo
	s_delay_alu instid0(VALU_DEP_1)
	v_cmpx_eq_u32_e32 0, v0
; %bb.19535:                            ;   in Loop: Header=BB6_16763 Depth=2
	v_clz_i32_u32_e32 v0, v1
	s_delay_alu instid0(VALU_DEP_1) | instskip(NEXT) | instid1(VALU_DEP_1)
	v_min_u32_e32 v0, 32, v0
	v_subrev_nc_u32_e32 v1, 29, v0
	s_delay_alu instid0(VALU_DEP_1) | instskip(NEXT) | instid1(VALU_DEP_1)
	v_lshlrev_b64_e32 v[2:3], v1, v[54:55]
	v_dual_sub_nc_u32 v0, 30, v0 :: v_dual_bitop2_b32 v1, 3, v2 bitop3:0x40
; %bb.19536:                            ;   in Loop: Header=BB6_16763 Depth=2
	s_or_b32 exec_lo, exec_lo, s40
	v_lshlrev_b32_e32 v2, 24, v13
	s_delay_alu instid0(VALU_DEP_1) | instskip(NEXT) | instid1(VALU_DEP_1)
	v_and_b32_e32 v2, 0x80000000, v2
	v_lshl_add_u32 v0, v0, 23, v2
	s_delay_alu instid0(VALU_DEP_1) | instskip(NEXT) | instid1(VALU_DEP_1)
	v_lshl_or_b32 v0, v1, 21, v0
                                        ; implicit-def: $vgpr1
	v_add_nc_u32_e32 v0, 0x38000000, v0
.LBB6_19537:                            ;   in Loop: Header=BB6_16763 Depth=2
	s_and_not1_saveexec_b32 s40, s10
; %bb.19538:                            ;   in Loop: Header=BB6_16763 Depth=2
	v_bfe_i32 v0, v13, 0, 8
	v_cmp_eq_u32_e32 vcc_lo, 0, v1
	s_delay_alu instid0(VALU_DEP_2) | instskip(NEXT) | instid1(VALU_DEP_1)
	v_cmp_lt_i16_e64 s10, -1, v0
	v_cndmask_b32_e64 v0, 0xff800000, v29, s10
	s_delay_alu instid0(VALU_DEP_1)
	v_cndmask_b32_e32 v0, 0x7f800001, v0, vcc_lo
; %bb.19539:                            ;   in Loop: Header=BB6_16763 Depth=2
	s_or_b32 exec_lo, exec_lo, s40
.LBB6_19540:                            ;   in Loop: Header=BB6_16763 Depth=2
	s_delay_alu instid0(SALU_CYCLE_1)
	s_or_b32 exec_lo, exec_lo, s29
.LBB6_19541:                            ;   in Loop: Header=BB6_16763 Depth=2
	s_delay_alu instid0(SALU_CYCLE_1) | instskip(NEXT) | instid1(VALU_DEP_1)
	s_or_b32 exec_lo, exec_lo, s28
	v_dual_mul_f32 v2, s27, v0 :: v_dual_mov_b32 v7, v55
	v_mov_b32_e32 v1, v55
                                        ; implicit-def: $vgpr66
	s_mov_b32 s10, exec_lo
	s_delay_alu instid0(VALU_DEP_2) | instskip(SKIP_2) | instid1(VALU_DEP_3)
	v_and_b32_e32 v6, 0x7f800000, v2
	v_and_b32_e32 v0, 0x7fffff, v2
	v_lshrrev_b32_e32 v3, 24, v2
	v_cmpx_ne_u64_e32 0x7f800000, v[6:7]
	s_xor_b32 s28, exec_lo, s10
	s_cbranch_execz .LBB6_19555
; %bb.19542:                            ;   in Loop: Header=BB6_16763 Depth=2
	v_and_b32_e32 v6, 0x7fffffff, v2
	v_mov_b32_e32 v7, v55
	v_and_b32_e32 v5, 0x80, v3
                                        ; implicit-def: $vgpr66
	s_mov_b32 s10, exec_lo
	s_delay_alu instid0(VALU_DEP_2)
	v_cmpx_gt_u64_e32 0x47600001, v[6:7]
	s_xor_b32 s29, exec_lo, s10
	s_cbranch_execz .LBB6_19552
; %bb.19543:                            ;   in Loop: Header=BB6_16763 Depth=2
	v_mov_b32_e32 v66, 0
	s_mov_b32 s40, exec_lo
	v_cmpx_ne_u32_e32 0, v2
	s_cbranch_execz .LBB6_19551
; %bb.19544:                            ;   in Loop: Header=BB6_16763 Depth=2
	v_bfe_u32 v6, v2, 23, 8
	v_or_b32_e32 v3, 0x800000, v0
	s_delay_alu instid0(VALU_DEP_2) | instskip(SKIP_2) | instid1(VALU_DEP_2)
	v_cmp_gt_u32_e64 s10, 0x72, v6
	v_sub_nc_u32_e32 v2, 0x71, v6
	v_cmp_eq_u32_e32 vcc_lo, 0, v6
	v_dual_cndmask_b32 v2, 0, v2, s10 :: v_dual_cndmask_b32 v0, v3, v0, vcc_lo
	s_delay_alu instid0(VALU_DEP_1) | instskip(NEXT) | instid1(VALU_DEP_1)
	v_cndmask_b32_e64 v7, v2, 0x70, vcc_lo
	v_dual_add_nc_u32 v2, 21, v7 :: v_dual_add_nc_u32 v8, 20, v7
	s_delay_alu instid0(VALU_DEP_1) | instskip(NEXT) | instid1(VALU_DEP_2)
	v_lshlrev_b64_e64 v[2:3], v2, -1
	v_lshlrev_b64_e64 v[8:9], v8, 1
	s_delay_alu instid0(VALU_DEP_2) | instskip(SKIP_1) | instid1(VALU_DEP_4)
	v_bfi_b32 v2, v2, 0, v0
	v_lshrrev_b64 v[0:1], v7, v[0:1]
	v_bfi_b32 v3, v3, 0, 0
	s_delay_alu instid0(VALU_DEP_1) | instskip(NEXT) | instid1(VALU_DEP_3)
	v_cmp_eq_u64_e64 s10, v[2:3], v[8:9]
	v_mov_b64_e32 v[2:3], v[0:1]
	s_and_saveexec_b32 s41, s10
; %bb.19545:                            ;   in Loop: Header=BB6_16763 Depth=2
	v_bfe_u32 v2, v0, 21, 1
	v_mov_b32_e32 v3, v55
	s_delay_alu instid0(VALU_DEP_1) | instskip(NEXT) | instid1(VALU_DEP_1)
	v_add_nc_u64_e32 v[2:3], v[0:1], v[2:3]
	v_add_nc_u64_e32 v[2:3], -1, v[2:3]
; %bb.19546:                            ;   in Loop: Header=BB6_16763 Depth=2
	s_or_b32 exec_lo, exec_lo, s41
	v_add_nc_u32_e32 v1, 0xffffff81, v6
	v_lshrrev_b32_e32 v3, 23, v0
	s_mov_b32 s10, exec_lo
	s_delay_alu instid0(VALU_DEP_2) | instskip(NEXT) | instid1(VALU_DEP_1)
	v_cndmask_b32_e64 v1, v1, 0xffffff82, vcc_lo
	v_add3_u32 v6, v7, v1, v3
	v_and_b32_e32 v1, 0x1fffff, v2
                                        ; implicit-def: $vgpr2
	s_delay_alu instid0(VALU_DEP_1) | instskip(SKIP_1) | instid1(VALU_DEP_2)
	v_dual_add_nc_u32 v3, 14, v6 :: v_dual_add_nc_u32 v0, v1, v0
	v_mov_b32_e32 v1, v55
	v_cmpx_ne_u32_e32 0, v3
	s_xor_b32 s10, exec_lo, s10
; %bb.19547:                            ;   in Loop: Header=BB6_16763 Depth=2
	s_delay_alu instid0(VALU_DEP_2) | instskip(SKIP_1) | instid1(VALU_DEP_1)
	v_cmp_lt_u64_e32 vcc_lo, 0xffffff, v[0:1]
	v_add_nc_u32_e32 v2, 15, v6
	v_cndmask_b32_e32 v2, v3, v2, vcc_lo
	v_cndmask_b32_e64 v3, 0, 1, vcc_lo
	s_delay_alu instid0(VALU_DEP_1)
	v_lshrrev_b64 v[0:1], v3, v[0:1]
; %bb.19548:                            ;   in Loop: Header=BB6_16763 Depth=2
	s_and_not1_saveexec_b32 s10, s10
; %bb.19549:                            ;   in Loop: Header=BB6_16763 Depth=2
	s_delay_alu instid0(VALU_DEP_1)
	v_bfe_u32 v2, v0, 23, 1
; %bb.19550:                            ;   in Loop: Header=BB6_16763 Depth=2
	s_or_b32 exec_lo, exec_lo, s10
	s_delay_alu instid0(VALU_DEP_2) | instskip(NEXT) | instid1(VALU_DEP_2)
	v_lshrrev_b64 v[0:1], 21, v[0:1]
	v_cmp_gt_i32_e32 vcc_lo, 32, v2
	v_min_i32_e32 v3, 31, v2
	v_cmp_eq_u32_e64 s10, 0, v2
	s_delay_alu instid0(VALU_DEP_2) | instskip(SKIP_1) | instid1(VALU_DEP_2)
	v_dual_cndmask_b32 v1, 0, v1, vcc_lo :: v_dual_lshlrev_b32 v3, 2, v3
	v_cndmask_b32_e32 v0, 3, v0, vcc_lo
	v_and_b32_e32 v3, 0xfc, v3
	s_delay_alu instid0(VALU_DEP_2) | instskip(NEXT) | instid1(VALU_DEP_2)
	v_cmp_eq_u64_e32 vcc_lo, 0, v[0:1]
	v_and_or_b32 v0, v0, 3, v3
	s_and_b32 s10, s10, vcc_lo
	s_delay_alu instid0(VALU_DEP_1) | instid1(SALU_CYCLE_1)
	v_cndmask_b32_e64 v0, v0, 0, s10
	s_delay_alu instid0(VALU_DEP_1)
	v_or_b32_e32 v66, v0, v5
.LBB6_19551:                            ;   in Loop: Header=BB6_16763 Depth=2
	s_or_b32 exec_lo, exec_lo, s40
                                        ; implicit-def: $vgpr5
.LBB6_19552:                            ;   in Loop: Header=BB6_16763 Depth=2
	s_and_not1_saveexec_b32 s10, s29
; %bb.19553:                            ;   in Loop: Header=BB6_16763 Depth=2
	v_or_b32_e32 v66, 0x7b, v5
; %bb.19554:                            ;   in Loop: Header=BB6_16763 Depth=2
	s_or_b32 exec_lo, exec_lo, s10
                                        ; implicit-def: $vgpr2
                                        ; implicit-def: $vgpr0_vgpr1
                                        ; implicit-def: $vgpr3
.LBB6_19555:                            ;   in Loop: Header=BB6_16763 Depth=2
	s_and_not1_saveexec_b32 s10, s28
	s_cbranch_execz .LBB6_19561
; %bb.19556:                            ;   in Loop: Header=BB6_16763 Depth=2
	s_mov_b32 s28, exec_lo
                                        ; implicit-def: $vgpr66
	v_cmpx_ne_u64_e32 0, v[0:1]
	s_xor_b32 s28, exec_lo, s28
; %bb.19557:                            ;   in Loop: Header=BB6_16763 Depth=2
	v_or_b32_e32 v66, 0x7f, v3
                                        ; implicit-def: $vgpr2
; %bb.19558:                            ;   in Loop: Header=BB6_16763 Depth=2
	s_and_not1_saveexec_b32 s28, s28
; %bb.19559:                            ;   in Loop: Header=BB6_16763 Depth=2
	v_cmp_lt_i32_e32 vcc_lo, -1, v2
	v_cndmask_b32_e32 v66, 0xfc, v30, vcc_lo
; %bb.19560:                            ;   in Loop: Header=BB6_16763 Depth=2
	s_or_b32 exec_lo, exec_lo, s28
.LBB6_19561:                            ;   in Loop: Header=BB6_16763 Depth=2
	s_delay_alu instid0(SALU_CYCLE_1) | instskip(SKIP_3) | instid1(VALU_DEP_2)
	s_or_b32 exec_lo, exec_lo, s10
	v_lshrrev_b16 v0, 8, v54
	v_mov_b32_e32 v1, 0
	s_mov_b32 s28, exec_lo
	v_cmpx_ne_u16_e32 0, v0
	s_cbranch_execz .LBB6_19571
; %bb.19562:                            ;   in Loop: Header=BB6_16763 Depth=2
	v_bfrev_b32_e32 v1, 1
	s_mov_b32 s29, exec_lo
	v_cmpx_ne_u16_e32 0x80, v0
	s_cbranch_execz .LBB6_19570
; %bb.19563:                            ;   in Loop: Header=BB6_16763 Depth=2
	v_and_b32_e32 v3, 0xffff, v0
	s_delay_alu instid0(VALU_DEP_1) | instskip(SKIP_1) | instid1(VALU_DEP_2)
	v_and_b32_e32 v1, 0x7c, v3
	v_and_b32_e32 v2, 3, v3
	v_cmp_ne_u32_e32 vcc_lo, 0x7c, v1
                                        ; implicit-def: $vgpr1
	s_and_saveexec_b32 s10, vcc_lo
	s_delay_alu instid0(SALU_CYCLE_1)
	s_xor_b32 s10, exec_lo, s10
	s_cbranch_execz .LBB6_19567
; %bb.19564:                            ;   in Loop: Header=BB6_16763 Depth=2
	v_bfe_u32 v1, v3, 2, 5
	s_mov_b32 s40, exec_lo
	s_delay_alu instid0(VALU_DEP_1)
	v_cmpx_eq_u32_e32 0, v1
; %bb.19565:                            ;   in Loop: Header=BB6_16763 Depth=2
	v_clz_i32_u32_e32 v1, v2
	s_delay_alu instid0(VALU_DEP_1) | instskip(SKIP_1) | instid1(VALU_DEP_2)
	v_min_u32_e32 v2, 32, v1
	v_mov_b32_e32 v1, v55
	v_subrev_nc_u32_e32 v3, 29, v2
	s_delay_alu instid0(VALU_DEP_1) | instskip(NEXT) | instid1(VALU_DEP_1)
	v_lshlrev_b64_e32 v[0:1], v3, v[0:1]
	v_dual_sub_nc_u32 v1, 30, v2 :: v_dual_bitop2_b32 v2, 3, v0 bitop3:0x40
; %bb.19566:                            ;   in Loop: Header=BB6_16763 Depth=2
	s_or_b32 exec_lo, exec_lo, s40
	v_lshlrev_b32_e32 v0, 16, v54
	s_delay_alu instid0(VALU_DEP_1) | instskip(NEXT) | instid1(VALU_DEP_1)
	v_and_b32_e32 v0, 0x80000000, v0
	v_lshl_add_u32 v0, v1, 23, v0
	s_delay_alu instid0(VALU_DEP_1) | instskip(NEXT) | instid1(VALU_DEP_1)
	v_lshl_or_b32 v0, v2, 21, v0
                                        ; implicit-def: $vgpr2
	v_add_nc_u32_e32 v1, 0x38000000, v0
.LBB6_19567:                            ;   in Loop: Header=BB6_16763 Depth=2
	s_and_not1_saveexec_b32 s40, s10
; %bb.19568:                            ;   in Loop: Header=BB6_16763 Depth=2
	v_cmp_lt_i16_e64 s10, -1, v54
	v_cmp_eq_u32_e32 vcc_lo, 0, v2
	s_delay_alu instid0(VALU_DEP_2) | instskip(NEXT) | instid1(VALU_DEP_1)
	v_cndmask_b32_e64 v0, 0xff800000, v29, s10
	v_cndmask_b32_e32 v1, 0x7f800001, v0, vcc_lo
; %bb.19569:                            ;   in Loop: Header=BB6_16763 Depth=2
	s_or_b32 exec_lo, exec_lo, s40
.LBB6_19570:                            ;   in Loop: Header=BB6_16763 Depth=2
	s_delay_alu instid0(SALU_CYCLE_1)
	s_or_b32 exec_lo, exec_lo, s29
.LBB6_19571:                            ;   in Loop: Header=BB6_16763 Depth=2
	s_delay_alu instid0(SALU_CYCLE_1) | instskip(NEXT) | instid1(VALU_DEP_1)
	s_or_b32 exec_lo, exec_lo, s28
	v_dual_mul_f32 v0, s27, v1 :: v_dual_mov_b32 v3, v55
                                        ; implicit-def: $vgpr67
	s_mov_b32 s10, exec_lo
	s_delay_alu instid0(VALU_DEP_1) | instskip(SKIP_2) | instid1(VALU_DEP_3)
	v_and_b32_e32 v2, 0x7f800000, v0
	v_and_b32_e32 v54, 0x7fffff, v0
	v_lshrrev_b32_e32 v1, 24, v0
	v_cmpx_ne_u64_e32 0x7f800000, v[2:3]
	s_xor_b32 s28, exec_lo, s10
	s_cbranch_execz .LBB6_19585
; %bb.19572:                            ;   in Loop: Header=BB6_16763 Depth=2
	v_and_b32_e32 v2, 0x7fffffff, v0
	v_mov_b32_e32 v3, v55
	v_and_b32_e32 v5, 0x80, v1
                                        ; implicit-def: $vgpr67
	s_mov_b32 s10, exec_lo
	s_delay_alu instid0(VALU_DEP_2)
	v_cmpx_gt_u64_e32 0x47600001, v[2:3]
	s_xor_b32 s29, exec_lo, s10
	s_cbranch_execz .LBB6_19582
; %bb.19573:                            ;   in Loop: Header=BB6_16763 Depth=2
	v_mov_b32_e32 v67, 0
	s_mov_b32 s40, exec_lo
	v_cmpx_ne_u32_e32 0, v0
	s_cbranch_execz .LBB6_19581
; %bb.19574:                            ;   in Loop: Header=BB6_16763 Depth=2
	v_bfe_u32 v6, v0, 23, 8
	v_or_b32_e32 v1, 0x800000, v54
	s_delay_alu instid0(VALU_DEP_2) | instskip(SKIP_2) | instid1(VALU_DEP_2)
	v_cmp_gt_u32_e64 s10, 0x72, v6
	v_sub_nc_u32_e32 v0, 0x71, v6
	v_cmp_eq_u32_e32 vcc_lo, 0, v6
	v_cndmask_b32_e64 v0, 0, v0, s10
	s_delay_alu instid0(VALU_DEP_1) | instskip(SKIP_1) | instid1(VALU_DEP_2)
	v_cndmask_b32_e64 v7, v0, 0x70, vcc_lo
	v_dual_cndmask_b32 v0, v1, v54 :: v_dual_mov_b32 v1, v55
	v_dual_add_nc_u32 v2, 21, v7 :: v_dual_add_nc_u32 v8, 20, v7
	s_delay_alu instid0(VALU_DEP_1) | instskip(NEXT) | instid1(VALU_DEP_2)
	v_lshlrev_b64_e64 v[2:3], v2, -1
	v_lshlrev_b64_e64 v[8:9], v8, 1
	s_delay_alu instid0(VALU_DEP_2) | instskip(SKIP_1) | instid1(VALU_DEP_4)
	v_bfi_b32 v2, v2, 0, v0
	v_lshrrev_b64 v[0:1], v7, v[0:1]
	v_bfi_b32 v3, v3, 0, 0
	s_delay_alu instid0(VALU_DEP_1) | instskip(NEXT) | instid1(VALU_DEP_3)
	v_cmp_eq_u64_e64 s10, v[2:3], v[8:9]
	v_mov_b64_e32 v[2:3], v[0:1]
	s_and_saveexec_b32 s41, s10
; %bb.19575:                            ;   in Loop: Header=BB6_16763 Depth=2
	v_bfe_u32 v2, v0, 21, 1
	v_mov_b32_e32 v3, v55
	s_delay_alu instid0(VALU_DEP_1) | instskip(NEXT) | instid1(VALU_DEP_1)
	v_add_nc_u64_e32 v[2:3], v[0:1], v[2:3]
	v_add_nc_u64_e32 v[2:3], -1, v[2:3]
; %bb.19576:                            ;   in Loop: Header=BB6_16763 Depth=2
	s_or_b32 exec_lo, exec_lo, s41
	v_add_nc_u32_e32 v1, 0xffffff81, v6
	s_delay_alu instid0(VALU_DEP_2) | instskip(SKIP_2) | instid1(VALU_DEP_3)
	v_and_b32_e32 v2, 0x1fffff, v2
	v_lshrrev_b32_e32 v3, 23, v0
	s_mov_b32 s10, exec_lo
	v_cndmask_b32_e64 v1, v1, 0xffffff82, vcc_lo
	s_delay_alu instid0(VALU_DEP_3) | instskip(NEXT) | instid1(VALU_DEP_2)
	v_add_nc_u32_e32 v54, v2, v0
                                        ; implicit-def: $vgpr2
	v_add3_u32 v6, v7, v1, v3
                                        ; implicit-def: $vgpr0_vgpr1
	s_delay_alu instid0(VALU_DEP_1) | instskip(NEXT) | instid1(VALU_DEP_1)
	v_add_nc_u32_e32 v3, 14, v6
	v_cmpx_ne_u32_e32 0, v3
	s_xor_b32 s10, exec_lo, s10
; %bb.19577:                            ;   in Loop: Header=BB6_16763 Depth=2
	v_cmp_lt_u64_e32 vcc_lo, 0xffffff, v[54:55]
	v_add_nc_u32_e32 v0, 15, v6
	s_delay_alu instid0(VALU_DEP_1) | instskip(SKIP_1) | instid1(VALU_DEP_1)
	v_cndmask_b32_e32 v2, v3, v0, vcc_lo
	v_cndmask_b32_e64 v0, 0, 1, vcc_lo
	v_lshrrev_b64 v[0:1], v0, v[54:55]
; %bb.19578:                            ;   in Loop: Header=BB6_16763 Depth=2
	s_and_not1_saveexec_b32 s10, s10
; %bb.19579:                            ;   in Loop: Header=BB6_16763 Depth=2
	v_mov_b64_e32 v[0:1], v[54:55]
	v_bfe_u32 v2, v54, 23, 1
; %bb.19580:                            ;   in Loop: Header=BB6_16763 Depth=2
	s_or_b32 exec_lo, exec_lo, s10
	s_delay_alu instid0(VALU_DEP_2) | instskip(NEXT) | instid1(VALU_DEP_2)
	v_lshrrev_b64 v[0:1], 21, v[0:1]
	v_cmp_gt_i32_e32 vcc_lo, 32, v2
	v_min_i32_e32 v3, 31, v2
	v_cmp_eq_u32_e64 s10, 0, v2
	s_delay_alu instid0(VALU_DEP_2) | instskip(SKIP_1) | instid1(VALU_DEP_2)
	v_dual_cndmask_b32 v1, 0, v1, vcc_lo :: v_dual_lshlrev_b32 v3, 2, v3
	v_cndmask_b32_e32 v0, 3, v0, vcc_lo
	v_and_b32_e32 v3, 0xfc, v3
	s_delay_alu instid0(VALU_DEP_2) | instskip(NEXT) | instid1(VALU_DEP_2)
	v_cmp_eq_u64_e32 vcc_lo, 0, v[0:1]
	v_and_or_b32 v0, v0, 3, v3
	s_and_b32 s10, s10, vcc_lo
	s_delay_alu instid0(VALU_DEP_1) | instid1(SALU_CYCLE_1)
	v_cndmask_b32_e64 v0, v0, 0, s10
	s_delay_alu instid0(VALU_DEP_1)
	v_or_b32_e32 v67, v0, v5
.LBB6_19581:                            ;   in Loop: Header=BB6_16763 Depth=2
	s_or_b32 exec_lo, exec_lo, s40
                                        ; implicit-def: $vgpr5
.LBB6_19582:                            ;   in Loop: Header=BB6_16763 Depth=2
	s_and_not1_saveexec_b32 s10, s29
; %bb.19583:                            ;   in Loop: Header=BB6_16763 Depth=2
	v_or_b32_e32 v67, 0x7b, v5
; %bb.19584:                            ;   in Loop: Header=BB6_16763 Depth=2
	s_or_b32 exec_lo, exec_lo, s10
                                        ; implicit-def: $vgpr0
                                        ; implicit-def: $vgpr1
.LBB6_19585:                            ;   in Loop: Header=BB6_16763 Depth=2
	s_and_not1_saveexec_b32 s10, s28
	s_cbranch_execz .LBB6_19591
; %bb.19586:                            ;   in Loop: Header=BB6_16763 Depth=2
	s_mov_b32 s28, exec_lo
                                        ; implicit-def: $vgpr67
	v_cmpx_ne_u64_e32 0, v[54:55]
	s_xor_b32 s28, exec_lo, s28
; %bb.19587:                            ;   in Loop: Header=BB6_16763 Depth=2
	v_or_b32_e32 v67, 0x7f, v1
                                        ; implicit-def: $vgpr0
; %bb.19588:                            ;   in Loop: Header=BB6_16763 Depth=2
	s_and_not1_saveexec_b32 s28, s28
; %bb.19589:                            ;   in Loop: Header=BB6_16763 Depth=2
	v_cmp_lt_i32_e32 vcc_lo, -1, v0
	v_cndmask_b32_e32 v67, 0xfc, v30, vcc_lo
; %bb.19590:                            ;   in Loop: Header=BB6_16763 Depth=2
	s_or_b32 exec_lo, exec_lo, s28
.LBB6_19591:                            ;   in Loop: Header=BB6_16763 Depth=2
	s_delay_alu instid0(SALU_CYCLE_1) | instskip(SKIP_2) | instid1(VALU_DEP_1)
	s_or_b32 exec_lo, exec_lo, s10
	v_dual_mov_b32 v1, 0 :: v_dual_lshrrev_b32 v0, 16, v13
	s_mov_b32 s28, exec_lo
	v_and_b32_e32 v2, 0xff, v0
	s_delay_alu instid0(VALU_DEP_1)
	v_cmpx_ne_u16_e32 0, v2
	s_cbranch_execz .LBB6_19601
; %bb.19592:                            ;   in Loop: Header=BB6_16763 Depth=2
	v_bfrev_b32_e32 v1, 1
	s_mov_b32 s29, exec_lo
	v_cmpx_ne_u16_e32 0x80, v2
	s_cbranch_execz .LBB6_19600
; %bb.19593:                            ;   in Loop: Header=BB6_16763 Depth=2
	v_and_b32_e32 v1, 0x7c0000, v13
	v_bfe_u32 v2, v13, 16, 2
	s_delay_alu instid0(VALU_DEP_2) | instskip(SKIP_1) | instid1(SALU_CYCLE_1)
	v_cmp_ne_u32_e32 vcc_lo, 0x7c0000, v1
                                        ; implicit-def: $vgpr1
	s_and_saveexec_b32 s10, vcc_lo
	s_xor_b32 s10, exec_lo, s10
	s_cbranch_execz .LBB6_19597
; %bb.19594:                            ;   in Loop: Header=BB6_16763 Depth=2
	v_bfe_u32 v1, v13, 18, 5
	s_mov_b32 s40, exec_lo
	s_delay_alu instid0(VALU_DEP_1)
	v_cmpx_eq_u32_e32 0, v1
; %bb.19595:                            ;   in Loop: Header=BB6_16763 Depth=2
	v_clz_i32_u32_e32 v1, v2
	s_delay_alu instid0(VALU_DEP_1) | instskip(NEXT) | instid1(VALU_DEP_1)
	v_min_u32_e32 v1, 32, v1
	v_subrev_nc_u32_e32 v2, 29, v1
	s_delay_alu instid0(VALU_DEP_1) | instskip(NEXT) | instid1(VALU_DEP_1)
	v_lshlrev_b64_e32 v[2:3], v2, v[0:1]
	v_dual_sub_nc_u32 v1, 30, v1 :: v_dual_bitop2_b32 v2, 3, v2 bitop3:0x40
; %bb.19596:                            ;   in Loop: Header=BB6_16763 Depth=2
	s_or_b32 exec_lo, exec_lo, s40
	v_lshlrev_b32_e32 v0, 24, v0
	s_delay_alu instid0(VALU_DEP_1) | instskip(NEXT) | instid1(VALU_DEP_1)
	v_and_b32_e32 v0, 0x80000000, v0
	v_lshl_add_u32 v0, v1, 23, v0
	s_delay_alu instid0(VALU_DEP_1) | instskip(NEXT) | instid1(VALU_DEP_1)
	v_lshl_or_b32 v0, v2, 21, v0
                                        ; implicit-def: $vgpr2
	v_add_nc_u32_e32 v1, 0x38000000, v0
                                        ; implicit-def: $vgpr0
.LBB6_19597:                            ;   in Loop: Header=BB6_16763 Depth=2
	s_and_not1_saveexec_b32 s40, s10
; %bb.19598:                            ;   in Loop: Header=BB6_16763 Depth=2
	v_bfe_i32 v0, v0, 0, 8
	v_cmp_eq_u32_e32 vcc_lo, 0, v2
	s_delay_alu instid0(VALU_DEP_2) | instskip(NEXT) | instid1(VALU_DEP_1)
	v_cmp_lt_i16_e64 s10, -1, v0
	v_cndmask_b32_e64 v0, 0xff800000, v29, s10
	s_delay_alu instid0(VALU_DEP_1)
	v_cndmask_b32_e32 v1, 0x7f800001, v0, vcc_lo
; %bb.19599:                            ;   in Loop: Header=BB6_16763 Depth=2
	s_or_b32 exec_lo, exec_lo, s40
.LBB6_19600:                            ;   in Loop: Header=BB6_16763 Depth=2
	s_delay_alu instid0(SALU_CYCLE_1)
	s_or_b32 exec_lo, exec_lo, s29
.LBB6_19601:                            ;   in Loop: Header=BB6_16763 Depth=2
	s_delay_alu instid0(SALU_CYCLE_1) | instskip(NEXT) | instid1(VALU_DEP_1)
	s_or_b32 exec_lo, exec_lo, s28
	v_dual_mul_f32 v0, s27, v1 :: v_dual_mov_b32 v3, v55
                                        ; implicit-def: $vgpr82
	s_mov_b32 s10, exec_lo
	s_delay_alu instid0(VALU_DEP_1) | instskip(SKIP_2) | instid1(VALU_DEP_3)
	v_and_b32_e32 v2, 0x7f800000, v0
	v_and_b32_e32 v54, 0x7fffff, v0
	v_lshrrev_b32_e32 v1, 24, v0
	v_cmpx_ne_u64_e32 0x7f800000, v[2:3]
	s_xor_b32 s28, exec_lo, s10
	s_cbranch_execz .LBB6_19615
; %bb.19602:                            ;   in Loop: Header=BB6_16763 Depth=2
	v_and_b32_e32 v2, 0x7fffffff, v0
	v_mov_b32_e32 v3, v55
	v_and_b32_e32 v5, 0x80, v1
                                        ; implicit-def: $vgpr82
	s_mov_b32 s10, exec_lo
	s_delay_alu instid0(VALU_DEP_2)
	v_cmpx_gt_u64_e32 0x47600001, v[2:3]
	s_xor_b32 s29, exec_lo, s10
	s_cbranch_execz .LBB6_19612
; %bb.19603:                            ;   in Loop: Header=BB6_16763 Depth=2
	v_mov_b32_e32 v82, 0
	s_mov_b32 s40, exec_lo
	v_cmpx_ne_u32_e32 0, v0
	s_cbranch_execz .LBB6_19611
; %bb.19604:                            ;   in Loop: Header=BB6_16763 Depth=2
	v_bfe_u32 v6, v0, 23, 8
	v_or_b32_e32 v1, 0x800000, v54
	s_delay_alu instid0(VALU_DEP_2) | instskip(SKIP_2) | instid1(VALU_DEP_2)
	v_cmp_gt_u32_e64 s10, 0x72, v6
	v_sub_nc_u32_e32 v0, 0x71, v6
	v_cmp_eq_u32_e32 vcc_lo, 0, v6
	v_cndmask_b32_e64 v0, 0, v0, s10
	s_delay_alu instid0(VALU_DEP_1) | instskip(SKIP_1) | instid1(VALU_DEP_2)
	v_cndmask_b32_e64 v7, v0, 0x70, vcc_lo
	v_dual_cndmask_b32 v0, v1, v54 :: v_dual_mov_b32 v1, v55
	v_dual_add_nc_u32 v2, 21, v7 :: v_dual_add_nc_u32 v8, 20, v7
	s_delay_alu instid0(VALU_DEP_1) | instskip(NEXT) | instid1(VALU_DEP_2)
	v_lshlrev_b64_e64 v[2:3], v2, -1
	v_lshlrev_b64_e64 v[8:9], v8, 1
	s_delay_alu instid0(VALU_DEP_2) | instskip(SKIP_1) | instid1(VALU_DEP_4)
	v_bfi_b32 v2, v2, 0, v0
	v_lshrrev_b64 v[0:1], v7, v[0:1]
	v_bfi_b32 v3, v3, 0, 0
	s_delay_alu instid0(VALU_DEP_1) | instskip(NEXT) | instid1(VALU_DEP_3)
	v_cmp_eq_u64_e64 s10, v[2:3], v[8:9]
	v_mov_b64_e32 v[2:3], v[0:1]
	s_and_saveexec_b32 s41, s10
; %bb.19605:                            ;   in Loop: Header=BB6_16763 Depth=2
	v_bfe_u32 v2, v0, 21, 1
	v_mov_b32_e32 v3, v55
	s_delay_alu instid0(VALU_DEP_1) | instskip(NEXT) | instid1(VALU_DEP_1)
	v_add_nc_u64_e32 v[2:3], v[0:1], v[2:3]
	v_add_nc_u64_e32 v[2:3], -1, v[2:3]
; %bb.19606:                            ;   in Loop: Header=BB6_16763 Depth=2
	s_or_b32 exec_lo, exec_lo, s41
	v_add_nc_u32_e32 v1, 0xffffff81, v6
	s_delay_alu instid0(VALU_DEP_2) | instskip(SKIP_2) | instid1(VALU_DEP_3)
	v_and_b32_e32 v2, 0x1fffff, v2
	v_lshrrev_b32_e32 v3, 23, v0
	s_mov_b32 s10, exec_lo
	v_cndmask_b32_e64 v1, v1, 0xffffff82, vcc_lo
	s_delay_alu instid0(VALU_DEP_3) | instskip(NEXT) | instid1(VALU_DEP_2)
	v_add_nc_u32_e32 v54, v2, v0
                                        ; implicit-def: $vgpr2
	v_add3_u32 v6, v7, v1, v3
                                        ; implicit-def: $vgpr0_vgpr1
	s_delay_alu instid0(VALU_DEP_1) | instskip(NEXT) | instid1(VALU_DEP_1)
	v_add_nc_u32_e32 v3, 14, v6
	v_cmpx_ne_u32_e32 0, v3
	s_xor_b32 s10, exec_lo, s10
; %bb.19607:                            ;   in Loop: Header=BB6_16763 Depth=2
	v_cmp_lt_u64_e32 vcc_lo, 0xffffff, v[54:55]
	v_add_nc_u32_e32 v0, 15, v6
	s_delay_alu instid0(VALU_DEP_1) | instskip(SKIP_1) | instid1(VALU_DEP_1)
	v_cndmask_b32_e32 v2, v3, v0, vcc_lo
	v_cndmask_b32_e64 v0, 0, 1, vcc_lo
	v_lshrrev_b64 v[0:1], v0, v[54:55]
; %bb.19608:                            ;   in Loop: Header=BB6_16763 Depth=2
	s_and_not1_saveexec_b32 s10, s10
; %bb.19609:                            ;   in Loop: Header=BB6_16763 Depth=2
	v_mov_b64_e32 v[0:1], v[54:55]
	v_bfe_u32 v2, v54, 23, 1
; %bb.19610:                            ;   in Loop: Header=BB6_16763 Depth=2
	s_or_b32 exec_lo, exec_lo, s10
	s_delay_alu instid0(VALU_DEP_2) | instskip(NEXT) | instid1(VALU_DEP_2)
	v_lshrrev_b64 v[0:1], 21, v[0:1]
	v_cmp_gt_i32_e32 vcc_lo, 32, v2
	v_min_i32_e32 v3, 31, v2
	v_cmp_eq_u32_e64 s10, 0, v2
	s_delay_alu instid0(VALU_DEP_2) | instskip(SKIP_1) | instid1(VALU_DEP_2)
	v_dual_cndmask_b32 v1, 0, v1, vcc_lo :: v_dual_lshlrev_b32 v3, 2, v3
	v_cndmask_b32_e32 v0, 3, v0, vcc_lo
	v_and_b32_e32 v3, 0xfc, v3
	s_delay_alu instid0(VALU_DEP_2) | instskip(NEXT) | instid1(VALU_DEP_2)
	v_cmp_eq_u64_e32 vcc_lo, 0, v[0:1]
	v_and_or_b32 v0, v0, 3, v3
	s_and_b32 s10, s10, vcc_lo
	s_delay_alu instid0(VALU_DEP_1) | instid1(SALU_CYCLE_1)
	v_cndmask_b32_e64 v0, v0, 0, s10
	s_delay_alu instid0(VALU_DEP_1)
	v_or_b32_e32 v82, v0, v5
.LBB6_19611:                            ;   in Loop: Header=BB6_16763 Depth=2
	s_or_b32 exec_lo, exec_lo, s40
                                        ; implicit-def: $vgpr5
.LBB6_19612:                            ;   in Loop: Header=BB6_16763 Depth=2
	s_and_not1_saveexec_b32 s10, s29
; %bb.19613:                            ;   in Loop: Header=BB6_16763 Depth=2
	v_or_b32_e32 v82, 0x7b, v5
; %bb.19614:                            ;   in Loop: Header=BB6_16763 Depth=2
	s_or_b32 exec_lo, exec_lo, s10
                                        ; implicit-def: $vgpr0
                                        ; implicit-def: $vgpr1
.LBB6_19615:                            ;   in Loop: Header=BB6_16763 Depth=2
	s_and_not1_saveexec_b32 s10, s28
	s_cbranch_execz .LBB6_19621
; %bb.19616:                            ;   in Loop: Header=BB6_16763 Depth=2
	s_mov_b32 s28, exec_lo
                                        ; implicit-def: $vgpr82
	v_cmpx_ne_u64_e32 0, v[54:55]
	s_xor_b32 s28, exec_lo, s28
; %bb.19617:                            ;   in Loop: Header=BB6_16763 Depth=2
	v_or_b32_e32 v82, 0x7f, v1
                                        ; implicit-def: $vgpr0
; %bb.19618:                            ;   in Loop: Header=BB6_16763 Depth=2
	s_and_not1_saveexec_b32 s28, s28
; %bb.19619:                            ;   in Loop: Header=BB6_16763 Depth=2
	v_cmp_lt_i32_e32 vcc_lo, -1, v0
	v_cndmask_b32_e32 v82, 0xfc, v30, vcc_lo
; %bb.19620:                            ;   in Loop: Header=BB6_16763 Depth=2
	s_or_b32 exec_lo, exec_lo, s28
.LBB6_19621:                            ;   in Loop: Header=BB6_16763 Depth=2
	s_delay_alu instid0(SALU_CYCLE_1)
	s_or_b32 exec_lo, exec_lo, s10
	v_mov_b32_e32 v1, 0
	s_mov_b32 s28, exec_lo
	v_cmpx_lt_u64_e64 s[12:13], v[12:13]
	s_cbranch_execz .LBB6_19631
; %bb.19622:                            ;   in Loop: Header=BB6_16763 Depth=2
	v_lshrrev_b32_e32 v0, 24, v13
	v_bfrev_b32_e32 v1, 1
	s_mov_b32 s29, exec_lo
	s_delay_alu instid0(VALU_DEP_2)
	v_cmpx_ne_u32_e32 0x80, v0
	s_cbranch_execz .LBB6_19630
; %bb.19623:                            ;   in Loop: Header=BB6_16763 Depth=2
	v_and_b32_e32 v1, 0x7c000000, v13
	v_bfe_u32 v2, v13, 24, 2
	s_delay_alu instid0(VALU_DEP_2) | instskip(SKIP_1) | instid1(SALU_CYCLE_1)
	v_cmp_ne_u32_e32 vcc_lo, 0x7c000000, v1
                                        ; implicit-def: $vgpr1
	s_and_saveexec_b32 s10, vcc_lo
	s_xor_b32 s10, exec_lo, s10
	s_cbranch_execz .LBB6_19627
; %bb.19624:                            ;   in Loop: Header=BB6_16763 Depth=2
	v_bfe_u32 v1, v13, 26, 5
	s_mov_b32 s40, exec_lo
	s_delay_alu instid0(VALU_DEP_1)
	v_cmpx_eq_u32_e32 0, v1
; %bb.19625:                            ;   in Loop: Header=BB6_16763 Depth=2
	v_clz_i32_u32_e32 v1, v2
	s_delay_alu instid0(VALU_DEP_1) | instskip(NEXT) | instid1(VALU_DEP_1)
	v_min_u32_e32 v2, 32, v1
	v_subrev_nc_u32_e32 v1, 29, v2
	s_delay_alu instid0(VALU_DEP_1) | instskip(NEXT) | instid1(VALU_DEP_1)
	v_lshlrev_b64_e32 v[0:1], v1, v[0:1]
	v_dual_sub_nc_u32 v1, 30, v2 :: v_dual_bitop2_b32 v2, 3, v0 bitop3:0x40
; %bb.19626:                            ;   in Loop: Header=BB6_16763 Depth=2
	s_or_b32 exec_lo, exec_lo, s40
	v_and_b32_e32 v0, 0x80000000, v13
                                        ; implicit-def: $vgpr12_vgpr13
	s_delay_alu instid0(VALU_DEP_1) | instskip(NEXT) | instid1(VALU_DEP_1)
	v_lshl_add_u32 v0, v1, 23, v0
	v_lshl_or_b32 v0, v2, 21, v0
                                        ; implicit-def: $vgpr2
	s_delay_alu instid0(VALU_DEP_1)
	v_add_nc_u32_e32 v1, 0x38000000, v0
.LBB6_19627:                            ;   in Loop: Header=BB6_16763 Depth=2
	s_and_not1_saveexec_b32 s40, s10
; %bb.19628:                            ;   in Loop: Header=BB6_16763 Depth=2
	v_cmp_lt_i64_e64 s10, -1, v[12:13]
	v_cmp_eq_u32_e32 vcc_lo, 0, v2
	s_delay_alu instid0(VALU_DEP_2) | instskip(NEXT) | instid1(VALU_DEP_1)
	v_cndmask_b32_e64 v0, 0xff800000, v29, s10
	v_cndmask_b32_e32 v1, 0x7f800001, v0, vcc_lo
; %bb.19629:                            ;   in Loop: Header=BB6_16763 Depth=2
	s_or_b32 exec_lo, exec_lo, s40
.LBB6_19630:                            ;   in Loop: Header=BB6_16763 Depth=2
	s_delay_alu instid0(SALU_CYCLE_1)
	s_or_b32 exec_lo, exec_lo, s29
.LBB6_19631:                            ;   in Loop: Header=BB6_16763 Depth=2
	s_delay_alu instid0(SALU_CYCLE_1) | instskip(NEXT) | instid1(VALU_DEP_1)
	s_or_b32 exec_lo, exec_lo, s28
	v_dual_mul_f32 v0, s27, v1 :: v_dual_mov_b32 v3, v55
                                        ; implicit-def: $vgpr83
	s_mov_b32 s10, exec_lo
	s_delay_alu instid0(VALU_DEP_1) | instskip(SKIP_2) | instid1(VALU_DEP_3)
	v_and_b32_e32 v2, 0x7f800000, v0
	v_and_b32_e32 v54, 0x7fffff, v0
	v_lshrrev_b32_e32 v1, 24, v0
	v_cmpx_ne_u64_e32 0x7f800000, v[2:3]
	s_xor_b32 s28, exec_lo, s10
	s_cbranch_execz .LBB6_19645
; %bb.19632:                            ;   in Loop: Header=BB6_16763 Depth=2
	v_and_b32_e32 v2, 0x7fffffff, v0
	v_mov_b32_e32 v3, v55
	v_and_b32_e32 v5, 0x80, v1
                                        ; implicit-def: $vgpr83
	s_mov_b32 s10, exec_lo
	s_delay_alu instid0(VALU_DEP_2)
	v_cmpx_gt_u64_e32 0x47600001, v[2:3]
	s_xor_b32 s29, exec_lo, s10
	s_cbranch_execz .LBB6_19642
; %bb.19633:                            ;   in Loop: Header=BB6_16763 Depth=2
	v_mov_b32_e32 v83, 0
	s_mov_b32 s40, exec_lo
	v_cmpx_ne_u32_e32 0, v0
	s_cbranch_execz .LBB6_19641
; %bb.19634:                            ;   in Loop: Header=BB6_16763 Depth=2
	v_bfe_u32 v6, v0, 23, 8
	v_or_b32_e32 v1, 0x800000, v54
	s_delay_alu instid0(VALU_DEP_2) | instskip(SKIP_2) | instid1(VALU_DEP_2)
	v_cmp_gt_u32_e64 s10, 0x72, v6
	v_sub_nc_u32_e32 v0, 0x71, v6
	v_cmp_eq_u32_e32 vcc_lo, 0, v6
	v_cndmask_b32_e64 v0, 0, v0, s10
	s_delay_alu instid0(VALU_DEP_1) | instskip(SKIP_1) | instid1(VALU_DEP_2)
	v_cndmask_b32_e64 v7, v0, 0x70, vcc_lo
	v_dual_cndmask_b32 v0, v1, v54 :: v_dual_mov_b32 v1, v55
	v_dual_add_nc_u32 v2, 21, v7 :: v_dual_add_nc_u32 v8, 20, v7
	s_delay_alu instid0(VALU_DEP_1) | instskip(NEXT) | instid1(VALU_DEP_2)
	v_lshlrev_b64_e64 v[2:3], v2, -1
	v_lshlrev_b64_e64 v[8:9], v8, 1
	s_delay_alu instid0(VALU_DEP_2) | instskip(SKIP_1) | instid1(VALU_DEP_4)
	v_bfi_b32 v2, v2, 0, v0
	v_lshrrev_b64 v[0:1], v7, v[0:1]
	v_bfi_b32 v3, v3, 0, 0
	s_delay_alu instid0(VALU_DEP_1) | instskip(NEXT) | instid1(VALU_DEP_3)
	v_cmp_eq_u64_e64 s10, v[2:3], v[8:9]
	v_mov_b64_e32 v[2:3], v[0:1]
	s_and_saveexec_b32 s41, s10
; %bb.19635:                            ;   in Loop: Header=BB6_16763 Depth=2
	v_bfe_u32 v2, v0, 21, 1
	v_mov_b32_e32 v3, v55
	s_delay_alu instid0(VALU_DEP_1) | instskip(NEXT) | instid1(VALU_DEP_1)
	v_add_nc_u64_e32 v[2:3], v[0:1], v[2:3]
	v_add_nc_u64_e32 v[2:3], -1, v[2:3]
; %bb.19636:                            ;   in Loop: Header=BB6_16763 Depth=2
	s_or_b32 exec_lo, exec_lo, s41
	v_add_nc_u32_e32 v1, 0xffffff81, v6
	s_delay_alu instid0(VALU_DEP_2) | instskip(SKIP_2) | instid1(VALU_DEP_3)
	v_and_b32_e32 v2, 0x1fffff, v2
	v_lshrrev_b32_e32 v3, 23, v0
	s_mov_b32 s10, exec_lo
	v_cndmask_b32_e64 v1, v1, 0xffffff82, vcc_lo
	s_delay_alu instid0(VALU_DEP_3) | instskip(NEXT) | instid1(VALU_DEP_2)
	v_add_nc_u32_e32 v54, v2, v0
                                        ; implicit-def: $vgpr2
	v_add3_u32 v6, v7, v1, v3
                                        ; implicit-def: $vgpr0_vgpr1
	s_delay_alu instid0(VALU_DEP_1) | instskip(NEXT) | instid1(VALU_DEP_1)
	v_add_nc_u32_e32 v3, 14, v6
	v_cmpx_ne_u32_e32 0, v3
	s_xor_b32 s10, exec_lo, s10
; %bb.19637:                            ;   in Loop: Header=BB6_16763 Depth=2
	v_cmp_lt_u64_e32 vcc_lo, 0xffffff, v[54:55]
	v_add_nc_u32_e32 v0, 15, v6
	s_delay_alu instid0(VALU_DEP_1) | instskip(SKIP_1) | instid1(VALU_DEP_1)
	v_cndmask_b32_e32 v2, v3, v0, vcc_lo
	v_cndmask_b32_e64 v0, 0, 1, vcc_lo
	v_lshrrev_b64 v[0:1], v0, v[54:55]
; %bb.19638:                            ;   in Loop: Header=BB6_16763 Depth=2
	s_and_not1_saveexec_b32 s10, s10
; %bb.19639:                            ;   in Loop: Header=BB6_16763 Depth=2
	v_mov_b64_e32 v[0:1], v[54:55]
	v_bfe_u32 v2, v54, 23, 1
; %bb.19640:                            ;   in Loop: Header=BB6_16763 Depth=2
	s_or_b32 exec_lo, exec_lo, s10
	s_delay_alu instid0(VALU_DEP_2) | instskip(NEXT) | instid1(VALU_DEP_2)
	v_lshrrev_b64 v[0:1], 21, v[0:1]
	v_cmp_gt_i32_e32 vcc_lo, 32, v2
	v_min_i32_e32 v3, 31, v2
	v_cmp_eq_u32_e64 s10, 0, v2
	s_delay_alu instid0(VALU_DEP_2) | instskip(SKIP_1) | instid1(VALU_DEP_2)
	v_dual_cndmask_b32 v1, 0, v1, vcc_lo :: v_dual_lshlrev_b32 v3, 2, v3
	v_cndmask_b32_e32 v0, 3, v0, vcc_lo
	v_and_b32_e32 v3, 0xfc, v3
	s_delay_alu instid0(VALU_DEP_2) | instskip(NEXT) | instid1(VALU_DEP_2)
	v_cmp_eq_u64_e32 vcc_lo, 0, v[0:1]
	v_and_or_b32 v0, v0, 3, v3
	s_and_b32 s10, s10, vcc_lo
	s_delay_alu instid0(VALU_DEP_1) | instid1(SALU_CYCLE_1)
	v_cndmask_b32_e64 v0, v0, 0, s10
	s_delay_alu instid0(VALU_DEP_1)
	v_or_b32_e32 v83, v0, v5
.LBB6_19641:                            ;   in Loop: Header=BB6_16763 Depth=2
	s_or_b32 exec_lo, exec_lo, s40
                                        ; implicit-def: $vgpr5
.LBB6_19642:                            ;   in Loop: Header=BB6_16763 Depth=2
	s_and_not1_saveexec_b32 s10, s29
; %bb.19643:                            ;   in Loop: Header=BB6_16763 Depth=2
	v_or_b32_e32 v83, 0x7b, v5
; %bb.19644:                            ;   in Loop: Header=BB6_16763 Depth=2
	s_or_b32 exec_lo, exec_lo, s10
                                        ; implicit-def: $vgpr0
                                        ; implicit-def: $vgpr1
.LBB6_19645:                            ;   in Loop: Header=BB6_16763 Depth=2
	s_and_not1_saveexec_b32 s10, s28
	s_cbranch_execz .LBB6_19651
; %bb.19646:                            ;   in Loop: Header=BB6_16763 Depth=2
	s_mov_b32 s28, exec_lo
                                        ; implicit-def: $vgpr83
	v_cmpx_ne_u64_e32 0, v[54:55]
	s_xor_b32 s28, exec_lo, s28
; %bb.19647:                            ;   in Loop: Header=BB6_16763 Depth=2
	v_or_b32_e32 v83, 0x7f, v1
                                        ; implicit-def: $vgpr0
; %bb.19648:                            ;   in Loop: Header=BB6_16763 Depth=2
	s_and_not1_saveexec_b32 s28, s28
; %bb.19649:                            ;   in Loop: Header=BB6_16763 Depth=2
	v_cmp_lt_i32_e32 vcc_lo, -1, v0
	v_cndmask_b32_e32 v83, 0xfc, v30, vcc_lo
; %bb.19650:                            ;   in Loop: Header=BB6_16763 Depth=2
	s_or_b32 exec_lo, exec_lo, s28
.LBB6_19651:                            ;   in Loop: Header=BB6_16763 Depth=2
	s_delay_alu instid0(SALU_CYCLE_1) | instskip(SKIP_3) | instid1(VALU_DEP_1)
	s_or_b32 exec_lo, exec_lo, s10
	global_load_b128 v[10:13], v[14:15], off offset:3072 th:TH_LOAD_NT
	s_wait_loadcnt 0x0
	v_and_b32_e32 v0, 0xff, v10
	v_cmp_ne_u16_e32 vcc_lo, 0, v0
	v_mov_b32_e32 v0, 0
	s_wait_xcnt 0x0
	s_and_saveexec_b32 s28, vcc_lo
	s_cbranch_execz .LBB6_19661
; %bb.19652:                            ;   in Loop: Header=BB6_16763 Depth=2
	v_bfe_i32 v2, v10, 0, 8
	v_bfrev_b32_e32 v0, 1
	s_mov_b32 s29, exec_lo
	s_delay_alu instid0(VALU_DEP_2)
	v_cmpx_ne_u16_e32 0xff80, v2
	s_cbranch_execz .LBB6_19660
; %bb.19653:                            ;   in Loop: Header=BB6_16763 Depth=2
	v_and_b32_e32 v0, 0x7c, v10
	v_and_b32_e32 v1, 3, v10
	s_delay_alu instid0(VALU_DEP_2) | instskip(SKIP_1) | instid1(SALU_CYCLE_1)
	v_cmp_ne_u32_e32 vcc_lo, 0x7c, v0
                                        ; implicit-def: $vgpr0
	s_and_saveexec_b32 s10, vcc_lo
	s_xor_b32 s10, exec_lo, s10
	s_cbranch_execz .LBB6_19657
; %bb.19654:                            ;   in Loop: Header=BB6_16763 Depth=2
	v_bfe_u32 v0, v10, 2, 5
	s_mov_b32 s40, exec_lo
	s_delay_alu instid0(VALU_DEP_1)
	v_cmpx_eq_u32_e32 0, v0
; %bb.19655:                            ;   in Loop: Header=BB6_16763 Depth=2
	v_clz_i32_u32_e32 v0, v1
	s_delay_alu instid0(VALU_DEP_1) | instskip(NEXT) | instid1(VALU_DEP_1)
	v_min_u32_e32 v0, 32, v0
	v_subrev_nc_u32_e32 v1, 29, v0
	s_delay_alu instid0(VALU_DEP_1) | instskip(NEXT) | instid1(VALU_DEP_1)
	v_lshlrev_b64_e32 v[2:3], v1, v[10:11]
	v_dual_sub_nc_u32 v0, 30, v0 :: v_dual_bitop2_b32 v1, 3, v2 bitop3:0x40
; %bb.19656:                            ;   in Loop: Header=BB6_16763 Depth=2
	s_or_b32 exec_lo, exec_lo, s40
	v_lshlrev_b32_e32 v2, 24, v10
	s_delay_alu instid0(VALU_DEP_1) | instskip(NEXT) | instid1(VALU_DEP_1)
	v_and_b32_e32 v2, 0x80000000, v2
	v_lshl_add_u32 v0, v0, 23, v2
                                        ; implicit-def: $vgpr2
	s_delay_alu instid0(VALU_DEP_1) | instskip(NEXT) | instid1(VALU_DEP_1)
	v_lshl_or_b32 v0, v1, 21, v0
                                        ; implicit-def: $vgpr1
	v_add_nc_u32_e32 v0, 0x38000000, v0
.LBB6_19657:                            ;   in Loop: Header=BB6_16763 Depth=2
	s_and_not1_saveexec_b32 s40, s10
; %bb.19658:                            ;   in Loop: Header=BB6_16763 Depth=2
	v_cmp_lt_i16_e64 s10, -1, v2
	v_cmp_eq_u32_e32 vcc_lo, 0, v1
	s_delay_alu instid0(VALU_DEP_2) | instskip(NEXT) | instid1(VALU_DEP_1)
	v_cndmask_b32_e64 v0, 0xff800000, v29, s10
	v_cndmask_b32_e32 v0, 0x7f800001, v0, vcc_lo
; %bb.19659:                            ;   in Loop: Header=BB6_16763 Depth=2
	s_or_b32 exec_lo, exec_lo, s40
.LBB6_19660:                            ;   in Loop: Header=BB6_16763 Depth=2
	s_delay_alu instid0(SALU_CYCLE_1)
	s_or_b32 exec_lo, exec_lo, s29
.LBB6_19661:                            ;   in Loop: Header=BB6_16763 Depth=2
	s_delay_alu instid0(SALU_CYCLE_1) | instskip(NEXT) | instid1(VALU_DEP_1)
	s_or_b32 exec_lo, exec_lo, s28
	v_dual_mul_f32 v0, s27, v0 :: v_dual_mov_b32 v3, v55
                                        ; implicit-def: $vgpr70
	s_mov_b32 s10, exec_lo
	s_delay_alu instid0(VALU_DEP_1) | instskip(SKIP_2) | instid1(VALU_DEP_3)
	v_and_b32_e32 v2, 0x7f800000, v0
	v_and_b32_e32 v54, 0x7fffff, v0
	v_lshrrev_b32_e32 v1, 24, v0
	v_cmpx_ne_u64_e32 0x7f800000, v[2:3]
	s_xor_b32 s28, exec_lo, s10
	s_cbranch_execz .LBB6_19675
; %bb.19662:                            ;   in Loop: Header=BB6_16763 Depth=2
	v_and_b32_e32 v2, 0x7fffffff, v0
	v_mov_b32_e32 v3, v55
	v_and_b32_e32 v5, 0x80, v1
                                        ; implicit-def: $vgpr70
	s_mov_b32 s10, exec_lo
	s_delay_alu instid0(VALU_DEP_2)
	v_cmpx_gt_u64_e32 0x47600001, v[2:3]
	s_xor_b32 s29, exec_lo, s10
	s_cbranch_execz .LBB6_19672
; %bb.19663:                            ;   in Loop: Header=BB6_16763 Depth=2
	v_mov_b32_e32 v70, 0
	s_mov_b32 s40, exec_lo
	v_cmpx_ne_u32_e32 0, v0
	s_cbranch_execz .LBB6_19671
; %bb.19664:                            ;   in Loop: Header=BB6_16763 Depth=2
	v_bfe_u32 v6, v0, 23, 8
	v_or_b32_e32 v1, 0x800000, v54
	s_delay_alu instid0(VALU_DEP_2) | instskip(SKIP_2) | instid1(VALU_DEP_2)
	v_cmp_gt_u32_e64 s10, 0x72, v6
	v_sub_nc_u32_e32 v0, 0x71, v6
	v_cmp_eq_u32_e32 vcc_lo, 0, v6
	v_cndmask_b32_e64 v0, 0, v0, s10
	s_delay_alu instid0(VALU_DEP_1) | instskip(SKIP_1) | instid1(VALU_DEP_2)
	v_cndmask_b32_e64 v7, v0, 0x70, vcc_lo
	v_dual_cndmask_b32 v0, v1, v54 :: v_dual_mov_b32 v1, v55
	v_dual_add_nc_u32 v2, 21, v7 :: v_dual_add_nc_u32 v8, 20, v7
	s_delay_alu instid0(VALU_DEP_1) | instskip(NEXT) | instid1(VALU_DEP_2)
	v_lshlrev_b64_e64 v[2:3], v2, -1
	v_lshlrev_b64_e64 v[8:9], v8, 1
	s_delay_alu instid0(VALU_DEP_2) | instskip(SKIP_1) | instid1(VALU_DEP_4)
	v_bfi_b32 v2, v2, 0, v0
	v_lshrrev_b64 v[0:1], v7, v[0:1]
	v_bfi_b32 v3, v3, 0, 0
	s_delay_alu instid0(VALU_DEP_1) | instskip(NEXT) | instid1(VALU_DEP_3)
	v_cmp_eq_u64_e64 s10, v[2:3], v[8:9]
	v_mov_b64_e32 v[2:3], v[0:1]
	s_and_saveexec_b32 s41, s10
; %bb.19665:                            ;   in Loop: Header=BB6_16763 Depth=2
	v_bfe_u32 v2, v0, 21, 1
	v_mov_b32_e32 v3, v55
	s_delay_alu instid0(VALU_DEP_1) | instskip(NEXT) | instid1(VALU_DEP_1)
	v_add_nc_u64_e32 v[2:3], v[0:1], v[2:3]
	v_add_nc_u64_e32 v[2:3], -1, v[2:3]
; %bb.19666:                            ;   in Loop: Header=BB6_16763 Depth=2
	s_or_b32 exec_lo, exec_lo, s41
	v_add_nc_u32_e32 v1, 0xffffff81, v6
	s_delay_alu instid0(VALU_DEP_2) | instskip(SKIP_2) | instid1(VALU_DEP_3)
	v_and_b32_e32 v2, 0x1fffff, v2
	v_lshrrev_b32_e32 v3, 23, v0
	s_mov_b32 s10, exec_lo
	v_cndmask_b32_e64 v1, v1, 0xffffff82, vcc_lo
	s_delay_alu instid0(VALU_DEP_3) | instskip(NEXT) | instid1(VALU_DEP_2)
	v_add_nc_u32_e32 v54, v2, v0
                                        ; implicit-def: $vgpr2
	v_add3_u32 v6, v7, v1, v3
                                        ; implicit-def: $vgpr0_vgpr1
	s_delay_alu instid0(VALU_DEP_1) | instskip(NEXT) | instid1(VALU_DEP_1)
	v_add_nc_u32_e32 v3, 14, v6
	v_cmpx_ne_u32_e32 0, v3
	s_xor_b32 s10, exec_lo, s10
; %bb.19667:                            ;   in Loop: Header=BB6_16763 Depth=2
	v_cmp_lt_u64_e32 vcc_lo, 0xffffff, v[54:55]
	v_add_nc_u32_e32 v0, 15, v6
	s_delay_alu instid0(VALU_DEP_1) | instskip(SKIP_1) | instid1(VALU_DEP_1)
	v_cndmask_b32_e32 v2, v3, v0, vcc_lo
	v_cndmask_b32_e64 v0, 0, 1, vcc_lo
	v_lshrrev_b64 v[0:1], v0, v[54:55]
; %bb.19668:                            ;   in Loop: Header=BB6_16763 Depth=2
	s_and_not1_saveexec_b32 s10, s10
; %bb.19669:                            ;   in Loop: Header=BB6_16763 Depth=2
	v_mov_b64_e32 v[0:1], v[54:55]
	v_bfe_u32 v2, v54, 23, 1
; %bb.19670:                            ;   in Loop: Header=BB6_16763 Depth=2
	s_or_b32 exec_lo, exec_lo, s10
	s_delay_alu instid0(VALU_DEP_2) | instskip(NEXT) | instid1(VALU_DEP_2)
	v_lshrrev_b64 v[0:1], 21, v[0:1]
	v_cmp_gt_i32_e32 vcc_lo, 32, v2
	v_min_i32_e32 v3, 31, v2
	v_cmp_eq_u32_e64 s10, 0, v2
	s_delay_alu instid0(VALU_DEP_2) | instskip(SKIP_1) | instid1(VALU_DEP_2)
	v_dual_cndmask_b32 v1, 0, v1, vcc_lo :: v_dual_lshlrev_b32 v3, 2, v3
	v_cndmask_b32_e32 v0, 3, v0, vcc_lo
	v_and_b32_e32 v3, 0xfc, v3
	s_delay_alu instid0(VALU_DEP_2) | instskip(NEXT) | instid1(VALU_DEP_2)
	v_cmp_eq_u64_e32 vcc_lo, 0, v[0:1]
	v_and_or_b32 v0, v0, 3, v3
	s_and_b32 s10, s10, vcc_lo
	s_delay_alu instid0(VALU_DEP_1) | instid1(SALU_CYCLE_1)
	v_cndmask_b32_e64 v0, v0, 0, s10
	s_delay_alu instid0(VALU_DEP_1)
	v_or_b32_e32 v70, v0, v5
.LBB6_19671:                            ;   in Loop: Header=BB6_16763 Depth=2
	s_or_b32 exec_lo, exec_lo, s40
                                        ; implicit-def: $vgpr5
.LBB6_19672:                            ;   in Loop: Header=BB6_16763 Depth=2
	s_and_not1_saveexec_b32 s10, s29
; %bb.19673:                            ;   in Loop: Header=BB6_16763 Depth=2
	v_or_b32_e32 v70, 0x7b, v5
; %bb.19674:                            ;   in Loop: Header=BB6_16763 Depth=2
	s_or_b32 exec_lo, exec_lo, s10
                                        ; implicit-def: $vgpr0
                                        ; implicit-def: $vgpr1
.LBB6_19675:                            ;   in Loop: Header=BB6_16763 Depth=2
	s_and_not1_saveexec_b32 s10, s28
	s_cbranch_execz .LBB6_19681
; %bb.19676:                            ;   in Loop: Header=BB6_16763 Depth=2
	s_mov_b32 s28, exec_lo
                                        ; implicit-def: $vgpr70
	v_cmpx_ne_u64_e32 0, v[54:55]
	s_xor_b32 s28, exec_lo, s28
; %bb.19677:                            ;   in Loop: Header=BB6_16763 Depth=2
	v_or_b32_e32 v70, 0x7f, v1
                                        ; implicit-def: $vgpr0
; %bb.19678:                            ;   in Loop: Header=BB6_16763 Depth=2
	s_and_not1_saveexec_b32 s28, s28
; %bb.19679:                            ;   in Loop: Header=BB6_16763 Depth=2
	v_cmp_lt_i32_e32 vcc_lo, -1, v0
	v_cndmask_b32_e32 v70, 0xfc, v30, vcc_lo
; %bb.19680:                            ;   in Loop: Header=BB6_16763 Depth=2
	s_or_b32 exec_lo, exec_lo, s28
.LBB6_19681:                            ;   in Loop: Header=BB6_16763 Depth=2
	s_delay_alu instid0(SALU_CYCLE_1) | instskip(SKIP_3) | instid1(VALU_DEP_2)
	s_or_b32 exec_lo, exec_lo, s10
	v_lshrrev_b16 v0, 8, v10
	v_mov_b32_e32 v1, 0
	s_mov_b32 s28, exec_lo
	v_cmpx_ne_u16_e32 0, v0
	s_cbranch_execz .LBB6_19691
; %bb.19682:                            ;   in Loop: Header=BB6_16763 Depth=2
	v_bfrev_b32_e32 v1, 1
	s_mov_b32 s29, exec_lo
	v_cmpx_ne_u16_e32 0x80, v0
	s_cbranch_execz .LBB6_19690
; %bb.19683:                            ;   in Loop: Header=BB6_16763 Depth=2
	v_and_b32_e32 v3, 0xffff, v0
	s_delay_alu instid0(VALU_DEP_1) | instskip(SKIP_1) | instid1(VALU_DEP_2)
	v_and_b32_e32 v1, 0x7c, v3
	v_and_b32_e32 v2, 3, v3
	v_cmp_ne_u32_e32 vcc_lo, 0x7c, v1
                                        ; implicit-def: $vgpr1
	s_and_saveexec_b32 s10, vcc_lo
	s_delay_alu instid0(SALU_CYCLE_1)
	s_xor_b32 s10, exec_lo, s10
	s_cbranch_execz .LBB6_19687
; %bb.19684:                            ;   in Loop: Header=BB6_16763 Depth=2
	v_bfe_u32 v1, v3, 2, 5
	s_mov_b32 s40, exec_lo
	s_delay_alu instid0(VALU_DEP_1)
	v_cmpx_eq_u32_e32 0, v1
; %bb.19685:                            ;   in Loop: Header=BB6_16763 Depth=2
	v_clz_i32_u32_e32 v1, v2
	s_delay_alu instid0(VALU_DEP_1) | instskip(SKIP_1) | instid1(VALU_DEP_2)
	v_min_u32_e32 v2, 32, v1
	v_mov_b32_e32 v1, v55
	v_subrev_nc_u32_e32 v3, 29, v2
	s_delay_alu instid0(VALU_DEP_1) | instskip(NEXT) | instid1(VALU_DEP_1)
	v_lshlrev_b64_e32 v[0:1], v3, v[0:1]
	v_dual_sub_nc_u32 v1, 30, v2 :: v_dual_bitop2_b32 v2, 3, v0 bitop3:0x40
; %bb.19686:                            ;   in Loop: Header=BB6_16763 Depth=2
	s_or_b32 exec_lo, exec_lo, s40
	v_lshlrev_b32_e32 v0, 16, v10
	s_delay_alu instid0(VALU_DEP_1) | instskip(NEXT) | instid1(VALU_DEP_1)
	v_and_b32_e32 v0, 0x80000000, v0
	v_lshl_add_u32 v0, v1, 23, v0
	s_delay_alu instid0(VALU_DEP_1) | instskip(NEXT) | instid1(VALU_DEP_1)
	v_lshl_or_b32 v0, v2, 21, v0
                                        ; implicit-def: $vgpr2
	v_add_nc_u32_e32 v1, 0x38000000, v0
.LBB6_19687:                            ;   in Loop: Header=BB6_16763 Depth=2
	s_and_not1_saveexec_b32 s40, s10
; %bb.19688:                            ;   in Loop: Header=BB6_16763 Depth=2
	v_cmp_lt_i16_e64 s10, -1, v10
	v_cmp_eq_u32_e32 vcc_lo, 0, v2
	s_delay_alu instid0(VALU_DEP_2) | instskip(NEXT) | instid1(VALU_DEP_1)
	v_cndmask_b32_e64 v0, 0xff800000, v29, s10
	v_cndmask_b32_e32 v1, 0x7f800001, v0, vcc_lo
; %bb.19689:                            ;   in Loop: Header=BB6_16763 Depth=2
	s_or_b32 exec_lo, exec_lo, s40
.LBB6_19690:                            ;   in Loop: Header=BB6_16763 Depth=2
	s_delay_alu instid0(SALU_CYCLE_1)
	s_or_b32 exec_lo, exec_lo, s29
.LBB6_19691:                            ;   in Loop: Header=BB6_16763 Depth=2
	s_delay_alu instid0(SALU_CYCLE_1) | instskip(NEXT) | instid1(VALU_DEP_1)
	s_or_b32 exec_lo, exec_lo, s28
	v_dual_mul_f32 v0, s27, v1 :: v_dual_mov_b32 v3, v55
                                        ; implicit-def: $vgpr71
	s_mov_b32 s10, exec_lo
	s_delay_alu instid0(VALU_DEP_1) | instskip(SKIP_2) | instid1(VALU_DEP_3)
	v_and_b32_e32 v2, 0x7f800000, v0
	v_and_b32_e32 v54, 0x7fffff, v0
	v_lshrrev_b32_e32 v1, 24, v0
	v_cmpx_ne_u64_e32 0x7f800000, v[2:3]
	s_xor_b32 s28, exec_lo, s10
	s_cbranch_execz .LBB6_19705
; %bb.19692:                            ;   in Loop: Header=BB6_16763 Depth=2
	v_and_b32_e32 v2, 0x7fffffff, v0
	v_mov_b32_e32 v3, v55
	v_and_b32_e32 v5, 0x80, v1
                                        ; implicit-def: $vgpr71
	s_mov_b32 s10, exec_lo
	s_delay_alu instid0(VALU_DEP_2)
	v_cmpx_gt_u64_e32 0x47600001, v[2:3]
	s_xor_b32 s29, exec_lo, s10
	s_cbranch_execz .LBB6_19702
; %bb.19693:                            ;   in Loop: Header=BB6_16763 Depth=2
	v_mov_b32_e32 v71, 0
	s_mov_b32 s40, exec_lo
	v_cmpx_ne_u32_e32 0, v0
	s_cbranch_execz .LBB6_19701
; %bb.19694:                            ;   in Loop: Header=BB6_16763 Depth=2
	v_bfe_u32 v6, v0, 23, 8
	v_or_b32_e32 v1, 0x800000, v54
	s_delay_alu instid0(VALU_DEP_2) | instskip(SKIP_2) | instid1(VALU_DEP_2)
	v_cmp_gt_u32_e64 s10, 0x72, v6
	v_sub_nc_u32_e32 v0, 0x71, v6
	v_cmp_eq_u32_e32 vcc_lo, 0, v6
	v_cndmask_b32_e64 v0, 0, v0, s10
	s_delay_alu instid0(VALU_DEP_1) | instskip(SKIP_1) | instid1(VALU_DEP_2)
	v_cndmask_b32_e64 v7, v0, 0x70, vcc_lo
	v_dual_cndmask_b32 v0, v1, v54 :: v_dual_mov_b32 v1, v55
	v_dual_add_nc_u32 v2, 21, v7 :: v_dual_add_nc_u32 v8, 20, v7
	s_delay_alu instid0(VALU_DEP_1) | instskip(NEXT) | instid1(VALU_DEP_2)
	v_lshlrev_b64_e64 v[2:3], v2, -1
	v_lshlrev_b64_e64 v[8:9], v8, 1
	s_delay_alu instid0(VALU_DEP_2) | instskip(SKIP_1) | instid1(VALU_DEP_4)
	v_bfi_b32 v2, v2, 0, v0
	v_lshrrev_b64 v[0:1], v7, v[0:1]
	v_bfi_b32 v3, v3, 0, 0
	s_delay_alu instid0(VALU_DEP_1) | instskip(NEXT) | instid1(VALU_DEP_3)
	v_cmp_eq_u64_e64 s10, v[2:3], v[8:9]
	v_mov_b64_e32 v[2:3], v[0:1]
	s_and_saveexec_b32 s41, s10
; %bb.19695:                            ;   in Loop: Header=BB6_16763 Depth=2
	v_bfe_u32 v2, v0, 21, 1
	v_mov_b32_e32 v3, v55
	s_delay_alu instid0(VALU_DEP_1) | instskip(NEXT) | instid1(VALU_DEP_1)
	v_add_nc_u64_e32 v[2:3], v[0:1], v[2:3]
	v_add_nc_u64_e32 v[2:3], -1, v[2:3]
; %bb.19696:                            ;   in Loop: Header=BB6_16763 Depth=2
	s_or_b32 exec_lo, exec_lo, s41
	v_add_nc_u32_e32 v1, 0xffffff81, v6
	s_delay_alu instid0(VALU_DEP_2) | instskip(SKIP_2) | instid1(VALU_DEP_3)
	v_and_b32_e32 v2, 0x1fffff, v2
	v_lshrrev_b32_e32 v3, 23, v0
	s_mov_b32 s10, exec_lo
	v_cndmask_b32_e64 v1, v1, 0xffffff82, vcc_lo
	s_delay_alu instid0(VALU_DEP_3) | instskip(NEXT) | instid1(VALU_DEP_2)
	v_add_nc_u32_e32 v54, v2, v0
                                        ; implicit-def: $vgpr2
	v_add3_u32 v6, v7, v1, v3
                                        ; implicit-def: $vgpr0_vgpr1
	s_delay_alu instid0(VALU_DEP_1) | instskip(NEXT) | instid1(VALU_DEP_1)
	v_add_nc_u32_e32 v3, 14, v6
	v_cmpx_ne_u32_e32 0, v3
	s_xor_b32 s10, exec_lo, s10
; %bb.19697:                            ;   in Loop: Header=BB6_16763 Depth=2
	v_cmp_lt_u64_e32 vcc_lo, 0xffffff, v[54:55]
	v_add_nc_u32_e32 v0, 15, v6
	s_delay_alu instid0(VALU_DEP_1) | instskip(SKIP_1) | instid1(VALU_DEP_1)
	v_cndmask_b32_e32 v2, v3, v0, vcc_lo
	v_cndmask_b32_e64 v0, 0, 1, vcc_lo
	v_lshrrev_b64 v[0:1], v0, v[54:55]
; %bb.19698:                            ;   in Loop: Header=BB6_16763 Depth=2
	s_and_not1_saveexec_b32 s10, s10
; %bb.19699:                            ;   in Loop: Header=BB6_16763 Depth=2
	v_mov_b64_e32 v[0:1], v[54:55]
	v_bfe_u32 v2, v54, 23, 1
; %bb.19700:                            ;   in Loop: Header=BB6_16763 Depth=2
	s_or_b32 exec_lo, exec_lo, s10
	s_delay_alu instid0(VALU_DEP_2) | instskip(NEXT) | instid1(VALU_DEP_2)
	v_lshrrev_b64 v[0:1], 21, v[0:1]
	v_cmp_gt_i32_e32 vcc_lo, 32, v2
	v_min_i32_e32 v3, 31, v2
	v_cmp_eq_u32_e64 s10, 0, v2
	s_delay_alu instid0(VALU_DEP_2) | instskip(SKIP_1) | instid1(VALU_DEP_2)
	v_dual_cndmask_b32 v1, 0, v1, vcc_lo :: v_dual_lshlrev_b32 v3, 2, v3
	v_cndmask_b32_e32 v0, 3, v0, vcc_lo
	v_and_b32_e32 v3, 0xfc, v3
	s_delay_alu instid0(VALU_DEP_2) | instskip(NEXT) | instid1(VALU_DEP_2)
	v_cmp_eq_u64_e32 vcc_lo, 0, v[0:1]
	v_and_or_b32 v0, v0, 3, v3
	s_and_b32 s10, s10, vcc_lo
	s_delay_alu instid0(VALU_DEP_1) | instid1(SALU_CYCLE_1)
	v_cndmask_b32_e64 v0, v0, 0, s10
	s_delay_alu instid0(VALU_DEP_1)
	v_or_b32_e32 v71, v0, v5
.LBB6_19701:                            ;   in Loop: Header=BB6_16763 Depth=2
	s_or_b32 exec_lo, exec_lo, s40
                                        ; implicit-def: $vgpr5
.LBB6_19702:                            ;   in Loop: Header=BB6_16763 Depth=2
	s_and_not1_saveexec_b32 s10, s29
; %bb.19703:                            ;   in Loop: Header=BB6_16763 Depth=2
	v_or_b32_e32 v71, 0x7b, v5
; %bb.19704:                            ;   in Loop: Header=BB6_16763 Depth=2
	s_or_b32 exec_lo, exec_lo, s10
                                        ; implicit-def: $vgpr0
                                        ; implicit-def: $vgpr1
.LBB6_19705:                            ;   in Loop: Header=BB6_16763 Depth=2
	s_and_not1_saveexec_b32 s10, s28
	s_cbranch_execz .LBB6_19711
; %bb.19706:                            ;   in Loop: Header=BB6_16763 Depth=2
	s_mov_b32 s28, exec_lo
                                        ; implicit-def: $vgpr71
	v_cmpx_ne_u64_e32 0, v[54:55]
	s_xor_b32 s28, exec_lo, s28
; %bb.19707:                            ;   in Loop: Header=BB6_16763 Depth=2
	v_or_b32_e32 v71, 0x7f, v1
                                        ; implicit-def: $vgpr0
; %bb.19708:                            ;   in Loop: Header=BB6_16763 Depth=2
	s_and_not1_saveexec_b32 s28, s28
; %bb.19709:                            ;   in Loop: Header=BB6_16763 Depth=2
	v_cmp_lt_i32_e32 vcc_lo, -1, v0
	v_cndmask_b32_e32 v71, 0xfc, v30, vcc_lo
; %bb.19710:                            ;   in Loop: Header=BB6_16763 Depth=2
	s_or_b32 exec_lo, exec_lo, s28
.LBB6_19711:                            ;   in Loop: Header=BB6_16763 Depth=2
	s_delay_alu instid0(SALU_CYCLE_1) | instskip(SKIP_2) | instid1(VALU_DEP_1)
	s_or_b32 exec_lo, exec_lo, s10
	v_dual_mov_b32 v1, 0 :: v_dual_lshrrev_b32 v0, 16, v10
	s_mov_b32 s28, exec_lo
	v_and_b32_e32 v2, 0xff, v0
	s_delay_alu instid0(VALU_DEP_1)
	v_cmpx_ne_u16_e32 0, v2
	s_cbranch_execz .LBB6_19721
; %bb.19712:                            ;   in Loop: Header=BB6_16763 Depth=2
	v_bfrev_b32_e32 v1, 1
	s_mov_b32 s29, exec_lo
	v_cmpx_ne_u16_e32 0x80, v2
	s_cbranch_execz .LBB6_19720
; %bb.19713:                            ;   in Loop: Header=BB6_16763 Depth=2
	v_and_b32_e32 v1, 0x7c0000, v10
	v_bfe_u32 v2, v10, 16, 2
	s_delay_alu instid0(VALU_DEP_2) | instskip(SKIP_1) | instid1(SALU_CYCLE_1)
	v_cmp_ne_u32_e32 vcc_lo, 0x7c0000, v1
                                        ; implicit-def: $vgpr1
	s_and_saveexec_b32 s10, vcc_lo
	s_xor_b32 s10, exec_lo, s10
	s_cbranch_execz .LBB6_19717
; %bb.19714:                            ;   in Loop: Header=BB6_16763 Depth=2
	v_bfe_u32 v1, v10, 18, 5
	s_mov_b32 s40, exec_lo
	s_delay_alu instid0(VALU_DEP_1)
	v_cmpx_eq_u32_e32 0, v1
; %bb.19715:                            ;   in Loop: Header=BB6_16763 Depth=2
	v_clz_i32_u32_e32 v1, v2
	s_delay_alu instid0(VALU_DEP_1) | instskip(NEXT) | instid1(VALU_DEP_1)
	v_min_u32_e32 v1, 32, v1
	v_subrev_nc_u32_e32 v2, 29, v1
	s_delay_alu instid0(VALU_DEP_1) | instskip(NEXT) | instid1(VALU_DEP_1)
	v_lshlrev_b64_e32 v[2:3], v2, v[0:1]
	v_dual_sub_nc_u32 v1, 30, v1 :: v_dual_bitop2_b32 v2, 3, v2 bitop3:0x40
; %bb.19716:                            ;   in Loop: Header=BB6_16763 Depth=2
	s_or_b32 exec_lo, exec_lo, s40
	v_lshlrev_b32_e32 v0, 24, v0
	s_delay_alu instid0(VALU_DEP_1) | instskip(NEXT) | instid1(VALU_DEP_1)
	v_and_b32_e32 v0, 0x80000000, v0
	v_lshl_add_u32 v0, v1, 23, v0
	s_delay_alu instid0(VALU_DEP_1) | instskip(NEXT) | instid1(VALU_DEP_1)
	v_lshl_or_b32 v0, v2, 21, v0
                                        ; implicit-def: $vgpr2
	v_add_nc_u32_e32 v1, 0x38000000, v0
                                        ; implicit-def: $vgpr0
.LBB6_19717:                            ;   in Loop: Header=BB6_16763 Depth=2
	s_and_not1_saveexec_b32 s40, s10
; %bb.19718:                            ;   in Loop: Header=BB6_16763 Depth=2
	v_bfe_i32 v0, v0, 0, 8
	v_cmp_eq_u32_e32 vcc_lo, 0, v2
	s_delay_alu instid0(VALU_DEP_2) | instskip(NEXT) | instid1(VALU_DEP_1)
	v_cmp_lt_i16_e64 s10, -1, v0
	v_cndmask_b32_e64 v0, 0xff800000, v29, s10
	s_delay_alu instid0(VALU_DEP_1)
	v_cndmask_b32_e32 v1, 0x7f800001, v0, vcc_lo
; %bb.19719:                            ;   in Loop: Header=BB6_16763 Depth=2
	s_or_b32 exec_lo, exec_lo, s40
.LBB6_19720:                            ;   in Loop: Header=BB6_16763 Depth=2
	s_delay_alu instid0(SALU_CYCLE_1)
	s_or_b32 exec_lo, exec_lo, s29
.LBB6_19721:                            ;   in Loop: Header=BB6_16763 Depth=2
	s_delay_alu instid0(SALU_CYCLE_1) | instskip(NEXT) | instid1(VALU_DEP_1)
	s_or_b32 exec_lo, exec_lo, s28
	v_dual_mul_f32 v0, s27, v1 :: v_dual_mov_b32 v3, v55
                                        ; implicit-def: $vgpr5
	s_mov_b32 s10, exec_lo
	s_delay_alu instid0(VALU_DEP_1) | instskip(SKIP_2) | instid1(VALU_DEP_3)
	v_and_b32_e32 v2, 0x7f800000, v0
	v_and_b32_e32 v54, 0x7fffff, v0
	v_lshrrev_b32_e32 v1, 24, v0
	v_cmpx_ne_u64_e32 0x7f800000, v[2:3]
	s_xor_b32 s28, exec_lo, s10
	s_cbranch_execz .LBB6_19735
; %bb.19722:                            ;   in Loop: Header=BB6_16763 Depth=2
	v_and_b32_e32 v2, 0x7fffffff, v0
	v_mov_b32_e32 v3, v55
	v_and_b32_e32 v6, 0x80, v1
                                        ; implicit-def: $vgpr5
	s_mov_b32 s10, exec_lo
	s_delay_alu instid0(VALU_DEP_2)
	v_cmpx_gt_u64_e32 0x47600001, v[2:3]
	s_xor_b32 s29, exec_lo, s10
	s_cbranch_execz .LBB6_19732
; %bb.19723:                            ;   in Loop: Header=BB6_16763 Depth=2
	v_mov_b32_e32 v5, 0
	s_mov_b32 s40, exec_lo
	v_cmpx_ne_u32_e32 0, v0
	s_cbranch_execz .LBB6_19731
; %bb.19724:                            ;   in Loop: Header=BB6_16763 Depth=2
	v_bfe_u32 v5, v0, 23, 8
	v_or_b32_e32 v1, 0x800000, v54
	s_delay_alu instid0(VALU_DEP_2) | instskip(SKIP_2) | instid1(VALU_DEP_2)
	v_cmp_gt_u32_e64 s10, 0x72, v5
	v_sub_nc_u32_e32 v0, 0x71, v5
	v_cmp_eq_u32_e32 vcc_lo, 0, v5
	v_cndmask_b32_e64 v0, 0, v0, s10
	s_delay_alu instid0(VALU_DEP_1) | instskip(SKIP_1) | instid1(VALU_DEP_2)
	v_cndmask_b32_e64 v7, v0, 0x70, vcc_lo
	v_dual_cndmask_b32 v0, v1, v54 :: v_dual_mov_b32 v1, v55
	v_dual_add_nc_u32 v2, 21, v7 :: v_dual_add_nc_u32 v8, 20, v7
	s_delay_alu instid0(VALU_DEP_1) | instskip(NEXT) | instid1(VALU_DEP_2)
	v_lshlrev_b64_e64 v[2:3], v2, -1
	v_lshlrev_b64_e64 v[8:9], v8, 1
	s_delay_alu instid0(VALU_DEP_2) | instskip(SKIP_1) | instid1(VALU_DEP_4)
	v_bfi_b32 v2, v2, 0, v0
	v_lshrrev_b64 v[0:1], v7, v[0:1]
	v_bfi_b32 v3, v3, 0, 0
	s_delay_alu instid0(VALU_DEP_1) | instskip(NEXT) | instid1(VALU_DEP_3)
	v_cmp_eq_u64_e64 s10, v[2:3], v[8:9]
	v_mov_b64_e32 v[2:3], v[0:1]
	s_and_saveexec_b32 s41, s10
; %bb.19725:                            ;   in Loop: Header=BB6_16763 Depth=2
	v_bfe_u32 v2, v0, 21, 1
	v_mov_b32_e32 v3, v55
	s_delay_alu instid0(VALU_DEP_1) | instskip(NEXT) | instid1(VALU_DEP_1)
	v_add_nc_u64_e32 v[2:3], v[0:1], v[2:3]
	v_add_nc_u64_e32 v[2:3], -1, v[2:3]
; %bb.19726:                            ;   in Loop: Header=BB6_16763 Depth=2
	s_or_b32 exec_lo, exec_lo, s41
	v_add_nc_u32_e32 v1, 0xffffff81, v5
	s_delay_alu instid0(VALU_DEP_2) | instskip(SKIP_2) | instid1(VALU_DEP_3)
	v_and_b32_e32 v2, 0x1fffff, v2
	v_lshrrev_b32_e32 v3, 23, v0
	s_mov_b32 s10, exec_lo
	v_cndmask_b32_e64 v1, v1, 0xffffff82, vcc_lo
	s_delay_alu instid0(VALU_DEP_3) | instskip(NEXT) | instid1(VALU_DEP_2)
	v_add_nc_u32_e32 v54, v2, v0
                                        ; implicit-def: $vgpr2
	v_add3_u32 v5, v7, v1, v3
                                        ; implicit-def: $vgpr0_vgpr1
	s_delay_alu instid0(VALU_DEP_1) | instskip(NEXT) | instid1(VALU_DEP_1)
	v_add_nc_u32_e32 v3, 14, v5
	v_cmpx_ne_u32_e32 0, v3
	s_xor_b32 s10, exec_lo, s10
; %bb.19727:                            ;   in Loop: Header=BB6_16763 Depth=2
	v_cmp_lt_u64_e32 vcc_lo, 0xffffff, v[54:55]
	v_add_nc_u32_e32 v0, 15, v5
	s_delay_alu instid0(VALU_DEP_1) | instskip(SKIP_1) | instid1(VALU_DEP_1)
	v_cndmask_b32_e32 v2, v3, v0, vcc_lo
	v_cndmask_b32_e64 v0, 0, 1, vcc_lo
	v_lshrrev_b64 v[0:1], v0, v[54:55]
; %bb.19728:                            ;   in Loop: Header=BB6_16763 Depth=2
	s_and_not1_saveexec_b32 s10, s10
; %bb.19729:                            ;   in Loop: Header=BB6_16763 Depth=2
	v_mov_b64_e32 v[0:1], v[54:55]
	v_bfe_u32 v2, v54, 23, 1
; %bb.19730:                            ;   in Loop: Header=BB6_16763 Depth=2
	s_or_b32 exec_lo, exec_lo, s10
	s_delay_alu instid0(VALU_DEP_2) | instskip(NEXT) | instid1(VALU_DEP_2)
	v_lshrrev_b64 v[0:1], 21, v[0:1]
	v_cmp_gt_i32_e32 vcc_lo, 32, v2
	v_min_i32_e32 v3, 31, v2
	v_cmp_eq_u32_e64 s10, 0, v2
	s_delay_alu instid0(VALU_DEP_2) | instskip(SKIP_1) | instid1(VALU_DEP_2)
	v_dual_cndmask_b32 v1, 0, v1, vcc_lo :: v_dual_lshlrev_b32 v3, 2, v3
	v_cndmask_b32_e32 v0, 3, v0, vcc_lo
	v_and_b32_e32 v3, 0xfc, v3
	s_delay_alu instid0(VALU_DEP_2) | instskip(NEXT) | instid1(VALU_DEP_2)
	v_cmp_eq_u64_e32 vcc_lo, 0, v[0:1]
	v_and_or_b32 v0, v0, 3, v3
	s_and_b32 s10, s10, vcc_lo
	s_delay_alu instid0(VALU_DEP_1) | instid1(SALU_CYCLE_1)
	v_cndmask_b32_e64 v0, v0, 0, s10
	s_delay_alu instid0(VALU_DEP_1)
	v_or_b32_e32 v5, v0, v6
.LBB6_19731:                            ;   in Loop: Header=BB6_16763 Depth=2
	s_or_b32 exec_lo, exec_lo, s40
                                        ; implicit-def: $vgpr6
.LBB6_19732:                            ;   in Loop: Header=BB6_16763 Depth=2
	s_and_not1_saveexec_b32 s10, s29
; %bb.19733:                            ;   in Loop: Header=BB6_16763 Depth=2
	v_or_b32_e32 v5, 0x7b, v6
; %bb.19734:                            ;   in Loop: Header=BB6_16763 Depth=2
	s_or_b32 exec_lo, exec_lo, s10
                                        ; implicit-def: $vgpr0
                                        ; implicit-def: $vgpr1
.LBB6_19735:                            ;   in Loop: Header=BB6_16763 Depth=2
	s_and_not1_saveexec_b32 s10, s28
	s_cbranch_execz .LBB6_19741
; %bb.19736:                            ;   in Loop: Header=BB6_16763 Depth=2
	s_mov_b32 s28, exec_lo
                                        ; implicit-def: $vgpr5
	v_cmpx_ne_u64_e32 0, v[54:55]
	s_xor_b32 s28, exec_lo, s28
; %bb.19737:                            ;   in Loop: Header=BB6_16763 Depth=2
	v_or_b32_e32 v5, 0x7f, v1
                                        ; implicit-def: $vgpr0
; %bb.19738:                            ;   in Loop: Header=BB6_16763 Depth=2
	s_and_not1_saveexec_b32 s28, s28
; %bb.19739:                            ;   in Loop: Header=BB6_16763 Depth=2
	v_cmp_lt_i32_e32 vcc_lo, -1, v0
	v_cndmask_b32_e32 v5, 0xfc, v30, vcc_lo
; %bb.19740:                            ;   in Loop: Header=BB6_16763 Depth=2
	s_or_b32 exec_lo, exec_lo, s28
.LBB6_19741:                            ;   in Loop: Header=BB6_16763 Depth=2
	s_delay_alu instid0(SALU_CYCLE_1)
	s_or_b32 exec_lo, exec_lo, s10
	v_mov_b32_e32 v1, 0
	s_mov_b32 s28, exec_lo
	v_cmpx_lt_u32_e32 0xffffff, v10
	s_cbranch_execz .LBB6_19751
; %bb.19742:                            ;   in Loop: Header=BB6_16763 Depth=2
	v_lshrrev_b32_e32 v0, 24, v10
	v_bfrev_b32_e32 v1, 1
	s_mov_b32 s29, exec_lo
	s_delay_alu instid0(VALU_DEP_2)
	v_cmpx_ne_u32_e32 0x80, v0
	s_cbranch_execz .LBB6_19750
; %bb.19743:                            ;   in Loop: Header=BB6_16763 Depth=2
	v_and_b32_e32 v1, 0x7c000000, v10
	v_bfe_u32 v2, v10, 24, 2
	s_delay_alu instid0(VALU_DEP_2) | instskip(SKIP_1) | instid1(SALU_CYCLE_1)
	v_cmp_ne_u32_e32 vcc_lo, 0x7c000000, v1
                                        ; implicit-def: $vgpr1
	s_and_saveexec_b32 s10, vcc_lo
	s_xor_b32 s10, exec_lo, s10
	s_cbranch_execz .LBB6_19747
; %bb.19744:                            ;   in Loop: Header=BB6_16763 Depth=2
	v_bfe_u32 v1, v10, 26, 5
	s_mov_b32 s40, exec_lo
	s_delay_alu instid0(VALU_DEP_1)
	v_cmpx_eq_u32_e32 0, v1
; %bb.19745:                            ;   in Loop: Header=BB6_16763 Depth=2
	v_clz_i32_u32_e32 v1, v2
	s_delay_alu instid0(VALU_DEP_1) | instskip(NEXT) | instid1(VALU_DEP_1)
	v_min_u32_e32 v2, 32, v1
	v_subrev_nc_u32_e32 v1, 29, v2
	s_delay_alu instid0(VALU_DEP_1) | instskip(NEXT) | instid1(VALU_DEP_1)
	v_lshlrev_b64_e32 v[0:1], v1, v[0:1]
	v_dual_sub_nc_u32 v1, 30, v2 :: v_dual_bitop2_b32 v2, 3, v0 bitop3:0x40
; %bb.19746:                            ;   in Loop: Header=BB6_16763 Depth=2
	s_or_b32 exec_lo, exec_lo, s40
	v_and_b32_e32 v0, 0x80000000, v10
	s_delay_alu instid0(VALU_DEP_1) | instskip(NEXT) | instid1(VALU_DEP_1)
	v_lshl_add_u32 v0, v1, 23, v0
	v_lshl_or_b32 v0, v2, 21, v0
                                        ; implicit-def: $vgpr2
	s_delay_alu instid0(VALU_DEP_1)
	v_add_nc_u32_e32 v1, 0x38000000, v0
.LBB6_19747:                            ;   in Loop: Header=BB6_16763 Depth=2
	s_and_not1_saveexec_b32 s40, s10
; %bb.19748:                            ;   in Loop: Header=BB6_16763 Depth=2
	v_cmp_lt_i32_e64 s10, -1, v10
	v_cmp_eq_u32_e32 vcc_lo, 0, v2
	s_delay_alu instid0(VALU_DEP_2) | instskip(NEXT) | instid1(VALU_DEP_1)
	v_cndmask_b32_e64 v0, 0xff800000, v29, s10
	v_cndmask_b32_e32 v1, 0x7f800001, v0, vcc_lo
; %bb.19749:                            ;   in Loop: Header=BB6_16763 Depth=2
	s_or_b32 exec_lo, exec_lo, s40
.LBB6_19750:                            ;   in Loop: Header=BB6_16763 Depth=2
	s_delay_alu instid0(SALU_CYCLE_1)
	s_or_b32 exec_lo, exec_lo, s29
.LBB6_19751:                            ;   in Loop: Header=BB6_16763 Depth=2
	s_delay_alu instid0(SALU_CYCLE_1) | instskip(NEXT) | instid1(VALU_DEP_1)
	s_or_b32 exec_lo, exec_lo, s28
	v_dual_mul_f32 v0, s27, v1 :: v_dual_mov_b32 v3, v55
                                        ; implicit-def: $vgpr6
	s_mov_b32 s10, exec_lo
	s_delay_alu instid0(VALU_DEP_1) | instskip(SKIP_2) | instid1(VALU_DEP_3)
	v_and_b32_e32 v2, 0x7f800000, v0
	v_and_b32_e32 v54, 0x7fffff, v0
	v_lshrrev_b32_e32 v1, 24, v0
	v_cmpx_ne_u64_e32 0x7f800000, v[2:3]
	s_xor_b32 s28, exec_lo, s10
	s_cbranch_execz .LBB6_19765
; %bb.19752:                            ;   in Loop: Header=BB6_16763 Depth=2
	v_and_b32_e32 v2, 0x7fffffff, v0
	v_mov_b32_e32 v3, v55
	v_and_b32_e32 v7, 0x80, v1
                                        ; implicit-def: $vgpr6
	s_mov_b32 s10, exec_lo
	s_delay_alu instid0(VALU_DEP_2)
	v_cmpx_gt_u64_e32 0x47600001, v[2:3]
	s_xor_b32 s29, exec_lo, s10
	s_cbranch_execz .LBB6_19762
; %bb.19753:                            ;   in Loop: Header=BB6_16763 Depth=2
	v_mov_b32_e32 v6, 0
	s_mov_b32 s40, exec_lo
	v_cmpx_ne_u32_e32 0, v0
	s_cbranch_execz .LBB6_19761
; %bb.19754:                            ;   in Loop: Header=BB6_16763 Depth=2
	v_bfe_u32 v6, v0, 23, 8
	v_or_b32_e32 v1, 0x800000, v54
	s_delay_alu instid0(VALU_DEP_2) | instskip(SKIP_2) | instid1(VALU_DEP_2)
	v_cmp_gt_u32_e64 s10, 0x72, v6
	v_sub_nc_u32_e32 v0, 0x71, v6
	v_cmp_eq_u32_e32 vcc_lo, 0, v6
	v_cndmask_b32_e64 v0, 0, v0, s10
	s_delay_alu instid0(VALU_DEP_1) | instskip(SKIP_1) | instid1(VALU_DEP_2)
	v_cndmask_b32_e64 v8, v0, 0x70, vcc_lo
	v_dual_cndmask_b32 v0, v1, v54 :: v_dual_mov_b32 v1, v55
	v_dual_add_nc_u32 v2, 21, v8 :: v_dual_add_nc_u32 v9, 20, v8
	s_delay_alu instid0(VALU_DEP_1) | instskip(NEXT) | instid1(VALU_DEP_2)
	v_lshlrev_b64_e64 v[2:3], v2, -1
	v_lshlrev_b64_e64 v[32:33], v9, 1
	s_delay_alu instid0(VALU_DEP_2) | instskip(SKIP_1) | instid1(VALU_DEP_4)
	v_bfi_b32 v2, v2, 0, v0
	v_lshrrev_b64 v[0:1], v8, v[0:1]
	v_bfi_b32 v3, v3, 0, 0
	s_delay_alu instid0(VALU_DEP_1) | instskip(NEXT) | instid1(VALU_DEP_3)
	v_cmp_eq_u64_e64 s10, v[2:3], v[32:33]
	v_mov_b64_e32 v[2:3], v[0:1]
	s_and_saveexec_b32 s41, s10
; %bb.19755:                            ;   in Loop: Header=BB6_16763 Depth=2
	v_bfe_u32 v2, v0, 21, 1
	v_mov_b32_e32 v3, v55
	s_delay_alu instid0(VALU_DEP_1) | instskip(NEXT) | instid1(VALU_DEP_1)
	v_add_nc_u64_e32 v[2:3], v[0:1], v[2:3]
	v_add_nc_u64_e32 v[2:3], -1, v[2:3]
; %bb.19756:                            ;   in Loop: Header=BB6_16763 Depth=2
	s_or_b32 exec_lo, exec_lo, s41
	v_add_nc_u32_e32 v1, 0xffffff81, v6
	s_delay_alu instid0(VALU_DEP_2) | instskip(SKIP_2) | instid1(VALU_DEP_3)
	v_and_b32_e32 v2, 0x1fffff, v2
	v_lshrrev_b32_e32 v3, 23, v0
	s_mov_b32 s10, exec_lo
	v_cndmask_b32_e64 v1, v1, 0xffffff82, vcc_lo
	s_delay_alu instid0(VALU_DEP_3) | instskip(NEXT) | instid1(VALU_DEP_2)
	v_add_nc_u32_e32 v54, v2, v0
                                        ; implicit-def: $vgpr2
	v_add3_u32 v6, v8, v1, v3
                                        ; implicit-def: $vgpr0_vgpr1
	s_delay_alu instid0(VALU_DEP_1) | instskip(NEXT) | instid1(VALU_DEP_1)
	v_add_nc_u32_e32 v3, 14, v6
	v_cmpx_ne_u32_e32 0, v3
	s_xor_b32 s10, exec_lo, s10
; %bb.19757:                            ;   in Loop: Header=BB6_16763 Depth=2
	v_cmp_lt_u64_e32 vcc_lo, 0xffffff, v[54:55]
	v_add_nc_u32_e32 v0, 15, v6
	s_delay_alu instid0(VALU_DEP_1) | instskip(SKIP_1) | instid1(VALU_DEP_1)
	v_cndmask_b32_e32 v2, v3, v0, vcc_lo
	v_cndmask_b32_e64 v0, 0, 1, vcc_lo
	v_lshrrev_b64 v[0:1], v0, v[54:55]
; %bb.19758:                            ;   in Loop: Header=BB6_16763 Depth=2
	s_and_not1_saveexec_b32 s10, s10
; %bb.19759:                            ;   in Loop: Header=BB6_16763 Depth=2
	v_mov_b64_e32 v[0:1], v[54:55]
	v_bfe_u32 v2, v54, 23, 1
; %bb.19760:                            ;   in Loop: Header=BB6_16763 Depth=2
	s_or_b32 exec_lo, exec_lo, s10
	s_delay_alu instid0(VALU_DEP_2) | instskip(NEXT) | instid1(VALU_DEP_2)
	v_lshrrev_b64 v[0:1], 21, v[0:1]
	v_cmp_gt_i32_e32 vcc_lo, 32, v2
	v_min_i32_e32 v3, 31, v2
	v_cmp_eq_u32_e64 s10, 0, v2
	s_delay_alu instid0(VALU_DEP_2) | instskip(SKIP_1) | instid1(VALU_DEP_2)
	v_dual_cndmask_b32 v1, 0, v1, vcc_lo :: v_dual_lshlrev_b32 v3, 2, v3
	v_cndmask_b32_e32 v0, 3, v0, vcc_lo
	v_and_b32_e32 v3, 0xfc, v3
	s_delay_alu instid0(VALU_DEP_2) | instskip(NEXT) | instid1(VALU_DEP_2)
	v_cmp_eq_u64_e32 vcc_lo, 0, v[0:1]
	v_and_or_b32 v0, v0, 3, v3
	s_and_b32 s10, s10, vcc_lo
	s_delay_alu instid0(VALU_DEP_1) | instid1(SALU_CYCLE_1)
	v_cndmask_b32_e64 v0, v0, 0, s10
	s_delay_alu instid0(VALU_DEP_1)
	v_or_b32_e32 v6, v0, v7
.LBB6_19761:                            ;   in Loop: Header=BB6_16763 Depth=2
	s_or_b32 exec_lo, exec_lo, s40
                                        ; implicit-def: $vgpr7
.LBB6_19762:                            ;   in Loop: Header=BB6_16763 Depth=2
	s_and_not1_saveexec_b32 s10, s29
; %bb.19763:                            ;   in Loop: Header=BB6_16763 Depth=2
	v_or_b32_e32 v6, 0x7b, v7
; %bb.19764:                            ;   in Loop: Header=BB6_16763 Depth=2
	s_or_b32 exec_lo, exec_lo, s10
                                        ; implicit-def: $vgpr0
                                        ; implicit-def: $vgpr1
.LBB6_19765:                            ;   in Loop: Header=BB6_16763 Depth=2
	s_and_not1_saveexec_b32 s10, s28
	s_cbranch_execz .LBB6_19771
; %bb.19766:                            ;   in Loop: Header=BB6_16763 Depth=2
	s_mov_b32 s28, exec_lo
                                        ; implicit-def: $vgpr6
	v_cmpx_ne_u64_e32 0, v[54:55]
	s_xor_b32 s28, exec_lo, s28
; %bb.19767:                            ;   in Loop: Header=BB6_16763 Depth=2
	v_or_b32_e32 v6, 0x7f, v1
                                        ; implicit-def: $vgpr0
; %bb.19768:                            ;   in Loop: Header=BB6_16763 Depth=2
	s_and_not1_saveexec_b32 s28, s28
; %bb.19769:                            ;   in Loop: Header=BB6_16763 Depth=2
	v_cmp_lt_i32_e32 vcc_lo, -1, v0
	v_cndmask_b32_e32 v6, 0xfc, v30, vcc_lo
; %bb.19770:                            ;   in Loop: Header=BB6_16763 Depth=2
	s_or_b32 exec_lo, exec_lo, s28
.LBB6_19771:                            ;   in Loop: Header=BB6_16763 Depth=2
	s_delay_alu instid0(SALU_CYCLE_1) | instskip(SKIP_3) | instid1(VALU_DEP_2)
	s_or_b32 exec_lo, exec_lo, s10
	v_and_b32_e32 v1, 0xff, v11
	v_dual_mov_b32 v54, v11 :: v_dual_mov_b32 v0, 0
	s_mov_b32 s28, exec_lo
	v_cmpx_ne_u16_e32 0, v1
	s_cbranch_execz .LBB6_19781
; %bb.19772:                            ;   in Loop: Header=BB6_16763 Depth=2
	v_bfrev_b32_e32 v0, 1
	s_mov_b32 s29, exec_lo
	v_cmpx_ne_u16_e32 0x80, v1
	s_cbranch_execz .LBB6_19780
; %bb.19773:                            ;   in Loop: Header=BB6_16763 Depth=2
	v_and_b32_e32 v0, 0x7c, v11
	v_and_b32_e32 v1, 3, v11
	s_delay_alu instid0(VALU_DEP_2) | instskip(SKIP_1) | instid1(SALU_CYCLE_1)
	v_cmp_ne_u32_e32 vcc_lo, 0x7c, v0
                                        ; implicit-def: $vgpr0
	s_and_saveexec_b32 s10, vcc_lo
	s_xor_b32 s10, exec_lo, s10
	s_cbranch_execz .LBB6_19777
; %bb.19774:                            ;   in Loop: Header=BB6_16763 Depth=2
	v_bfe_u32 v0, v11, 2, 5
	s_mov_b32 s40, exec_lo
	s_delay_alu instid0(VALU_DEP_1)
	v_cmpx_eq_u32_e32 0, v0
; %bb.19775:                            ;   in Loop: Header=BB6_16763 Depth=2
	v_clz_i32_u32_e32 v0, v1
	s_delay_alu instid0(VALU_DEP_1) | instskip(NEXT) | instid1(VALU_DEP_1)
	v_min_u32_e32 v0, 32, v0
	v_subrev_nc_u32_e32 v1, 29, v0
	s_delay_alu instid0(VALU_DEP_1) | instskip(NEXT) | instid1(VALU_DEP_1)
	v_lshlrev_b64_e32 v[2:3], v1, v[54:55]
	v_dual_sub_nc_u32 v0, 30, v0 :: v_dual_bitop2_b32 v1, 3, v2 bitop3:0x40
; %bb.19776:                            ;   in Loop: Header=BB6_16763 Depth=2
	s_or_b32 exec_lo, exec_lo, s40
	v_lshlrev_b32_e32 v2, 24, v11
	s_delay_alu instid0(VALU_DEP_1) | instskip(NEXT) | instid1(VALU_DEP_1)
	v_and_b32_e32 v2, 0x80000000, v2
	v_lshl_add_u32 v0, v0, 23, v2
	s_delay_alu instid0(VALU_DEP_1) | instskip(NEXT) | instid1(VALU_DEP_1)
	v_lshl_or_b32 v0, v1, 21, v0
                                        ; implicit-def: $vgpr1
	v_add_nc_u32_e32 v0, 0x38000000, v0
.LBB6_19777:                            ;   in Loop: Header=BB6_16763 Depth=2
	s_and_not1_saveexec_b32 s40, s10
; %bb.19778:                            ;   in Loop: Header=BB6_16763 Depth=2
	v_bfe_i32 v0, v11, 0, 8
	v_cmp_eq_u32_e32 vcc_lo, 0, v1
	s_delay_alu instid0(VALU_DEP_2) | instskip(NEXT) | instid1(VALU_DEP_1)
	v_cmp_lt_i16_e64 s10, -1, v0
	v_cndmask_b32_e64 v0, 0xff800000, v29, s10
	s_delay_alu instid0(VALU_DEP_1)
	v_cndmask_b32_e32 v0, 0x7f800001, v0, vcc_lo
; %bb.19779:                            ;   in Loop: Header=BB6_16763 Depth=2
	s_or_b32 exec_lo, exec_lo, s40
.LBB6_19780:                            ;   in Loop: Header=BB6_16763 Depth=2
	s_delay_alu instid0(SALU_CYCLE_1)
	s_or_b32 exec_lo, exec_lo, s29
.LBB6_19781:                            ;   in Loop: Header=BB6_16763 Depth=2
	s_delay_alu instid0(SALU_CYCLE_1) | instskip(NEXT) | instid1(VALU_DEP_1)
	s_or_b32 exec_lo, exec_lo, s28
	v_dual_mul_f32 v2, s27, v0 :: v_dual_mov_b32 v9, v55
	v_mov_b32_e32 v1, v55
                                        ; implicit-def: $vgpr7
	s_mov_b32 s10, exec_lo
	s_delay_alu instid0(VALU_DEP_2) | instskip(SKIP_2) | instid1(VALU_DEP_3)
	v_and_b32_e32 v8, 0x7f800000, v2
	v_and_b32_e32 v0, 0x7fffff, v2
	v_lshrrev_b32_e32 v3, 24, v2
	v_cmpx_ne_u64_e32 0x7f800000, v[8:9]
	s_xor_b32 s28, exec_lo, s10
	s_cbranch_execz .LBB6_19795
; %bb.19782:                            ;   in Loop: Header=BB6_16763 Depth=2
	v_and_b32_e32 v8, 0x7fffffff, v2
	v_mov_b32_e32 v9, v55
                                        ; implicit-def: $vgpr7
	s_delay_alu instid0(VALU_DEP_1) | instskip(SKIP_2) | instid1(SALU_CYCLE_1)
	v_cmp_gt_u64_e32 vcc_lo, 0x47600001, v[8:9]
	v_and_b32_e32 v8, 0x80, v3
	s_and_saveexec_b32 s10, vcc_lo
	s_xor_b32 s29, exec_lo, s10
	s_cbranch_execz .LBB6_19792
; %bb.19783:                            ;   in Loop: Header=BB6_16763 Depth=2
	v_mov_b32_e32 v7, 0
	s_mov_b32 s40, exec_lo
	v_cmpx_ne_u32_e32 0, v2
	s_cbranch_execz .LBB6_19791
; %bb.19784:                            ;   in Loop: Header=BB6_16763 Depth=2
	v_bfe_u32 v7, v2, 23, 8
	v_or_b32_e32 v3, 0x800000, v0
	s_delay_alu instid0(VALU_DEP_2) | instskip(SKIP_2) | instid1(VALU_DEP_2)
	v_cmp_gt_u32_e64 s10, 0x72, v7
	v_sub_nc_u32_e32 v2, 0x71, v7
	v_cmp_eq_u32_e32 vcc_lo, 0, v7
	v_dual_cndmask_b32 v2, 0, v2, s10 :: v_dual_cndmask_b32 v0, v3, v0, vcc_lo
	s_delay_alu instid0(VALU_DEP_1) | instskip(NEXT) | instid1(VALU_DEP_1)
	v_cndmask_b32_e64 v9, v2, 0x70, vcc_lo
	v_dual_add_nc_u32 v2, 21, v9 :: v_dual_add_nc_u32 v32, 20, v9
	s_delay_alu instid0(VALU_DEP_1) | instskip(NEXT) | instid1(VALU_DEP_2)
	v_lshlrev_b64_e64 v[2:3], v2, -1
	v_lshlrev_b64_e64 v[32:33], v32, 1
	s_delay_alu instid0(VALU_DEP_2) | instskip(SKIP_1) | instid1(VALU_DEP_4)
	v_bfi_b32 v2, v2, 0, v0
	v_lshrrev_b64 v[0:1], v9, v[0:1]
	v_bfi_b32 v3, v3, 0, 0
	s_delay_alu instid0(VALU_DEP_1) | instskip(NEXT) | instid1(VALU_DEP_3)
	v_cmp_eq_u64_e64 s10, v[2:3], v[32:33]
	v_mov_b64_e32 v[2:3], v[0:1]
	s_and_saveexec_b32 s41, s10
; %bb.19785:                            ;   in Loop: Header=BB6_16763 Depth=2
	v_bfe_u32 v2, v0, 21, 1
	v_mov_b32_e32 v3, v55
	s_delay_alu instid0(VALU_DEP_1) | instskip(NEXT) | instid1(VALU_DEP_1)
	v_add_nc_u64_e32 v[2:3], v[0:1], v[2:3]
	v_add_nc_u64_e32 v[2:3], -1, v[2:3]
; %bb.19786:                            ;   in Loop: Header=BB6_16763 Depth=2
	s_or_b32 exec_lo, exec_lo, s41
	v_add_nc_u32_e32 v1, 0xffffff81, v7
	v_lshrrev_b32_e32 v3, 23, v0
	s_mov_b32 s10, exec_lo
	s_delay_alu instid0(VALU_DEP_2) | instskip(NEXT) | instid1(VALU_DEP_1)
	v_cndmask_b32_e64 v1, v1, 0xffffff82, vcc_lo
	v_add3_u32 v7, v9, v1, v3
	v_and_b32_e32 v1, 0x1fffff, v2
                                        ; implicit-def: $vgpr2
	s_delay_alu instid0(VALU_DEP_1) | instskip(SKIP_1) | instid1(VALU_DEP_2)
	v_dual_add_nc_u32 v3, 14, v7 :: v_dual_add_nc_u32 v0, v1, v0
	v_mov_b32_e32 v1, v55
	v_cmpx_ne_u32_e32 0, v3
	s_xor_b32 s10, exec_lo, s10
; %bb.19787:                            ;   in Loop: Header=BB6_16763 Depth=2
	s_delay_alu instid0(VALU_DEP_2) | instskip(SKIP_1) | instid1(VALU_DEP_1)
	v_cmp_lt_u64_e32 vcc_lo, 0xffffff, v[0:1]
	v_add_nc_u32_e32 v2, 15, v7
	v_cndmask_b32_e32 v2, v3, v2, vcc_lo
	v_cndmask_b32_e64 v3, 0, 1, vcc_lo
	s_delay_alu instid0(VALU_DEP_1)
	v_lshrrev_b64 v[0:1], v3, v[0:1]
; %bb.19788:                            ;   in Loop: Header=BB6_16763 Depth=2
	s_and_not1_saveexec_b32 s10, s10
; %bb.19789:                            ;   in Loop: Header=BB6_16763 Depth=2
	s_delay_alu instid0(VALU_DEP_1)
	v_bfe_u32 v2, v0, 23, 1
; %bb.19790:                            ;   in Loop: Header=BB6_16763 Depth=2
	s_or_b32 exec_lo, exec_lo, s10
	s_delay_alu instid0(VALU_DEP_2) | instskip(NEXT) | instid1(VALU_DEP_2)
	v_lshrrev_b64 v[0:1], 21, v[0:1]
	v_cmp_gt_i32_e32 vcc_lo, 32, v2
	v_min_i32_e32 v3, 31, v2
	v_cmp_eq_u32_e64 s10, 0, v2
	s_delay_alu instid0(VALU_DEP_2) | instskip(SKIP_1) | instid1(VALU_DEP_2)
	v_dual_cndmask_b32 v1, 0, v1, vcc_lo :: v_dual_lshlrev_b32 v3, 2, v3
	v_cndmask_b32_e32 v0, 3, v0, vcc_lo
	v_and_b32_e32 v3, 0xfc, v3
	s_delay_alu instid0(VALU_DEP_2) | instskip(NEXT) | instid1(VALU_DEP_2)
	v_cmp_eq_u64_e32 vcc_lo, 0, v[0:1]
	v_and_or_b32 v0, v0, 3, v3
	s_and_b32 s10, s10, vcc_lo
	s_delay_alu instid0(VALU_DEP_1) | instid1(SALU_CYCLE_1)
	v_cndmask_b32_e64 v0, v0, 0, s10
	s_delay_alu instid0(VALU_DEP_1)
	v_or_b32_e32 v7, v0, v8
.LBB6_19791:                            ;   in Loop: Header=BB6_16763 Depth=2
	s_or_b32 exec_lo, exec_lo, s40
                                        ; implicit-def: $vgpr8
.LBB6_19792:                            ;   in Loop: Header=BB6_16763 Depth=2
	s_and_not1_saveexec_b32 s10, s29
; %bb.19793:                            ;   in Loop: Header=BB6_16763 Depth=2
	v_or_b32_e32 v7, 0x7b, v8
; %bb.19794:                            ;   in Loop: Header=BB6_16763 Depth=2
	s_or_b32 exec_lo, exec_lo, s10
                                        ; implicit-def: $vgpr2
                                        ; implicit-def: $vgpr0_vgpr1
                                        ; implicit-def: $vgpr3
.LBB6_19795:                            ;   in Loop: Header=BB6_16763 Depth=2
	s_and_not1_saveexec_b32 s10, s28
	s_cbranch_execz .LBB6_19801
; %bb.19796:                            ;   in Loop: Header=BB6_16763 Depth=2
	s_mov_b32 s28, exec_lo
                                        ; implicit-def: $vgpr7
	v_cmpx_ne_u64_e32 0, v[0:1]
	s_xor_b32 s28, exec_lo, s28
; %bb.19797:                            ;   in Loop: Header=BB6_16763 Depth=2
	v_or_b32_e32 v7, 0x7f, v3
                                        ; implicit-def: $vgpr2
; %bb.19798:                            ;   in Loop: Header=BB6_16763 Depth=2
	s_and_not1_saveexec_b32 s28, s28
; %bb.19799:                            ;   in Loop: Header=BB6_16763 Depth=2
	v_cmp_lt_i32_e32 vcc_lo, -1, v2
	v_cndmask_b32_e32 v7, 0xfc, v30, vcc_lo
; %bb.19800:                            ;   in Loop: Header=BB6_16763 Depth=2
	s_or_b32 exec_lo, exec_lo, s28
.LBB6_19801:                            ;   in Loop: Header=BB6_16763 Depth=2
	s_delay_alu instid0(SALU_CYCLE_1) | instskip(SKIP_3) | instid1(VALU_DEP_2)
	s_or_b32 exec_lo, exec_lo, s10
	v_lshrrev_b16 v0, 8, v54
	v_mov_b32_e32 v1, 0
	s_mov_b32 s28, exec_lo
	v_cmpx_ne_u16_e32 0, v0
	s_cbranch_execz .LBB6_19811
; %bb.19802:                            ;   in Loop: Header=BB6_16763 Depth=2
	v_bfrev_b32_e32 v1, 1
	s_mov_b32 s29, exec_lo
	v_cmpx_ne_u16_e32 0x80, v0
	s_cbranch_execz .LBB6_19810
; %bb.19803:                            ;   in Loop: Header=BB6_16763 Depth=2
	v_and_b32_e32 v3, 0xffff, v0
	s_delay_alu instid0(VALU_DEP_1) | instskip(SKIP_1) | instid1(VALU_DEP_2)
	v_and_b32_e32 v1, 0x7c, v3
	v_and_b32_e32 v2, 3, v3
	v_cmp_ne_u32_e32 vcc_lo, 0x7c, v1
                                        ; implicit-def: $vgpr1
	s_and_saveexec_b32 s10, vcc_lo
	s_delay_alu instid0(SALU_CYCLE_1)
	s_xor_b32 s10, exec_lo, s10
	s_cbranch_execz .LBB6_19807
; %bb.19804:                            ;   in Loop: Header=BB6_16763 Depth=2
	v_bfe_u32 v1, v3, 2, 5
	s_mov_b32 s40, exec_lo
	s_delay_alu instid0(VALU_DEP_1)
	v_cmpx_eq_u32_e32 0, v1
; %bb.19805:                            ;   in Loop: Header=BB6_16763 Depth=2
	v_clz_i32_u32_e32 v1, v2
	s_delay_alu instid0(VALU_DEP_1) | instskip(SKIP_1) | instid1(VALU_DEP_2)
	v_min_u32_e32 v2, 32, v1
	v_mov_b32_e32 v1, v55
	v_subrev_nc_u32_e32 v3, 29, v2
	s_delay_alu instid0(VALU_DEP_1) | instskip(NEXT) | instid1(VALU_DEP_1)
	v_lshlrev_b64_e32 v[0:1], v3, v[0:1]
	v_dual_sub_nc_u32 v1, 30, v2 :: v_dual_bitop2_b32 v2, 3, v0 bitop3:0x40
; %bb.19806:                            ;   in Loop: Header=BB6_16763 Depth=2
	s_or_b32 exec_lo, exec_lo, s40
	v_lshlrev_b32_e32 v0, 16, v54
	s_delay_alu instid0(VALU_DEP_1) | instskip(NEXT) | instid1(VALU_DEP_1)
	v_and_b32_e32 v0, 0x80000000, v0
	v_lshl_add_u32 v0, v1, 23, v0
	s_delay_alu instid0(VALU_DEP_1) | instskip(NEXT) | instid1(VALU_DEP_1)
	v_lshl_or_b32 v0, v2, 21, v0
                                        ; implicit-def: $vgpr2
	v_add_nc_u32_e32 v1, 0x38000000, v0
.LBB6_19807:                            ;   in Loop: Header=BB6_16763 Depth=2
	s_and_not1_saveexec_b32 s40, s10
; %bb.19808:                            ;   in Loop: Header=BB6_16763 Depth=2
	v_cmp_lt_i16_e64 s10, -1, v54
	v_cmp_eq_u32_e32 vcc_lo, 0, v2
	s_delay_alu instid0(VALU_DEP_2) | instskip(NEXT) | instid1(VALU_DEP_1)
	v_cndmask_b32_e64 v0, 0xff800000, v29, s10
	v_cndmask_b32_e32 v1, 0x7f800001, v0, vcc_lo
; %bb.19809:                            ;   in Loop: Header=BB6_16763 Depth=2
	s_or_b32 exec_lo, exec_lo, s40
.LBB6_19810:                            ;   in Loop: Header=BB6_16763 Depth=2
	s_delay_alu instid0(SALU_CYCLE_1)
	s_or_b32 exec_lo, exec_lo, s29
.LBB6_19811:                            ;   in Loop: Header=BB6_16763 Depth=2
	s_delay_alu instid0(SALU_CYCLE_1) | instskip(NEXT) | instid1(VALU_DEP_1)
	s_or_b32 exec_lo, exec_lo, s28
	v_dual_mul_f32 v0, s27, v1 :: v_dual_mov_b32 v3, v55
                                        ; implicit-def: $vgpr8
	s_mov_b32 s10, exec_lo
	s_delay_alu instid0(VALU_DEP_1) | instskip(SKIP_2) | instid1(VALU_DEP_3)
	v_and_b32_e32 v2, 0x7f800000, v0
	v_and_b32_e32 v54, 0x7fffff, v0
	v_lshrrev_b32_e32 v1, 24, v0
	v_cmpx_ne_u64_e32 0x7f800000, v[2:3]
	s_xor_b32 s28, exec_lo, s10
	s_cbranch_execz .LBB6_19825
; %bb.19812:                            ;   in Loop: Header=BB6_16763 Depth=2
	v_and_b32_e32 v2, 0x7fffffff, v0
	v_mov_b32_e32 v3, v55
	v_and_b32_e32 v9, 0x80, v1
                                        ; implicit-def: $vgpr8
	s_mov_b32 s10, exec_lo
	s_delay_alu instid0(VALU_DEP_2)
	v_cmpx_gt_u64_e32 0x47600001, v[2:3]
	s_xor_b32 s29, exec_lo, s10
	s_cbranch_execz .LBB6_19822
; %bb.19813:                            ;   in Loop: Header=BB6_16763 Depth=2
	v_mov_b32_e32 v8, 0
	s_mov_b32 s40, exec_lo
	v_cmpx_ne_u32_e32 0, v0
	s_cbranch_execz .LBB6_19821
; %bb.19814:                            ;   in Loop: Header=BB6_16763 Depth=2
	v_bfe_u32 v8, v0, 23, 8
	v_or_b32_e32 v1, 0x800000, v54
	s_delay_alu instid0(VALU_DEP_2) | instskip(SKIP_2) | instid1(VALU_DEP_2)
	v_cmp_gt_u32_e64 s10, 0x72, v8
	v_sub_nc_u32_e32 v0, 0x71, v8
	v_cmp_eq_u32_e32 vcc_lo, 0, v8
	v_cndmask_b32_e64 v0, 0, v0, s10
	s_delay_alu instid0(VALU_DEP_1) | instskip(SKIP_1) | instid1(VALU_DEP_2)
	v_cndmask_b32_e64 v32, v0, 0x70, vcc_lo
	v_dual_cndmask_b32 v0, v1, v54 :: v_dual_mov_b32 v1, v55
	v_dual_add_nc_u32 v2, 21, v32 :: v_dual_add_nc_u32 v33, 20, v32
	s_delay_alu instid0(VALU_DEP_1) | instskip(NEXT) | instid1(VALU_DEP_2)
	v_lshlrev_b64_e64 v[2:3], v2, -1
	v_lshlrev_b64_e64 v[34:35], v33, 1
	s_delay_alu instid0(VALU_DEP_2) | instskip(SKIP_1) | instid1(VALU_DEP_4)
	v_bfi_b32 v2, v2, 0, v0
	v_lshrrev_b64 v[0:1], v32, v[0:1]
	v_bfi_b32 v3, v3, 0, 0
	s_delay_alu instid0(VALU_DEP_1) | instskip(NEXT) | instid1(VALU_DEP_3)
	v_cmp_eq_u64_e64 s10, v[2:3], v[34:35]
	v_mov_b64_e32 v[2:3], v[0:1]
	s_and_saveexec_b32 s41, s10
; %bb.19815:                            ;   in Loop: Header=BB6_16763 Depth=2
	v_bfe_u32 v2, v0, 21, 1
	v_mov_b32_e32 v3, v55
	s_delay_alu instid0(VALU_DEP_1) | instskip(NEXT) | instid1(VALU_DEP_1)
	v_add_nc_u64_e32 v[2:3], v[0:1], v[2:3]
	v_add_nc_u64_e32 v[2:3], -1, v[2:3]
; %bb.19816:                            ;   in Loop: Header=BB6_16763 Depth=2
	s_or_b32 exec_lo, exec_lo, s41
	v_add_nc_u32_e32 v1, 0xffffff81, v8
	s_delay_alu instid0(VALU_DEP_2) | instskip(SKIP_2) | instid1(VALU_DEP_3)
	v_and_b32_e32 v2, 0x1fffff, v2
	v_lshrrev_b32_e32 v3, 23, v0
	s_mov_b32 s10, exec_lo
	v_cndmask_b32_e64 v1, v1, 0xffffff82, vcc_lo
	s_delay_alu instid0(VALU_DEP_3) | instskip(NEXT) | instid1(VALU_DEP_2)
	v_add_nc_u32_e32 v54, v2, v0
                                        ; implicit-def: $vgpr2
	v_add3_u32 v8, v32, v1, v3
                                        ; implicit-def: $vgpr0_vgpr1
	s_delay_alu instid0(VALU_DEP_1) | instskip(NEXT) | instid1(VALU_DEP_1)
	v_add_nc_u32_e32 v3, 14, v8
	v_cmpx_ne_u32_e32 0, v3
	s_xor_b32 s10, exec_lo, s10
; %bb.19817:                            ;   in Loop: Header=BB6_16763 Depth=2
	v_cmp_lt_u64_e32 vcc_lo, 0xffffff, v[54:55]
	v_add_nc_u32_e32 v0, 15, v8
	s_delay_alu instid0(VALU_DEP_1) | instskip(SKIP_1) | instid1(VALU_DEP_1)
	v_cndmask_b32_e32 v2, v3, v0, vcc_lo
	v_cndmask_b32_e64 v0, 0, 1, vcc_lo
	v_lshrrev_b64 v[0:1], v0, v[54:55]
; %bb.19818:                            ;   in Loop: Header=BB6_16763 Depth=2
	s_and_not1_saveexec_b32 s10, s10
; %bb.19819:                            ;   in Loop: Header=BB6_16763 Depth=2
	v_mov_b64_e32 v[0:1], v[54:55]
	v_bfe_u32 v2, v54, 23, 1
; %bb.19820:                            ;   in Loop: Header=BB6_16763 Depth=2
	s_or_b32 exec_lo, exec_lo, s10
	s_delay_alu instid0(VALU_DEP_2) | instskip(NEXT) | instid1(VALU_DEP_2)
	v_lshrrev_b64 v[0:1], 21, v[0:1]
	v_cmp_gt_i32_e32 vcc_lo, 32, v2
	v_min_i32_e32 v3, 31, v2
	v_cmp_eq_u32_e64 s10, 0, v2
	s_delay_alu instid0(VALU_DEP_2) | instskip(SKIP_1) | instid1(VALU_DEP_2)
	v_dual_cndmask_b32 v1, 0, v1, vcc_lo :: v_dual_lshlrev_b32 v3, 2, v3
	v_cndmask_b32_e32 v0, 3, v0, vcc_lo
	v_and_b32_e32 v3, 0xfc, v3
	s_delay_alu instid0(VALU_DEP_2) | instskip(NEXT) | instid1(VALU_DEP_2)
	v_cmp_eq_u64_e32 vcc_lo, 0, v[0:1]
	v_and_or_b32 v0, v0, 3, v3
	s_and_b32 s10, s10, vcc_lo
	s_delay_alu instid0(VALU_DEP_1) | instid1(SALU_CYCLE_1)
	v_cndmask_b32_e64 v0, v0, 0, s10
	s_delay_alu instid0(VALU_DEP_1)
	v_or_b32_e32 v8, v0, v9
.LBB6_19821:                            ;   in Loop: Header=BB6_16763 Depth=2
	s_or_b32 exec_lo, exec_lo, s40
                                        ; implicit-def: $vgpr9
.LBB6_19822:                            ;   in Loop: Header=BB6_16763 Depth=2
	s_and_not1_saveexec_b32 s10, s29
; %bb.19823:                            ;   in Loop: Header=BB6_16763 Depth=2
	v_or_b32_e32 v8, 0x7b, v9
; %bb.19824:                            ;   in Loop: Header=BB6_16763 Depth=2
	s_or_b32 exec_lo, exec_lo, s10
                                        ; implicit-def: $vgpr0
                                        ; implicit-def: $vgpr1
.LBB6_19825:                            ;   in Loop: Header=BB6_16763 Depth=2
	s_and_not1_saveexec_b32 s10, s28
	s_cbranch_execz .LBB6_19831
; %bb.19826:                            ;   in Loop: Header=BB6_16763 Depth=2
	s_mov_b32 s28, exec_lo
                                        ; implicit-def: $vgpr8
	v_cmpx_ne_u64_e32 0, v[54:55]
	s_xor_b32 s28, exec_lo, s28
; %bb.19827:                            ;   in Loop: Header=BB6_16763 Depth=2
	v_or_b32_e32 v8, 0x7f, v1
                                        ; implicit-def: $vgpr0
; %bb.19828:                            ;   in Loop: Header=BB6_16763 Depth=2
	s_and_not1_saveexec_b32 s28, s28
; %bb.19829:                            ;   in Loop: Header=BB6_16763 Depth=2
	v_cmp_lt_i32_e32 vcc_lo, -1, v0
	v_cndmask_b32_e32 v8, 0xfc, v30, vcc_lo
; %bb.19830:                            ;   in Loop: Header=BB6_16763 Depth=2
	s_or_b32 exec_lo, exec_lo, s28
.LBB6_19831:                            ;   in Loop: Header=BB6_16763 Depth=2
	s_delay_alu instid0(SALU_CYCLE_1) | instskip(SKIP_2) | instid1(VALU_DEP_1)
	s_or_b32 exec_lo, exec_lo, s10
	v_dual_mov_b32 v1, 0 :: v_dual_lshrrev_b32 v0, 16, v11
	s_mov_b32 s28, exec_lo
	v_and_b32_e32 v2, 0xff, v0
	s_delay_alu instid0(VALU_DEP_1)
	v_cmpx_ne_u16_e32 0, v2
	s_cbranch_execz .LBB6_19841
; %bb.19832:                            ;   in Loop: Header=BB6_16763 Depth=2
	v_bfrev_b32_e32 v1, 1
	s_mov_b32 s29, exec_lo
	v_cmpx_ne_u16_e32 0x80, v2
	s_cbranch_execz .LBB6_19840
; %bb.19833:                            ;   in Loop: Header=BB6_16763 Depth=2
	v_and_b32_e32 v1, 0x7c0000, v11
	v_bfe_u32 v2, v11, 16, 2
	s_delay_alu instid0(VALU_DEP_2) | instskip(SKIP_1) | instid1(SALU_CYCLE_1)
	v_cmp_ne_u32_e32 vcc_lo, 0x7c0000, v1
                                        ; implicit-def: $vgpr1
	s_and_saveexec_b32 s10, vcc_lo
	s_xor_b32 s10, exec_lo, s10
	s_cbranch_execz .LBB6_19837
; %bb.19834:                            ;   in Loop: Header=BB6_16763 Depth=2
	v_bfe_u32 v1, v11, 18, 5
	s_mov_b32 s40, exec_lo
	s_delay_alu instid0(VALU_DEP_1)
	v_cmpx_eq_u32_e32 0, v1
; %bb.19835:                            ;   in Loop: Header=BB6_16763 Depth=2
	v_clz_i32_u32_e32 v1, v2
	s_delay_alu instid0(VALU_DEP_1) | instskip(NEXT) | instid1(VALU_DEP_1)
	v_min_u32_e32 v1, 32, v1
	v_subrev_nc_u32_e32 v2, 29, v1
	s_delay_alu instid0(VALU_DEP_1) | instskip(NEXT) | instid1(VALU_DEP_1)
	v_lshlrev_b64_e32 v[2:3], v2, v[0:1]
	v_dual_sub_nc_u32 v1, 30, v1 :: v_dual_bitop2_b32 v2, 3, v2 bitop3:0x40
; %bb.19836:                            ;   in Loop: Header=BB6_16763 Depth=2
	s_or_b32 exec_lo, exec_lo, s40
	v_lshlrev_b32_e32 v0, 24, v0
	s_delay_alu instid0(VALU_DEP_1) | instskip(NEXT) | instid1(VALU_DEP_1)
	v_and_b32_e32 v0, 0x80000000, v0
	v_lshl_add_u32 v0, v1, 23, v0
	s_delay_alu instid0(VALU_DEP_1) | instskip(NEXT) | instid1(VALU_DEP_1)
	v_lshl_or_b32 v0, v2, 21, v0
                                        ; implicit-def: $vgpr2
	v_add_nc_u32_e32 v1, 0x38000000, v0
                                        ; implicit-def: $vgpr0
.LBB6_19837:                            ;   in Loop: Header=BB6_16763 Depth=2
	s_and_not1_saveexec_b32 s40, s10
; %bb.19838:                            ;   in Loop: Header=BB6_16763 Depth=2
	v_bfe_i32 v0, v0, 0, 8
	v_cmp_eq_u32_e32 vcc_lo, 0, v2
	s_delay_alu instid0(VALU_DEP_2) | instskip(NEXT) | instid1(VALU_DEP_1)
	v_cmp_lt_i16_e64 s10, -1, v0
	v_cndmask_b32_e64 v0, 0xff800000, v29, s10
	s_delay_alu instid0(VALU_DEP_1)
	v_cndmask_b32_e32 v1, 0x7f800001, v0, vcc_lo
; %bb.19839:                            ;   in Loop: Header=BB6_16763 Depth=2
	s_or_b32 exec_lo, exec_lo, s40
.LBB6_19840:                            ;   in Loop: Header=BB6_16763 Depth=2
	s_delay_alu instid0(SALU_CYCLE_1)
	s_or_b32 exec_lo, exec_lo, s29
.LBB6_19841:                            ;   in Loop: Header=BB6_16763 Depth=2
	s_delay_alu instid0(SALU_CYCLE_1) | instskip(NEXT) | instid1(VALU_DEP_1)
	s_or_b32 exec_lo, exec_lo, s28
	v_dual_mul_f32 v0, s27, v1 :: v_dual_mov_b32 v3, v55
                                        ; implicit-def: $vgpr9
	s_mov_b32 s10, exec_lo
	s_delay_alu instid0(VALU_DEP_1) | instskip(SKIP_2) | instid1(VALU_DEP_3)
	v_and_b32_e32 v2, 0x7f800000, v0
	v_and_b32_e32 v54, 0x7fffff, v0
	v_lshrrev_b32_e32 v1, 24, v0
	v_cmpx_ne_u64_e32 0x7f800000, v[2:3]
	s_xor_b32 s28, exec_lo, s10
	s_cbranch_execz .LBB6_19855
; %bb.19842:                            ;   in Loop: Header=BB6_16763 Depth=2
	v_and_b32_e32 v2, 0x7fffffff, v0
	v_mov_b32_e32 v3, v55
	v_and_b32_e32 v32, 0x80, v1
                                        ; implicit-def: $vgpr9
	s_mov_b32 s10, exec_lo
	s_delay_alu instid0(VALU_DEP_2)
	v_cmpx_gt_u64_e32 0x47600001, v[2:3]
	s_xor_b32 s29, exec_lo, s10
	s_cbranch_execz .LBB6_19852
; %bb.19843:                            ;   in Loop: Header=BB6_16763 Depth=2
	v_mov_b32_e32 v9, 0
	s_mov_b32 s40, exec_lo
	v_cmpx_ne_u32_e32 0, v0
	s_cbranch_execz .LBB6_19851
; %bb.19844:                            ;   in Loop: Header=BB6_16763 Depth=2
	v_bfe_u32 v9, v0, 23, 8
	v_or_b32_e32 v1, 0x800000, v54
	s_delay_alu instid0(VALU_DEP_2) | instskip(SKIP_2) | instid1(VALU_DEP_2)
	v_cmp_gt_u32_e64 s10, 0x72, v9
	v_sub_nc_u32_e32 v0, 0x71, v9
	v_cmp_eq_u32_e32 vcc_lo, 0, v9
	v_cndmask_b32_e64 v0, 0, v0, s10
	s_delay_alu instid0(VALU_DEP_1) | instskip(SKIP_1) | instid1(VALU_DEP_2)
	v_cndmask_b32_e64 v33, v0, 0x70, vcc_lo
	v_dual_cndmask_b32 v0, v1, v54 :: v_dual_mov_b32 v1, v55
	v_dual_add_nc_u32 v2, 21, v33 :: v_dual_add_nc_u32 v34, 20, v33
	s_delay_alu instid0(VALU_DEP_1) | instskip(NEXT) | instid1(VALU_DEP_2)
	v_lshlrev_b64_e64 v[2:3], v2, -1
	v_lshlrev_b64_e64 v[34:35], v34, 1
	s_delay_alu instid0(VALU_DEP_2) | instskip(SKIP_1) | instid1(VALU_DEP_4)
	v_bfi_b32 v2, v2, 0, v0
	v_lshrrev_b64 v[0:1], v33, v[0:1]
	v_bfi_b32 v3, v3, 0, 0
	s_delay_alu instid0(VALU_DEP_1) | instskip(NEXT) | instid1(VALU_DEP_3)
	v_cmp_eq_u64_e64 s10, v[2:3], v[34:35]
	v_mov_b64_e32 v[2:3], v[0:1]
	s_and_saveexec_b32 s41, s10
; %bb.19845:                            ;   in Loop: Header=BB6_16763 Depth=2
	v_bfe_u32 v2, v0, 21, 1
	v_mov_b32_e32 v3, v55
	s_delay_alu instid0(VALU_DEP_1) | instskip(NEXT) | instid1(VALU_DEP_1)
	v_add_nc_u64_e32 v[2:3], v[0:1], v[2:3]
	v_add_nc_u64_e32 v[2:3], -1, v[2:3]
; %bb.19846:                            ;   in Loop: Header=BB6_16763 Depth=2
	s_or_b32 exec_lo, exec_lo, s41
	v_add_nc_u32_e32 v1, 0xffffff81, v9
	s_delay_alu instid0(VALU_DEP_2) | instskip(SKIP_2) | instid1(VALU_DEP_3)
	v_and_b32_e32 v2, 0x1fffff, v2
	v_lshrrev_b32_e32 v3, 23, v0
	s_mov_b32 s10, exec_lo
	v_cndmask_b32_e64 v1, v1, 0xffffff82, vcc_lo
	s_delay_alu instid0(VALU_DEP_3) | instskip(NEXT) | instid1(VALU_DEP_2)
	v_add_nc_u32_e32 v54, v2, v0
                                        ; implicit-def: $vgpr2
	v_add3_u32 v9, v33, v1, v3
                                        ; implicit-def: $vgpr0_vgpr1
	s_delay_alu instid0(VALU_DEP_1) | instskip(NEXT) | instid1(VALU_DEP_1)
	v_add_nc_u32_e32 v3, 14, v9
	v_cmpx_ne_u32_e32 0, v3
	s_xor_b32 s10, exec_lo, s10
; %bb.19847:                            ;   in Loop: Header=BB6_16763 Depth=2
	v_cmp_lt_u64_e32 vcc_lo, 0xffffff, v[54:55]
	v_add_nc_u32_e32 v0, 15, v9
	s_delay_alu instid0(VALU_DEP_1) | instskip(SKIP_1) | instid1(VALU_DEP_1)
	v_cndmask_b32_e32 v2, v3, v0, vcc_lo
	v_cndmask_b32_e64 v0, 0, 1, vcc_lo
	v_lshrrev_b64 v[0:1], v0, v[54:55]
; %bb.19848:                            ;   in Loop: Header=BB6_16763 Depth=2
	s_and_not1_saveexec_b32 s10, s10
; %bb.19849:                            ;   in Loop: Header=BB6_16763 Depth=2
	v_mov_b64_e32 v[0:1], v[54:55]
	v_bfe_u32 v2, v54, 23, 1
; %bb.19850:                            ;   in Loop: Header=BB6_16763 Depth=2
	s_or_b32 exec_lo, exec_lo, s10
	s_delay_alu instid0(VALU_DEP_2) | instskip(NEXT) | instid1(VALU_DEP_2)
	v_lshrrev_b64 v[0:1], 21, v[0:1]
	v_cmp_gt_i32_e32 vcc_lo, 32, v2
	v_min_i32_e32 v3, 31, v2
	v_cmp_eq_u32_e64 s10, 0, v2
	s_delay_alu instid0(VALU_DEP_2) | instskip(SKIP_1) | instid1(VALU_DEP_2)
	v_dual_cndmask_b32 v1, 0, v1, vcc_lo :: v_dual_lshlrev_b32 v3, 2, v3
	v_cndmask_b32_e32 v0, 3, v0, vcc_lo
	v_and_b32_e32 v3, 0xfc, v3
	s_delay_alu instid0(VALU_DEP_2) | instskip(NEXT) | instid1(VALU_DEP_2)
	v_cmp_eq_u64_e32 vcc_lo, 0, v[0:1]
	v_and_or_b32 v0, v0, 3, v3
	s_and_b32 s10, s10, vcc_lo
	s_delay_alu instid0(VALU_DEP_1) | instid1(SALU_CYCLE_1)
	v_cndmask_b32_e64 v0, v0, 0, s10
	s_delay_alu instid0(VALU_DEP_1)
	v_or_b32_e32 v9, v0, v32
.LBB6_19851:                            ;   in Loop: Header=BB6_16763 Depth=2
	s_or_b32 exec_lo, exec_lo, s40
                                        ; implicit-def: $vgpr32
.LBB6_19852:                            ;   in Loop: Header=BB6_16763 Depth=2
	s_and_not1_saveexec_b32 s10, s29
; %bb.19853:                            ;   in Loop: Header=BB6_16763 Depth=2
	v_or_b32_e32 v9, 0x7b, v32
; %bb.19854:                            ;   in Loop: Header=BB6_16763 Depth=2
	s_or_b32 exec_lo, exec_lo, s10
                                        ; implicit-def: $vgpr0
                                        ; implicit-def: $vgpr1
.LBB6_19855:                            ;   in Loop: Header=BB6_16763 Depth=2
	s_and_not1_saveexec_b32 s10, s28
	s_cbranch_execz .LBB6_19861
; %bb.19856:                            ;   in Loop: Header=BB6_16763 Depth=2
	s_mov_b32 s28, exec_lo
                                        ; implicit-def: $vgpr9
	v_cmpx_ne_u64_e32 0, v[54:55]
	s_xor_b32 s28, exec_lo, s28
; %bb.19857:                            ;   in Loop: Header=BB6_16763 Depth=2
	v_or_b32_e32 v9, 0x7f, v1
                                        ; implicit-def: $vgpr0
; %bb.19858:                            ;   in Loop: Header=BB6_16763 Depth=2
	s_and_not1_saveexec_b32 s28, s28
; %bb.19859:                            ;   in Loop: Header=BB6_16763 Depth=2
	v_cmp_lt_i32_e32 vcc_lo, -1, v0
	v_cndmask_b32_e32 v9, 0xfc, v30, vcc_lo
; %bb.19860:                            ;   in Loop: Header=BB6_16763 Depth=2
	s_or_b32 exec_lo, exec_lo, s28
.LBB6_19861:                            ;   in Loop: Header=BB6_16763 Depth=2
	s_delay_alu instid0(SALU_CYCLE_1)
	s_or_b32 exec_lo, exec_lo, s10
	v_mov_b32_e32 v1, 0
	s_mov_b32 s28, exec_lo
	v_cmpx_lt_u64_e64 s[12:13], v[10:11]
	s_cbranch_execz .LBB6_19871
; %bb.19862:                            ;   in Loop: Header=BB6_16763 Depth=2
	v_lshrrev_b32_e32 v0, 24, v11
	v_bfrev_b32_e32 v1, 1
	s_mov_b32 s29, exec_lo
	s_delay_alu instid0(VALU_DEP_2)
	v_cmpx_ne_u32_e32 0x80, v0
	s_cbranch_execz .LBB6_19870
; %bb.19863:                            ;   in Loop: Header=BB6_16763 Depth=2
	v_and_b32_e32 v1, 0x7c000000, v11
	v_bfe_u32 v2, v11, 24, 2
	s_delay_alu instid0(VALU_DEP_2) | instskip(SKIP_1) | instid1(SALU_CYCLE_1)
	v_cmp_ne_u32_e32 vcc_lo, 0x7c000000, v1
                                        ; implicit-def: $vgpr1
	s_and_saveexec_b32 s10, vcc_lo
	s_xor_b32 s10, exec_lo, s10
	s_cbranch_execz .LBB6_19867
; %bb.19864:                            ;   in Loop: Header=BB6_16763 Depth=2
	v_bfe_u32 v1, v11, 26, 5
	s_mov_b32 s40, exec_lo
	s_delay_alu instid0(VALU_DEP_1)
	v_cmpx_eq_u32_e32 0, v1
; %bb.19865:                            ;   in Loop: Header=BB6_16763 Depth=2
	v_clz_i32_u32_e32 v1, v2
	s_delay_alu instid0(VALU_DEP_1) | instskip(NEXT) | instid1(VALU_DEP_1)
	v_min_u32_e32 v2, 32, v1
	v_subrev_nc_u32_e32 v1, 29, v2
	s_delay_alu instid0(VALU_DEP_1) | instskip(NEXT) | instid1(VALU_DEP_1)
	v_lshlrev_b64_e32 v[0:1], v1, v[0:1]
	v_dual_sub_nc_u32 v1, 30, v2 :: v_dual_bitop2_b32 v2, 3, v0 bitop3:0x40
; %bb.19866:                            ;   in Loop: Header=BB6_16763 Depth=2
	s_or_b32 exec_lo, exec_lo, s40
	v_and_b32_e32 v0, 0x80000000, v11
	s_delay_alu instid0(VALU_DEP_1) | instskip(NEXT) | instid1(VALU_DEP_1)
	v_lshl_add_u32 v0, v1, 23, v0
	v_lshl_or_b32 v0, v2, 21, v0
                                        ; implicit-def: $vgpr2
	s_delay_alu instid0(VALU_DEP_1)
	v_add_nc_u32_e32 v1, 0x38000000, v0
.LBB6_19867:                            ;   in Loop: Header=BB6_16763 Depth=2
	s_and_not1_saveexec_b32 s40, s10
; %bb.19868:                            ;   in Loop: Header=BB6_16763 Depth=2
	v_cmp_lt_i64_e64 s10, -1, v[10:11]
	v_cmp_eq_u32_e32 vcc_lo, 0, v2
	s_delay_alu instid0(VALU_DEP_2) | instskip(NEXT) | instid1(VALU_DEP_1)
	v_cndmask_b32_e64 v0, 0xff800000, v29, s10
	v_cndmask_b32_e32 v1, 0x7f800001, v0, vcc_lo
; %bb.19869:                            ;   in Loop: Header=BB6_16763 Depth=2
	s_or_b32 exec_lo, exec_lo, s40
.LBB6_19870:                            ;   in Loop: Header=BB6_16763 Depth=2
	s_delay_alu instid0(SALU_CYCLE_1)
	s_or_b32 exec_lo, exec_lo, s29
.LBB6_19871:                            ;   in Loop: Header=BB6_16763 Depth=2
	s_delay_alu instid0(SALU_CYCLE_1) | instskip(NEXT) | instid1(VALU_DEP_1)
	s_or_b32 exec_lo, exec_lo, s28
	v_dual_mul_f32 v0, s27, v1 :: v_dual_mov_b32 v3, v55
                                        ; implicit-def: $vgpr96
	s_mov_b32 s10, exec_lo
	s_delay_alu instid0(VALU_DEP_1) | instskip(SKIP_2) | instid1(VALU_DEP_3)
	v_and_b32_e32 v2, 0x7f800000, v0
	v_and_b32_e32 v54, 0x7fffff, v0
	v_lshrrev_b32_e32 v1, 24, v0
	v_cmpx_ne_u64_e32 0x7f800000, v[2:3]
	s_xor_b32 s28, exec_lo, s10
	s_cbranch_execz .LBB6_19885
; %bb.19872:                            ;   in Loop: Header=BB6_16763 Depth=2
	v_and_b32_e32 v2, 0x7fffffff, v0
	v_mov_b32_e32 v3, v55
	v_and_b32_e32 v10, 0x80, v1
                                        ; implicit-def: $vgpr96
	s_mov_b32 s10, exec_lo
	s_delay_alu instid0(VALU_DEP_2)
	v_cmpx_gt_u64_e32 0x47600001, v[2:3]
	s_xor_b32 s29, exec_lo, s10
	s_cbranch_execz .LBB6_19882
; %bb.19873:                            ;   in Loop: Header=BB6_16763 Depth=2
	v_mov_b32_e32 v96, 0
	s_mov_b32 s40, exec_lo
	v_cmpx_ne_u32_e32 0, v0
	s_cbranch_execz .LBB6_19881
; %bb.19874:                            ;   in Loop: Header=BB6_16763 Depth=2
	v_bfe_u32 v11, v0, 23, 8
	v_or_b32_e32 v1, 0x800000, v54
	s_delay_alu instid0(VALU_DEP_2) | instskip(SKIP_2) | instid1(VALU_DEP_2)
	v_cmp_gt_u32_e64 s10, 0x72, v11
	v_sub_nc_u32_e32 v0, 0x71, v11
	v_cmp_eq_u32_e32 vcc_lo, 0, v11
	v_cndmask_b32_e64 v0, 0, v0, s10
	s_delay_alu instid0(VALU_DEP_1) | instskip(SKIP_1) | instid1(VALU_DEP_2)
	v_cndmask_b32_e64 v32, v0, 0x70, vcc_lo
	v_dual_cndmask_b32 v0, v1, v54 :: v_dual_mov_b32 v1, v55
	v_dual_add_nc_u32 v2, 21, v32 :: v_dual_add_nc_u32 v33, 20, v32
	s_delay_alu instid0(VALU_DEP_1) | instskip(NEXT) | instid1(VALU_DEP_2)
	v_lshlrev_b64_e64 v[2:3], v2, -1
	v_lshlrev_b64_e64 v[34:35], v33, 1
	s_delay_alu instid0(VALU_DEP_2) | instskip(SKIP_1) | instid1(VALU_DEP_4)
	v_bfi_b32 v2, v2, 0, v0
	v_lshrrev_b64 v[0:1], v32, v[0:1]
	v_bfi_b32 v3, v3, 0, 0
	s_delay_alu instid0(VALU_DEP_1) | instskip(NEXT) | instid1(VALU_DEP_3)
	v_cmp_eq_u64_e64 s10, v[2:3], v[34:35]
	v_mov_b64_e32 v[2:3], v[0:1]
	s_and_saveexec_b32 s41, s10
; %bb.19875:                            ;   in Loop: Header=BB6_16763 Depth=2
	v_bfe_u32 v2, v0, 21, 1
	v_mov_b32_e32 v3, v55
	s_delay_alu instid0(VALU_DEP_1) | instskip(NEXT) | instid1(VALU_DEP_1)
	v_add_nc_u64_e32 v[2:3], v[0:1], v[2:3]
	v_add_nc_u64_e32 v[2:3], -1, v[2:3]
; %bb.19876:                            ;   in Loop: Header=BB6_16763 Depth=2
	s_or_b32 exec_lo, exec_lo, s41
	v_add_nc_u32_e32 v1, 0xffffff81, v11
	s_delay_alu instid0(VALU_DEP_2) | instskip(SKIP_2) | instid1(VALU_DEP_3)
	v_and_b32_e32 v2, 0x1fffff, v2
	v_lshrrev_b32_e32 v3, 23, v0
	s_mov_b32 s10, exec_lo
	v_cndmask_b32_e64 v1, v1, 0xffffff82, vcc_lo
	s_delay_alu instid0(VALU_DEP_3) | instskip(NEXT) | instid1(VALU_DEP_2)
	v_add_nc_u32_e32 v54, v2, v0
                                        ; implicit-def: $vgpr2
	v_add3_u32 v11, v32, v1, v3
                                        ; implicit-def: $vgpr0_vgpr1
	s_delay_alu instid0(VALU_DEP_1) | instskip(NEXT) | instid1(VALU_DEP_1)
	v_add_nc_u32_e32 v3, 14, v11
	v_cmpx_ne_u32_e32 0, v3
	s_xor_b32 s10, exec_lo, s10
; %bb.19877:                            ;   in Loop: Header=BB6_16763 Depth=2
	v_cmp_lt_u64_e32 vcc_lo, 0xffffff, v[54:55]
	v_add_nc_u32_e32 v0, 15, v11
	s_delay_alu instid0(VALU_DEP_1) | instskip(SKIP_1) | instid1(VALU_DEP_1)
	v_cndmask_b32_e32 v2, v3, v0, vcc_lo
	v_cndmask_b32_e64 v0, 0, 1, vcc_lo
	v_lshrrev_b64 v[0:1], v0, v[54:55]
; %bb.19878:                            ;   in Loop: Header=BB6_16763 Depth=2
	s_and_not1_saveexec_b32 s10, s10
; %bb.19879:                            ;   in Loop: Header=BB6_16763 Depth=2
	v_mov_b64_e32 v[0:1], v[54:55]
	v_bfe_u32 v2, v54, 23, 1
; %bb.19880:                            ;   in Loop: Header=BB6_16763 Depth=2
	s_or_b32 exec_lo, exec_lo, s10
	s_delay_alu instid0(VALU_DEP_2) | instskip(NEXT) | instid1(VALU_DEP_2)
	v_lshrrev_b64 v[0:1], 21, v[0:1]
	v_cmp_gt_i32_e32 vcc_lo, 32, v2
	v_min_i32_e32 v3, 31, v2
	v_cmp_eq_u32_e64 s10, 0, v2
	s_delay_alu instid0(VALU_DEP_2) | instskip(SKIP_1) | instid1(VALU_DEP_2)
	v_dual_cndmask_b32 v1, 0, v1, vcc_lo :: v_dual_lshlrev_b32 v3, 2, v3
	v_cndmask_b32_e32 v0, 3, v0, vcc_lo
	v_and_b32_e32 v3, 0xfc, v3
	s_delay_alu instid0(VALU_DEP_2) | instskip(NEXT) | instid1(VALU_DEP_2)
	v_cmp_eq_u64_e32 vcc_lo, 0, v[0:1]
	v_and_or_b32 v0, v0, 3, v3
	s_and_b32 s10, s10, vcc_lo
	s_delay_alu instid0(VALU_DEP_1) | instid1(SALU_CYCLE_1)
	v_cndmask_b32_e64 v0, v0, 0, s10
	s_delay_alu instid0(VALU_DEP_1)
	v_or_b32_e32 v96, v0, v10
.LBB6_19881:                            ;   in Loop: Header=BB6_16763 Depth=2
	s_or_b32 exec_lo, exec_lo, s40
                                        ; implicit-def: $vgpr10
.LBB6_19882:                            ;   in Loop: Header=BB6_16763 Depth=2
	s_and_not1_saveexec_b32 s10, s29
; %bb.19883:                            ;   in Loop: Header=BB6_16763 Depth=2
	v_or_b32_e32 v96, 0x7b, v10
; %bb.19884:                            ;   in Loop: Header=BB6_16763 Depth=2
	s_or_b32 exec_lo, exec_lo, s10
                                        ; implicit-def: $vgpr0
                                        ; implicit-def: $vgpr1
.LBB6_19885:                            ;   in Loop: Header=BB6_16763 Depth=2
	s_and_not1_saveexec_b32 s10, s28
	s_cbranch_execz .LBB6_19891
; %bb.19886:                            ;   in Loop: Header=BB6_16763 Depth=2
	s_mov_b32 s28, exec_lo
                                        ; implicit-def: $vgpr96
	v_cmpx_ne_u64_e32 0, v[54:55]
	s_xor_b32 s28, exec_lo, s28
; %bb.19887:                            ;   in Loop: Header=BB6_16763 Depth=2
	v_or_b32_e32 v96, 0x7f, v1
                                        ; implicit-def: $vgpr0
; %bb.19888:                            ;   in Loop: Header=BB6_16763 Depth=2
	s_and_not1_saveexec_b32 s28, s28
; %bb.19889:                            ;   in Loop: Header=BB6_16763 Depth=2
	v_cmp_lt_i32_e32 vcc_lo, -1, v0
	v_cndmask_b32_e32 v96, 0xfc, v30, vcc_lo
; %bb.19890:                            ;   in Loop: Header=BB6_16763 Depth=2
	s_or_b32 exec_lo, exec_lo, s28
.LBB6_19891:                            ;   in Loop: Header=BB6_16763 Depth=2
	s_delay_alu instid0(SALU_CYCLE_1) | instskip(SKIP_1) | instid1(VALU_DEP_1)
	s_or_b32 exec_lo, exec_lo, s10
	v_and_b32_e32 v0, 0xff, v12
	v_cmp_ne_u16_e32 vcc_lo, 0, v0
	v_mov_b32_e32 v0, 0
	s_and_saveexec_b32 s28, vcc_lo
	s_cbranch_execz .LBB6_19901
; %bb.19892:                            ;   in Loop: Header=BB6_16763 Depth=2
	v_bfe_i32 v2, v12, 0, 8
	v_bfrev_b32_e32 v0, 1
	s_mov_b32 s29, exec_lo
	s_delay_alu instid0(VALU_DEP_2)
	v_cmpx_ne_u16_e32 0xff80, v2
	s_cbranch_execz .LBB6_19900
; %bb.19893:                            ;   in Loop: Header=BB6_16763 Depth=2
	v_and_b32_e32 v0, 0x7c, v12
	v_and_b32_e32 v1, 3, v12
	s_delay_alu instid0(VALU_DEP_2) | instskip(SKIP_1) | instid1(SALU_CYCLE_1)
	v_cmp_ne_u32_e32 vcc_lo, 0x7c, v0
                                        ; implicit-def: $vgpr0
	s_and_saveexec_b32 s10, vcc_lo
	s_xor_b32 s10, exec_lo, s10
	s_cbranch_execz .LBB6_19897
; %bb.19894:                            ;   in Loop: Header=BB6_16763 Depth=2
	v_bfe_u32 v0, v12, 2, 5
	s_mov_b32 s40, exec_lo
	s_delay_alu instid0(VALU_DEP_1)
	v_cmpx_eq_u32_e32 0, v0
; %bb.19895:                            ;   in Loop: Header=BB6_16763 Depth=2
	v_clz_i32_u32_e32 v0, v1
	s_delay_alu instid0(VALU_DEP_1) | instskip(NEXT) | instid1(VALU_DEP_1)
	v_min_u32_e32 v0, 32, v0
	v_subrev_nc_u32_e32 v1, 29, v0
	s_delay_alu instid0(VALU_DEP_1) | instskip(NEXT) | instid1(VALU_DEP_1)
	v_lshlrev_b64_e32 v[2:3], v1, v[12:13]
	v_dual_sub_nc_u32 v0, 30, v0 :: v_dual_bitop2_b32 v1, 3, v2 bitop3:0x40
; %bb.19896:                            ;   in Loop: Header=BB6_16763 Depth=2
	s_or_b32 exec_lo, exec_lo, s40
	v_lshlrev_b32_e32 v2, 24, v12
	s_delay_alu instid0(VALU_DEP_1) | instskip(NEXT) | instid1(VALU_DEP_1)
	v_and_b32_e32 v2, 0x80000000, v2
	v_lshl_add_u32 v0, v0, 23, v2
                                        ; implicit-def: $vgpr2
	s_delay_alu instid0(VALU_DEP_1) | instskip(NEXT) | instid1(VALU_DEP_1)
	v_lshl_or_b32 v0, v1, 21, v0
                                        ; implicit-def: $vgpr1
	v_add_nc_u32_e32 v0, 0x38000000, v0
.LBB6_19897:                            ;   in Loop: Header=BB6_16763 Depth=2
	s_and_not1_saveexec_b32 s40, s10
; %bb.19898:                            ;   in Loop: Header=BB6_16763 Depth=2
	v_cmp_lt_i16_e64 s10, -1, v2
	v_cmp_eq_u32_e32 vcc_lo, 0, v1
	s_delay_alu instid0(VALU_DEP_2) | instskip(NEXT) | instid1(VALU_DEP_1)
	v_cndmask_b32_e64 v0, 0xff800000, v29, s10
	v_cndmask_b32_e32 v0, 0x7f800001, v0, vcc_lo
; %bb.19899:                            ;   in Loop: Header=BB6_16763 Depth=2
	s_or_b32 exec_lo, exec_lo, s40
.LBB6_19900:                            ;   in Loop: Header=BB6_16763 Depth=2
	s_delay_alu instid0(SALU_CYCLE_1)
	s_or_b32 exec_lo, exec_lo, s29
.LBB6_19901:                            ;   in Loop: Header=BB6_16763 Depth=2
	s_delay_alu instid0(SALU_CYCLE_1) | instskip(NEXT) | instid1(VALU_DEP_1)
	s_or_b32 exec_lo, exec_lo, s28
	v_dual_mul_f32 v0, s27, v0 :: v_dual_mov_b32 v3, v55
                                        ; implicit-def: $vgpr32
	s_mov_b32 s10, exec_lo
	s_delay_alu instid0(VALU_DEP_1) | instskip(SKIP_2) | instid1(VALU_DEP_3)
	v_and_b32_e32 v2, 0x7f800000, v0
	v_and_b32_e32 v54, 0x7fffff, v0
	v_lshrrev_b32_e32 v1, 24, v0
	v_cmpx_ne_u64_e32 0x7f800000, v[2:3]
	s_xor_b32 s28, exec_lo, s10
	s_cbranch_execz .LBB6_19915
; %bb.19902:                            ;   in Loop: Header=BB6_16763 Depth=2
	v_and_b32_e32 v2, 0x7fffffff, v0
	v_mov_b32_e32 v3, v55
	v_and_b32_e32 v10, 0x80, v1
                                        ; implicit-def: $vgpr32
	s_mov_b32 s10, exec_lo
	s_delay_alu instid0(VALU_DEP_2)
	v_cmpx_gt_u64_e32 0x47600001, v[2:3]
	s_xor_b32 s29, exec_lo, s10
	s_cbranch_execz .LBB6_19912
; %bb.19903:                            ;   in Loop: Header=BB6_16763 Depth=2
	v_mov_b32_e32 v32, 0
	s_mov_b32 s40, exec_lo
	v_cmpx_ne_u32_e32 0, v0
	s_cbranch_execz .LBB6_19911
; %bb.19904:                            ;   in Loop: Header=BB6_16763 Depth=2
	v_bfe_u32 v11, v0, 23, 8
	v_or_b32_e32 v1, 0x800000, v54
	s_delay_alu instid0(VALU_DEP_2) | instskip(SKIP_2) | instid1(VALU_DEP_2)
	v_cmp_gt_u32_e64 s10, 0x72, v11
	v_sub_nc_u32_e32 v0, 0x71, v11
	v_cmp_eq_u32_e32 vcc_lo, 0, v11
	v_cndmask_b32_e64 v0, 0, v0, s10
	s_delay_alu instid0(VALU_DEP_1) | instskip(SKIP_1) | instid1(VALU_DEP_2)
	v_cndmask_b32_e64 v32, v0, 0x70, vcc_lo
	v_dual_cndmask_b32 v0, v1, v54 :: v_dual_mov_b32 v1, v55
	v_dual_add_nc_u32 v2, 21, v32 :: v_dual_add_nc_u32 v33, 20, v32
	s_delay_alu instid0(VALU_DEP_1) | instskip(NEXT) | instid1(VALU_DEP_2)
	v_lshlrev_b64_e64 v[2:3], v2, -1
	v_lshlrev_b64_e64 v[34:35], v33, 1
	s_delay_alu instid0(VALU_DEP_2) | instskip(SKIP_1) | instid1(VALU_DEP_4)
	v_bfi_b32 v2, v2, 0, v0
	v_lshrrev_b64 v[0:1], v32, v[0:1]
	v_bfi_b32 v3, v3, 0, 0
	s_delay_alu instid0(VALU_DEP_1) | instskip(NEXT) | instid1(VALU_DEP_3)
	v_cmp_eq_u64_e64 s10, v[2:3], v[34:35]
	v_mov_b64_e32 v[2:3], v[0:1]
	s_and_saveexec_b32 s41, s10
; %bb.19905:                            ;   in Loop: Header=BB6_16763 Depth=2
	v_bfe_u32 v2, v0, 21, 1
	v_mov_b32_e32 v3, v55
	s_delay_alu instid0(VALU_DEP_1) | instskip(NEXT) | instid1(VALU_DEP_1)
	v_add_nc_u64_e32 v[2:3], v[0:1], v[2:3]
	v_add_nc_u64_e32 v[2:3], -1, v[2:3]
; %bb.19906:                            ;   in Loop: Header=BB6_16763 Depth=2
	s_or_b32 exec_lo, exec_lo, s41
	v_add_nc_u32_e32 v1, 0xffffff81, v11
	s_delay_alu instid0(VALU_DEP_2) | instskip(SKIP_2) | instid1(VALU_DEP_3)
	v_and_b32_e32 v2, 0x1fffff, v2
	v_lshrrev_b32_e32 v3, 23, v0
	s_mov_b32 s10, exec_lo
	v_cndmask_b32_e64 v1, v1, 0xffffff82, vcc_lo
	s_delay_alu instid0(VALU_DEP_3) | instskip(NEXT) | instid1(VALU_DEP_2)
	v_add_nc_u32_e32 v54, v2, v0
                                        ; implicit-def: $vgpr2
	v_add3_u32 v11, v32, v1, v3
                                        ; implicit-def: $vgpr0_vgpr1
	s_delay_alu instid0(VALU_DEP_1) | instskip(NEXT) | instid1(VALU_DEP_1)
	v_add_nc_u32_e32 v3, 14, v11
	v_cmpx_ne_u32_e32 0, v3
	s_xor_b32 s10, exec_lo, s10
; %bb.19907:                            ;   in Loop: Header=BB6_16763 Depth=2
	v_cmp_lt_u64_e32 vcc_lo, 0xffffff, v[54:55]
	v_add_nc_u32_e32 v0, 15, v11
	s_delay_alu instid0(VALU_DEP_1) | instskip(SKIP_1) | instid1(VALU_DEP_1)
	v_cndmask_b32_e32 v2, v3, v0, vcc_lo
	v_cndmask_b32_e64 v0, 0, 1, vcc_lo
	v_lshrrev_b64 v[0:1], v0, v[54:55]
; %bb.19908:                            ;   in Loop: Header=BB6_16763 Depth=2
	s_and_not1_saveexec_b32 s10, s10
; %bb.19909:                            ;   in Loop: Header=BB6_16763 Depth=2
	v_mov_b64_e32 v[0:1], v[54:55]
	v_bfe_u32 v2, v54, 23, 1
; %bb.19910:                            ;   in Loop: Header=BB6_16763 Depth=2
	s_or_b32 exec_lo, exec_lo, s10
	s_delay_alu instid0(VALU_DEP_2) | instskip(NEXT) | instid1(VALU_DEP_2)
	v_lshrrev_b64 v[0:1], 21, v[0:1]
	v_cmp_gt_i32_e32 vcc_lo, 32, v2
	v_min_i32_e32 v3, 31, v2
	v_cmp_eq_u32_e64 s10, 0, v2
	s_delay_alu instid0(VALU_DEP_2) | instskip(SKIP_1) | instid1(VALU_DEP_2)
	v_dual_cndmask_b32 v1, 0, v1, vcc_lo :: v_dual_lshlrev_b32 v3, 2, v3
	v_cndmask_b32_e32 v0, 3, v0, vcc_lo
	v_and_b32_e32 v3, 0xfc, v3
	s_delay_alu instid0(VALU_DEP_2) | instskip(NEXT) | instid1(VALU_DEP_2)
	v_cmp_eq_u64_e32 vcc_lo, 0, v[0:1]
	v_and_or_b32 v0, v0, 3, v3
	s_and_b32 s10, s10, vcc_lo
	s_delay_alu instid0(VALU_DEP_1) | instid1(SALU_CYCLE_1)
	v_cndmask_b32_e64 v0, v0, 0, s10
	s_delay_alu instid0(VALU_DEP_1)
	v_or_b32_e32 v32, v0, v10
.LBB6_19911:                            ;   in Loop: Header=BB6_16763 Depth=2
	s_or_b32 exec_lo, exec_lo, s40
                                        ; implicit-def: $vgpr10
.LBB6_19912:                            ;   in Loop: Header=BB6_16763 Depth=2
	s_and_not1_saveexec_b32 s10, s29
; %bb.19913:                            ;   in Loop: Header=BB6_16763 Depth=2
	v_or_b32_e32 v32, 0x7b, v10
; %bb.19914:                            ;   in Loop: Header=BB6_16763 Depth=2
	s_or_b32 exec_lo, exec_lo, s10
                                        ; implicit-def: $vgpr0
                                        ; implicit-def: $vgpr1
.LBB6_19915:                            ;   in Loop: Header=BB6_16763 Depth=2
	s_and_not1_saveexec_b32 s10, s28
	s_cbranch_execz .LBB6_19921
; %bb.19916:                            ;   in Loop: Header=BB6_16763 Depth=2
	s_mov_b32 s28, exec_lo
                                        ; implicit-def: $vgpr32
	v_cmpx_ne_u64_e32 0, v[54:55]
	s_xor_b32 s28, exec_lo, s28
; %bb.19917:                            ;   in Loop: Header=BB6_16763 Depth=2
	v_or_b32_e32 v32, 0x7f, v1
                                        ; implicit-def: $vgpr0
; %bb.19918:                            ;   in Loop: Header=BB6_16763 Depth=2
	s_and_not1_saveexec_b32 s28, s28
; %bb.19919:                            ;   in Loop: Header=BB6_16763 Depth=2
	v_cmp_lt_i32_e32 vcc_lo, -1, v0
	v_cndmask_b32_e32 v32, 0xfc, v30, vcc_lo
; %bb.19920:                            ;   in Loop: Header=BB6_16763 Depth=2
	s_or_b32 exec_lo, exec_lo, s28
.LBB6_19921:                            ;   in Loop: Header=BB6_16763 Depth=2
	s_delay_alu instid0(SALU_CYCLE_1) | instskip(SKIP_3) | instid1(VALU_DEP_2)
	s_or_b32 exec_lo, exec_lo, s10
	v_lshrrev_b16 v0, 8, v12
	v_mov_b32_e32 v1, 0
	s_mov_b32 s28, exec_lo
	v_cmpx_ne_u16_e32 0, v0
	s_cbranch_execz .LBB6_19931
; %bb.19922:                            ;   in Loop: Header=BB6_16763 Depth=2
	v_bfrev_b32_e32 v1, 1
	s_mov_b32 s29, exec_lo
	v_cmpx_ne_u16_e32 0x80, v0
	s_cbranch_execz .LBB6_19930
; %bb.19923:                            ;   in Loop: Header=BB6_16763 Depth=2
	v_and_b32_e32 v3, 0xffff, v0
	s_delay_alu instid0(VALU_DEP_1) | instskip(SKIP_1) | instid1(VALU_DEP_2)
	v_and_b32_e32 v1, 0x7c, v3
	v_and_b32_e32 v2, 3, v3
	v_cmp_ne_u32_e32 vcc_lo, 0x7c, v1
                                        ; implicit-def: $vgpr1
	s_and_saveexec_b32 s10, vcc_lo
	s_delay_alu instid0(SALU_CYCLE_1)
	s_xor_b32 s10, exec_lo, s10
	s_cbranch_execz .LBB6_19927
; %bb.19924:                            ;   in Loop: Header=BB6_16763 Depth=2
	v_bfe_u32 v1, v3, 2, 5
	s_mov_b32 s40, exec_lo
	s_delay_alu instid0(VALU_DEP_1)
	v_cmpx_eq_u32_e32 0, v1
; %bb.19925:                            ;   in Loop: Header=BB6_16763 Depth=2
	v_clz_i32_u32_e32 v1, v2
	s_delay_alu instid0(VALU_DEP_1) | instskip(SKIP_1) | instid1(VALU_DEP_2)
	v_min_u32_e32 v2, 32, v1
	v_mov_b32_e32 v1, v55
	v_subrev_nc_u32_e32 v3, 29, v2
	s_delay_alu instid0(VALU_DEP_1) | instskip(NEXT) | instid1(VALU_DEP_1)
	v_lshlrev_b64_e32 v[0:1], v3, v[0:1]
	v_dual_sub_nc_u32 v1, 30, v2 :: v_dual_bitop2_b32 v2, 3, v0 bitop3:0x40
; %bb.19926:                            ;   in Loop: Header=BB6_16763 Depth=2
	s_or_b32 exec_lo, exec_lo, s40
	v_lshlrev_b32_e32 v0, 16, v12
	s_delay_alu instid0(VALU_DEP_1) | instskip(NEXT) | instid1(VALU_DEP_1)
	v_and_b32_e32 v0, 0x80000000, v0
	v_lshl_add_u32 v0, v1, 23, v0
	s_delay_alu instid0(VALU_DEP_1) | instskip(NEXT) | instid1(VALU_DEP_1)
	v_lshl_or_b32 v0, v2, 21, v0
                                        ; implicit-def: $vgpr2
	v_add_nc_u32_e32 v1, 0x38000000, v0
.LBB6_19927:                            ;   in Loop: Header=BB6_16763 Depth=2
	s_and_not1_saveexec_b32 s40, s10
; %bb.19928:                            ;   in Loop: Header=BB6_16763 Depth=2
	v_cmp_lt_i16_e64 s10, -1, v12
	v_cmp_eq_u32_e32 vcc_lo, 0, v2
	s_delay_alu instid0(VALU_DEP_2) | instskip(NEXT) | instid1(VALU_DEP_1)
	v_cndmask_b32_e64 v0, 0xff800000, v29, s10
	v_cndmask_b32_e32 v1, 0x7f800001, v0, vcc_lo
; %bb.19929:                            ;   in Loop: Header=BB6_16763 Depth=2
	s_or_b32 exec_lo, exec_lo, s40
.LBB6_19930:                            ;   in Loop: Header=BB6_16763 Depth=2
	s_delay_alu instid0(SALU_CYCLE_1)
	s_or_b32 exec_lo, exec_lo, s29
.LBB6_19931:                            ;   in Loop: Header=BB6_16763 Depth=2
	s_delay_alu instid0(SALU_CYCLE_1) | instskip(NEXT) | instid1(VALU_DEP_1)
	s_or_b32 exec_lo, exec_lo, s28
	v_dual_mul_f32 v0, s27, v1 :: v_dual_mov_b32 v3, v55
                                        ; implicit-def: $vgpr33
	s_mov_b32 s10, exec_lo
	s_delay_alu instid0(VALU_DEP_1) | instskip(SKIP_2) | instid1(VALU_DEP_3)
	v_and_b32_e32 v2, 0x7f800000, v0
	v_and_b32_e32 v54, 0x7fffff, v0
	v_lshrrev_b32_e32 v1, 24, v0
	v_cmpx_ne_u64_e32 0x7f800000, v[2:3]
	s_xor_b32 s28, exec_lo, s10
	s_cbranch_execz .LBB6_19945
; %bb.19932:                            ;   in Loop: Header=BB6_16763 Depth=2
	v_and_b32_e32 v2, 0x7fffffff, v0
	v_mov_b32_e32 v3, v55
	v_and_b32_e32 v10, 0x80, v1
                                        ; implicit-def: $vgpr33
	s_mov_b32 s10, exec_lo
	s_delay_alu instid0(VALU_DEP_2)
	v_cmpx_gt_u64_e32 0x47600001, v[2:3]
	s_xor_b32 s29, exec_lo, s10
	s_cbranch_execz .LBB6_19942
; %bb.19933:                            ;   in Loop: Header=BB6_16763 Depth=2
	v_mov_b32_e32 v33, 0
	s_mov_b32 s40, exec_lo
	v_cmpx_ne_u32_e32 0, v0
	s_cbranch_execz .LBB6_19941
; %bb.19934:                            ;   in Loop: Header=BB6_16763 Depth=2
	v_bfe_u32 v11, v0, 23, 8
	v_or_b32_e32 v1, 0x800000, v54
	s_delay_alu instid0(VALU_DEP_2) | instskip(SKIP_2) | instid1(VALU_DEP_2)
	v_cmp_gt_u32_e64 s10, 0x72, v11
	v_sub_nc_u32_e32 v0, 0x71, v11
	v_cmp_eq_u32_e32 vcc_lo, 0, v11
	v_cndmask_b32_e64 v0, 0, v0, s10
	s_delay_alu instid0(VALU_DEP_1) | instskip(SKIP_1) | instid1(VALU_DEP_2)
	v_cndmask_b32_e64 v33, v0, 0x70, vcc_lo
	v_dual_cndmask_b32 v0, v1, v54 :: v_dual_mov_b32 v1, v55
	v_dual_add_nc_u32 v2, 21, v33 :: v_dual_add_nc_u32 v34, 20, v33
	s_delay_alu instid0(VALU_DEP_1) | instskip(NEXT) | instid1(VALU_DEP_2)
	v_lshlrev_b64_e64 v[2:3], v2, -1
	v_lshlrev_b64_e64 v[34:35], v34, 1
	s_delay_alu instid0(VALU_DEP_2) | instskip(SKIP_1) | instid1(VALU_DEP_4)
	v_bfi_b32 v2, v2, 0, v0
	v_lshrrev_b64 v[0:1], v33, v[0:1]
	v_bfi_b32 v3, v3, 0, 0
	s_delay_alu instid0(VALU_DEP_1) | instskip(NEXT) | instid1(VALU_DEP_3)
	v_cmp_eq_u64_e64 s10, v[2:3], v[34:35]
	v_mov_b64_e32 v[2:3], v[0:1]
	s_and_saveexec_b32 s41, s10
; %bb.19935:                            ;   in Loop: Header=BB6_16763 Depth=2
	v_bfe_u32 v2, v0, 21, 1
	v_mov_b32_e32 v3, v55
	s_delay_alu instid0(VALU_DEP_1) | instskip(NEXT) | instid1(VALU_DEP_1)
	v_add_nc_u64_e32 v[2:3], v[0:1], v[2:3]
	v_add_nc_u64_e32 v[2:3], -1, v[2:3]
; %bb.19936:                            ;   in Loop: Header=BB6_16763 Depth=2
	s_or_b32 exec_lo, exec_lo, s41
	v_add_nc_u32_e32 v1, 0xffffff81, v11
	s_delay_alu instid0(VALU_DEP_2) | instskip(SKIP_2) | instid1(VALU_DEP_3)
	v_and_b32_e32 v2, 0x1fffff, v2
	v_lshrrev_b32_e32 v3, 23, v0
	s_mov_b32 s10, exec_lo
	v_cndmask_b32_e64 v1, v1, 0xffffff82, vcc_lo
	s_delay_alu instid0(VALU_DEP_3) | instskip(NEXT) | instid1(VALU_DEP_2)
	v_add_nc_u32_e32 v54, v2, v0
                                        ; implicit-def: $vgpr2
	v_add3_u32 v11, v33, v1, v3
                                        ; implicit-def: $vgpr0_vgpr1
	s_delay_alu instid0(VALU_DEP_1) | instskip(NEXT) | instid1(VALU_DEP_1)
	v_add_nc_u32_e32 v3, 14, v11
	v_cmpx_ne_u32_e32 0, v3
	s_xor_b32 s10, exec_lo, s10
; %bb.19937:                            ;   in Loop: Header=BB6_16763 Depth=2
	v_cmp_lt_u64_e32 vcc_lo, 0xffffff, v[54:55]
	v_add_nc_u32_e32 v0, 15, v11
	s_delay_alu instid0(VALU_DEP_1) | instskip(SKIP_1) | instid1(VALU_DEP_1)
	v_cndmask_b32_e32 v2, v3, v0, vcc_lo
	v_cndmask_b32_e64 v0, 0, 1, vcc_lo
	v_lshrrev_b64 v[0:1], v0, v[54:55]
; %bb.19938:                            ;   in Loop: Header=BB6_16763 Depth=2
	s_and_not1_saveexec_b32 s10, s10
; %bb.19939:                            ;   in Loop: Header=BB6_16763 Depth=2
	v_mov_b64_e32 v[0:1], v[54:55]
	v_bfe_u32 v2, v54, 23, 1
; %bb.19940:                            ;   in Loop: Header=BB6_16763 Depth=2
	s_or_b32 exec_lo, exec_lo, s10
	s_delay_alu instid0(VALU_DEP_2) | instskip(NEXT) | instid1(VALU_DEP_2)
	v_lshrrev_b64 v[0:1], 21, v[0:1]
	v_cmp_gt_i32_e32 vcc_lo, 32, v2
	v_min_i32_e32 v3, 31, v2
	v_cmp_eq_u32_e64 s10, 0, v2
	s_delay_alu instid0(VALU_DEP_2) | instskip(SKIP_1) | instid1(VALU_DEP_2)
	v_dual_cndmask_b32 v1, 0, v1, vcc_lo :: v_dual_lshlrev_b32 v3, 2, v3
	v_cndmask_b32_e32 v0, 3, v0, vcc_lo
	v_and_b32_e32 v3, 0xfc, v3
	s_delay_alu instid0(VALU_DEP_2) | instskip(NEXT) | instid1(VALU_DEP_2)
	v_cmp_eq_u64_e32 vcc_lo, 0, v[0:1]
	v_and_or_b32 v0, v0, 3, v3
	s_and_b32 s10, s10, vcc_lo
	s_delay_alu instid0(VALU_DEP_1) | instid1(SALU_CYCLE_1)
	v_cndmask_b32_e64 v0, v0, 0, s10
	s_delay_alu instid0(VALU_DEP_1)
	v_or_b32_e32 v33, v0, v10
.LBB6_19941:                            ;   in Loop: Header=BB6_16763 Depth=2
	s_or_b32 exec_lo, exec_lo, s40
                                        ; implicit-def: $vgpr10
.LBB6_19942:                            ;   in Loop: Header=BB6_16763 Depth=2
	s_and_not1_saveexec_b32 s10, s29
; %bb.19943:                            ;   in Loop: Header=BB6_16763 Depth=2
	v_or_b32_e32 v33, 0x7b, v10
; %bb.19944:                            ;   in Loop: Header=BB6_16763 Depth=2
	s_or_b32 exec_lo, exec_lo, s10
                                        ; implicit-def: $vgpr0
                                        ; implicit-def: $vgpr1
.LBB6_19945:                            ;   in Loop: Header=BB6_16763 Depth=2
	s_and_not1_saveexec_b32 s10, s28
	s_cbranch_execz .LBB6_19951
; %bb.19946:                            ;   in Loop: Header=BB6_16763 Depth=2
	s_mov_b32 s28, exec_lo
                                        ; implicit-def: $vgpr33
	v_cmpx_ne_u64_e32 0, v[54:55]
	s_xor_b32 s28, exec_lo, s28
; %bb.19947:                            ;   in Loop: Header=BB6_16763 Depth=2
	v_or_b32_e32 v33, 0x7f, v1
                                        ; implicit-def: $vgpr0
; %bb.19948:                            ;   in Loop: Header=BB6_16763 Depth=2
	s_and_not1_saveexec_b32 s28, s28
; %bb.19949:                            ;   in Loop: Header=BB6_16763 Depth=2
	v_cmp_lt_i32_e32 vcc_lo, -1, v0
	v_cndmask_b32_e32 v33, 0xfc, v30, vcc_lo
; %bb.19950:                            ;   in Loop: Header=BB6_16763 Depth=2
	s_or_b32 exec_lo, exec_lo, s28
.LBB6_19951:                            ;   in Loop: Header=BB6_16763 Depth=2
	s_delay_alu instid0(SALU_CYCLE_1) | instskip(SKIP_2) | instid1(VALU_DEP_1)
	s_or_b32 exec_lo, exec_lo, s10
	v_dual_mov_b32 v1, 0 :: v_dual_lshrrev_b32 v0, 16, v12
	s_mov_b32 s28, exec_lo
	v_and_b32_e32 v2, 0xff, v0
	s_delay_alu instid0(VALU_DEP_1)
	v_cmpx_ne_u16_e32 0, v2
	s_cbranch_execz .LBB6_19961
; %bb.19952:                            ;   in Loop: Header=BB6_16763 Depth=2
	v_bfrev_b32_e32 v1, 1
	s_mov_b32 s29, exec_lo
	v_cmpx_ne_u16_e32 0x80, v2
	s_cbranch_execz .LBB6_19960
; %bb.19953:                            ;   in Loop: Header=BB6_16763 Depth=2
	v_and_b32_e32 v1, 0x7c0000, v12
	v_bfe_u32 v2, v12, 16, 2
	s_delay_alu instid0(VALU_DEP_2) | instskip(SKIP_1) | instid1(SALU_CYCLE_1)
	v_cmp_ne_u32_e32 vcc_lo, 0x7c0000, v1
                                        ; implicit-def: $vgpr1
	s_and_saveexec_b32 s10, vcc_lo
	s_xor_b32 s10, exec_lo, s10
	s_cbranch_execz .LBB6_19957
; %bb.19954:                            ;   in Loop: Header=BB6_16763 Depth=2
	v_bfe_u32 v1, v12, 18, 5
	s_mov_b32 s40, exec_lo
	s_delay_alu instid0(VALU_DEP_1)
	v_cmpx_eq_u32_e32 0, v1
; %bb.19955:                            ;   in Loop: Header=BB6_16763 Depth=2
	v_clz_i32_u32_e32 v1, v2
	s_delay_alu instid0(VALU_DEP_1) | instskip(NEXT) | instid1(VALU_DEP_1)
	v_min_u32_e32 v1, 32, v1
	v_subrev_nc_u32_e32 v2, 29, v1
	s_delay_alu instid0(VALU_DEP_1) | instskip(NEXT) | instid1(VALU_DEP_1)
	v_lshlrev_b64_e32 v[2:3], v2, v[0:1]
	v_dual_sub_nc_u32 v1, 30, v1 :: v_dual_bitop2_b32 v2, 3, v2 bitop3:0x40
; %bb.19956:                            ;   in Loop: Header=BB6_16763 Depth=2
	s_or_b32 exec_lo, exec_lo, s40
	v_lshlrev_b32_e32 v0, 24, v0
	s_delay_alu instid0(VALU_DEP_1) | instskip(NEXT) | instid1(VALU_DEP_1)
	v_and_b32_e32 v0, 0x80000000, v0
	v_lshl_add_u32 v0, v1, 23, v0
	s_delay_alu instid0(VALU_DEP_1) | instskip(NEXT) | instid1(VALU_DEP_1)
	v_lshl_or_b32 v0, v2, 21, v0
                                        ; implicit-def: $vgpr2
	v_add_nc_u32_e32 v1, 0x38000000, v0
                                        ; implicit-def: $vgpr0
.LBB6_19957:                            ;   in Loop: Header=BB6_16763 Depth=2
	s_and_not1_saveexec_b32 s40, s10
; %bb.19958:                            ;   in Loop: Header=BB6_16763 Depth=2
	v_bfe_i32 v0, v0, 0, 8
	v_cmp_eq_u32_e32 vcc_lo, 0, v2
	s_delay_alu instid0(VALU_DEP_2) | instskip(NEXT) | instid1(VALU_DEP_1)
	v_cmp_lt_i16_e64 s10, -1, v0
	v_cndmask_b32_e64 v0, 0xff800000, v29, s10
	s_delay_alu instid0(VALU_DEP_1)
	v_cndmask_b32_e32 v1, 0x7f800001, v0, vcc_lo
; %bb.19959:                            ;   in Loop: Header=BB6_16763 Depth=2
	s_or_b32 exec_lo, exec_lo, s40
.LBB6_19960:                            ;   in Loop: Header=BB6_16763 Depth=2
	s_delay_alu instid0(SALU_CYCLE_1)
	s_or_b32 exec_lo, exec_lo, s29
.LBB6_19961:                            ;   in Loop: Header=BB6_16763 Depth=2
	s_delay_alu instid0(SALU_CYCLE_1) | instskip(NEXT) | instid1(VALU_DEP_1)
	s_or_b32 exec_lo, exec_lo, s28
	v_dual_mul_f32 v0, s27, v1 :: v_dual_mov_b32 v3, v55
                                        ; implicit-def: $vgpr34
	s_mov_b32 s10, exec_lo
	s_delay_alu instid0(VALU_DEP_1) | instskip(SKIP_2) | instid1(VALU_DEP_3)
	v_and_b32_e32 v2, 0x7f800000, v0
	v_and_b32_e32 v54, 0x7fffff, v0
	v_lshrrev_b32_e32 v1, 24, v0
	v_cmpx_ne_u64_e32 0x7f800000, v[2:3]
	s_xor_b32 s28, exec_lo, s10
	s_cbranch_execz .LBB6_19975
; %bb.19962:                            ;   in Loop: Header=BB6_16763 Depth=2
	v_and_b32_e32 v2, 0x7fffffff, v0
	v_mov_b32_e32 v3, v55
	v_and_b32_e32 v10, 0x80, v1
                                        ; implicit-def: $vgpr34
	s_mov_b32 s10, exec_lo
	s_delay_alu instid0(VALU_DEP_2)
	v_cmpx_gt_u64_e32 0x47600001, v[2:3]
	s_xor_b32 s29, exec_lo, s10
	s_cbranch_execz .LBB6_19972
; %bb.19963:                            ;   in Loop: Header=BB6_16763 Depth=2
	v_mov_b32_e32 v34, 0
	s_mov_b32 s40, exec_lo
	v_cmpx_ne_u32_e32 0, v0
	s_cbranch_execz .LBB6_19971
; %bb.19964:                            ;   in Loop: Header=BB6_16763 Depth=2
	v_bfe_u32 v11, v0, 23, 8
	v_or_b32_e32 v1, 0x800000, v54
	s_delay_alu instid0(VALU_DEP_2) | instskip(SKIP_2) | instid1(VALU_DEP_2)
	v_cmp_gt_u32_e64 s10, 0x72, v11
	v_sub_nc_u32_e32 v0, 0x71, v11
	v_cmp_eq_u32_e32 vcc_lo, 0, v11
	v_cndmask_b32_e64 v0, 0, v0, s10
	s_delay_alu instid0(VALU_DEP_1) | instskip(SKIP_1) | instid1(VALU_DEP_2)
	v_cndmask_b32_e64 v34, v0, 0x70, vcc_lo
	v_dual_cndmask_b32 v0, v1, v54 :: v_dual_mov_b32 v1, v55
	v_dual_add_nc_u32 v2, 21, v34 :: v_dual_add_nc_u32 v35, 20, v34
	s_delay_alu instid0(VALU_DEP_1) | instskip(NEXT) | instid1(VALU_DEP_2)
	v_lshlrev_b64_e64 v[2:3], v2, -1
	v_lshlrev_b64_e64 v[36:37], v35, 1
	s_delay_alu instid0(VALU_DEP_2) | instskip(SKIP_1) | instid1(VALU_DEP_4)
	v_bfi_b32 v2, v2, 0, v0
	v_lshrrev_b64 v[0:1], v34, v[0:1]
	v_bfi_b32 v3, v3, 0, 0
	s_delay_alu instid0(VALU_DEP_1) | instskip(NEXT) | instid1(VALU_DEP_3)
	v_cmp_eq_u64_e64 s10, v[2:3], v[36:37]
	v_mov_b64_e32 v[2:3], v[0:1]
	s_and_saveexec_b32 s41, s10
; %bb.19965:                            ;   in Loop: Header=BB6_16763 Depth=2
	v_bfe_u32 v2, v0, 21, 1
	v_mov_b32_e32 v3, v55
	s_delay_alu instid0(VALU_DEP_1) | instskip(NEXT) | instid1(VALU_DEP_1)
	v_add_nc_u64_e32 v[2:3], v[0:1], v[2:3]
	v_add_nc_u64_e32 v[2:3], -1, v[2:3]
; %bb.19966:                            ;   in Loop: Header=BB6_16763 Depth=2
	s_or_b32 exec_lo, exec_lo, s41
	v_add_nc_u32_e32 v1, 0xffffff81, v11
	s_delay_alu instid0(VALU_DEP_2) | instskip(SKIP_2) | instid1(VALU_DEP_3)
	v_and_b32_e32 v2, 0x1fffff, v2
	v_lshrrev_b32_e32 v3, 23, v0
	s_mov_b32 s10, exec_lo
	v_cndmask_b32_e64 v1, v1, 0xffffff82, vcc_lo
	s_delay_alu instid0(VALU_DEP_3) | instskip(NEXT) | instid1(VALU_DEP_2)
	v_add_nc_u32_e32 v54, v2, v0
                                        ; implicit-def: $vgpr2
	v_add3_u32 v11, v34, v1, v3
                                        ; implicit-def: $vgpr0_vgpr1
	s_delay_alu instid0(VALU_DEP_1) | instskip(NEXT) | instid1(VALU_DEP_1)
	v_add_nc_u32_e32 v3, 14, v11
	v_cmpx_ne_u32_e32 0, v3
	s_xor_b32 s10, exec_lo, s10
; %bb.19967:                            ;   in Loop: Header=BB6_16763 Depth=2
	v_cmp_lt_u64_e32 vcc_lo, 0xffffff, v[54:55]
	v_add_nc_u32_e32 v0, 15, v11
	s_delay_alu instid0(VALU_DEP_1) | instskip(SKIP_1) | instid1(VALU_DEP_1)
	v_cndmask_b32_e32 v2, v3, v0, vcc_lo
	v_cndmask_b32_e64 v0, 0, 1, vcc_lo
	v_lshrrev_b64 v[0:1], v0, v[54:55]
; %bb.19968:                            ;   in Loop: Header=BB6_16763 Depth=2
	s_and_not1_saveexec_b32 s10, s10
; %bb.19969:                            ;   in Loop: Header=BB6_16763 Depth=2
	v_mov_b64_e32 v[0:1], v[54:55]
	v_bfe_u32 v2, v54, 23, 1
; %bb.19970:                            ;   in Loop: Header=BB6_16763 Depth=2
	s_or_b32 exec_lo, exec_lo, s10
	s_delay_alu instid0(VALU_DEP_2) | instskip(NEXT) | instid1(VALU_DEP_2)
	v_lshrrev_b64 v[0:1], 21, v[0:1]
	v_cmp_gt_i32_e32 vcc_lo, 32, v2
	v_min_i32_e32 v3, 31, v2
	v_cmp_eq_u32_e64 s10, 0, v2
	s_delay_alu instid0(VALU_DEP_2) | instskip(SKIP_1) | instid1(VALU_DEP_2)
	v_dual_cndmask_b32 v1, 0, v1, vcc_lo :: v_dual_lshlrev_b32 v3, 2, v3
	v_cndmask_b32_e32 v0, 3, v0, vcc_lo
	v_and_b32_e32 v3, 0xfc, v3
	s_delay_alu instid0(VALU_DEP_2) | instskip(NEXT) | instid1(VALU_DEP_2)
	v_cmp_eq_u64_e32 vcc_lo, 0, v[0:1]
	v_and_or_b32 v0, v0, 3, v3
	s_and_b32 s10, s10, vcc_lo
	s_delay_alu instid0(VALU_DEP_1) | instid1(SALU_CYCLE_1)
	v_cndmask_b32_e64 v0, v0, 0, s10
	s_delay_alu instid0(VALU_DEP_1)
	v_or_b32_e32 v34, v0, v10
.LBB6_19971:                            ;   in Loop: Header=BB6_16763 Depth=2
	s_or_b32 exec_lo, exec_lo, s40
                                        ; implicit-def: $vgpr10
.LBB6_19972:                            ;   in Loop: Header=BB6_16763 Depth=2
	s_and_not1_saveexec_b32 s10, s29
; %bb.19973:                            ;   in Loop: Header=BB6_16763 Depth=2
	v_or_b32_e32 v34, 0x7b, v10
; %bb.19974:                            ;   in Loop: Header=BB6_16763 Depth=2
	s_or_b32 exec_lo, exec_lo, s10
                                        ; implicit-def: $vgpr0
                                        ; implicit-def: $vgpr1
.LBB6_19975:                            ;   in Loop: Header=BB6_16763 Depth=2
	s_and_not1_saveexec_b32 s10, s28
	s_cbranch_execz .LBB6_19981
; %bb.19976:                            ;   in Loop: Header=BB6_16763 Depth=2
	s_mov_b32 s28, exec_lo
                                        ; implicit-def: $vgpr34
	v_cmpx_ne_u64_e32 0, v[54:55]
	s_xor_b32 s28, exec_lo, s28
; %bb.19977:                            ;   in Loop: Header=BB6_16763 Depth=2
	v_or_b32_e32 v34, 0x7f, v1
                                        ; implicit-def: $vgpr0
; %bb.19978:                            ;   in Loop: Header=BB6_16763 Depth=2
	s_and_not1_saveexec_b32 s28, s28
; %bb.19979:                            ;   in Loop: Header=BB6_16763 Depth=2
	v_cmp_lt_i32_e32 vcc_lo, -1, v0
	v_cndmask_b32_e32 v34, 0xfc, v30, vcc_lo
; %bb.19980:                            ;   in Loop: Header=BB6_16763 Depth=2
	s_or_b32 exec_lo, exec_lo, s28
.LBB6_19981:                            ;   in Loop: Header=BB6_16763 Depth=2
	s_delay_alu instid0(SALU_CYCLE_1)
	s_or_b32 exec_lo, exec_lo, s10
	v_mov_b32_e32 v1, 0
	s_mov_b32 s28, exec_lo
	v_cmpx_lt_u32_e32 0xffffff, v12
	s_cbranch_execz .LBB6_19991
; %bb.19982:                            ;   in Loop: Header=BB6_16763 Depth=2
	v_lshrrev_b32_e32 v0, 24, v12
	v_bfrev_b32_e32 v1, 1
	s_mov_b32 s29, exec_lo
	s_delay_alu instid0(VALU_DEP_2)
	v_cmpx_ne_u32_e32 0x80, v0
	s_cbranch_execz .LBB6_19990
; %bb.19983:                            ;   in Loop: Header=BB6_16763 Depth=2
	v_and_b32_e32 v1, 0x7c000000, v12
	v_bfe_u32 v2, v12, 24, 2
	s_delay_alu instid0(VALU_DEP_2) | instskip(SKIP_1) | instid1(SALU_CYCLE_1)
	v_cmp_ne_u32_e32 vcc_lo, 0x7c000000, v1
                                        ; implicit-def: $vgpr1
	s_and_saveexec_b32 s10, vcc_lo
	s_xor_b32 s10, exec_lo, s10
	s_cbranch_execz .LBB6_19987
; %bb.19984:                            ;   in Loop: Header=BB6_16763 Depth=2
	v_bfe_u32 v1, v12, 26, 5
	s_mov_b32 s40, exec_lo
	s_delay_alu instid0(VALU_DEP_1)
	v_cmpx_eq_u32_e32 0, v1
; %bb.19985:                            ;   in Loop: Header=BB6_16763 Depth=2
	v_clz_i32_u32_e32 v1, v2
	s_delay_alu instid0(VALU_DEP_1) | instskip(NEXT) | instid1(VALU_DEP_1)
	v_min_u32_e32 v2, 32, v1
	v_subrev_nc_u32_e32 v1, 29, v2
	s_delay_alu instid0(VALU_DEP_1) | instskip(NEXT) | instid1(VALU_DEP_1)
	v_lshlrev_b64_e32 v[0:1], v1, v[0:1]
	v_dual_sub_nc_u32 v1, 30, v2 :: v_dual_bitop2_b32 v2, 3, v0 bitop3:0x40
; %bb.19986:                            ;   in Loop: Header=BB6_16763 Depth=2
	s_or_b32 exec_lo, exec_lo, s40
	v_and_b32_e32 v0, 0x80000000, v12
	s_delay_alu instid0(VALU_DEP_1) | instskip(NEXT) | instid1(VALU_DEP_1)
	v_lshl_add_u32 v0, v1, 23, v0
	v_lshl_or_b32 v0, v2, 21, v0
                                        ; implicit-def: $vgpr2
	s_delay_alu instid0(VALU_DEP_1)
	v_add_nc_u32_e32 v1, 0x38000000, v0
.LBB6_19987:                            ;   in Loop: Header=BB6_16763 Depth=2
	s_and_not1_saveexec_b32 s40, s10
; %bb.19988:                            ;   in Loop: Header=BB6_16763 Depth=2
	v_cmp_lt_i32_e64 s10, -1, v12
	v_cmp_eq_u32_e32 vcc_lo, 0, v2
	s_delay_alu instid0(VALU_DEP_2) | instskip(NEXT) | instid1(VALU_DEP_1)
	v_cndmask_b32_e64 v0, 0xff800000, v29, s10
	v_cndmask_b32_e32 v1, 0x7f800001, v0, vcc_lo
; %bb.19989:                            ;   in Loop: Header=BB6_16763 Depth=2
	s_or_b32 exec_lo, exec_lo, s40
.LBB6_19990:                            ;   in Loop: Header=BB6_16763 Depth=2
	s_delay_alu instid0(SALU_CYCLE_1)
	s_or_b32 exec_lo, exec_lo, s29
.LBB6_19991:                            ;   in Loop: Header=BB6_16763 Depth=2
	s_delay_alu instid0(SALU_CYCLE_1) | instskip(NEXT) | instid1(VALU_DEP_1)
	s_or_b32 exec_lo, exec_lo, s28
	v_dual_mul_f32 v0, s27, v1 :: v_dual_mov_b32 v3, v55
                                        ; implicit-def: $vgpr35
	s_mov_b32 s10, exec_lo
	s_delay_alu instid0(VALU_DEP_1) | instskip(SKIP_2) | instid1(VALU_DEP_3)
	v_and_b32_e32 v2, 0x7f800000, v0
	v_and_b32_e32 v54, 0x7fffff, v0
	v_lshrrev_b32_e32 v1, 24, v0
	v_cmpx_ne_u64_e32 0x7f800000, v[2:3]
	s_xor_b32 s28, exec_lo, s10
	s_cbranch_execz .LBB6_20005
; %bb.19992:                            ;   in Loop: Header=BB6_16763 Depth=2
	v_and_b32_e32 v2, 0x7fffffff, v0
	v_mov_b32_e32 v3, v55
	v_and_b32_e32 v10, 0x80, v1
                                        ; implicit-def: $vgpr35
	s_mov_b32 s10, exec_lo
	s_delay_alu instid0(VALU_DEP_2)
	v_cmpx_gt_u64_e32 0x47600001, v[2:3]
	s_xor_b32 s29, exec_lo, s10
	s_cbranch_execz .LBB6_20002
; %bb.19993:                            ;   in Loop: Header=BB6_16763 Depth=2
	v_mov_b32_e32 v35, 0
	s_mov_b32 s40, exec_lo
	v_cmpx_ne_u32_e32 0, v0
	s_cbranch_execz .LBB6_20001
; %bb.19994:                            ;   in Loop: Header=BB6_16763 Depth=2
	v_bfe_u32 v11, v0, 23, 8
	v_or_b32_e32 v1, 0x800000, v54
	s_delay_alu instid0(VALU_DEP_2) | instskip(SKIP_2) | instid1(VALU_DEP_2)
	v_cmp_gt_u32_e64 s10, 0x72, v11
	v_sub_nc_u32_e32 v0, 0x71, v11
	v_cmp_eq_u32_e32 vcc_lo, 0, v11
	v_cndmask_b32_e64 v0, 0, v0, s10
	s_delay_alu instid0(VALU_DEP_1) | instskip(SKIP_1) | instid1(VALU_DEP_2)
	v_cndmask_b32_e64 v35, v0, 0x70, vcc_lo
	v_dual_cndmask_b32 v0, v1, v54 :: v_dual_mov_b32 v1, v55
	v_dual_add_nc_u32 v2, 21, v35 :: v_dual_add_nc_u32 v36, 20, v35
	s_delay_alu instid0(VALU_DEP_1) | instskip(NEXT) | instid1(VALU_DEP_2)
	v_lshlrev_b64_e64 v[2:3], v2, -1
	v_lshlrev_b64_e64 v[36:37], v36, 1
	s_delay_alu instid0(VALU_DEP_2) | instskip(SKIP_1) | instid1(VALU_DEP_4)
	v_bfi_b32 v2, v2, 0, v0
	v_lshrrev_b64 v[0:1], v35, v[0:1]
	v_bfi_b32 v3, v3, 0, 0
	s_delay_alu instid0(VALU_DEP_1) | instskip(NEXT) | instid1(VALU_DEP_3)
	v_cmp_eq_u64_e64 s10, v[2:3], v[36:37]
	v_mov_b64_e32 v[2:3], v[0:1]
	s_and_saveexec_b32 s41, s10
; %bb.19995:                            ;   in Loop: Header=BB6_16763 Depth=2
	v_bfe_u32 v2, v0, 21, 1
	v_mov_b32_e32 v3, v55
	s_delay_alu instid0(VALU_DEP_1) | instskip(NEXT) | instid1(VALU_DEP_1)
	v_add_nc_u64_e32 v[2:3], v[0:1], v[2:3]
	v_add_nc_u64_e32 v[2:3], -1, v[2:3]
; %bb.19996:                            ;   in Loop: Header=BB6_16763 Depth=2
	s_or_b32 exec_lo, exec_lo, s41
	v_add_nc_u32_e32 v1, 0xffffff81, v11
	s_delay_alu instid0(VALU_DEP_2) | instskip(SKIP_2) | instid1(VALU_DEP_3)
	v_and_b32_e32 v2, 0x1fffff, v2
	v_lshrrev_b32_e32 v3, 23, v0
	s_mov_b32 s10, exec_lo
	v_cndmask_b32_e64 v1, v1, 0xffffff82, vcc_lo
	s_delay_alu instid0(VALU_DEP_3) | instskip(NEXT) | instid1(VALU_DEP_2)
	v_add_nc_u32_e32 v54, v2, v0
                                        ; implicit-def: $vgpr2
	v_add3_u32 v11, v35, v1, v3
                                        ; implicit-def: $vgpr0_vgpr1
	s_delay_alu instid0(VALU_DEP_1) | instskip(NEXT) | instid1(VALU_DEP_1)
	v_add_nc_u32_e32 v3, 14, v11
	v_cmpx_ne_u32_e32 0, v3
	s_xor_b32 s10, exec_lo, s10
; %bb.19997:                            ;   in Loop: Header=BB6_16763 Depth=2
	v_cmp_lt_u64_e32 vcc_lo, 0xffffff, v[54:55]
	v_add_nc_u32_e32 v0, 15, v11
	s_delay_alu instid0(VALU_DEP_1) | instskip(SKIP_1) | instid1(VALU_DEP_1)
	v_cndmask_b32_e32 v2, v3, v0, vcc_lo
	v_cndmask_b32_e64 v0, 0, 1, vcc_lo
	v_lshrrev_b64 v[0:1], v0, v[54:55]
; %bb.19998:                            ;   in Loop: Header=BB6_16763 Depth=2
	s_and_not1_saveexec_b32 s10, s10
; %bb.19999:                            ;   in Loop: Header=BB6_16763 Depth=2
	v_mov_b64_e32 v[0:1], v[54:55]
	v_bfe_u32 v2, v54, 23, 1
; %bb.20000:                            ;   in Loop: Header=BB6_16763 Depth=2
	s_or_b32 exec_lo, exec_lo, s10
	s_delay_alu instid0(VALU_DEP_2) | instskip(NEXT) | instid1(VALU_DEP_2)
	v_lshrrev_b64 v[0:1], 21, v[0:1]
	v_cmp_gt_i32_e32 vcc_lo, 32, v2
	v_min_i32_e32 v3, 31, v2
	v_cmp_eq_u32_e64 s10, 0, v2
	s_delay_alu instid0(VALU_DEP_2) | instskip(SKIP_1) | instid1(VALU_DEP_2)
	v_dual_cndmask_b32 v1, 0, v1, vcc_lo :: v_dual_lshlrev_b32 v3, 2, v3
	v_cndmask_b32_e32 v0, 3, v0, vcc_lo
	v_and_b32_e32 v3, 0xfc, v3
	s_delay_alu instid0(VALU_DEP_2) | instskip(NEXT) | instid1(VALU_DEP_2)
	v_cmp_eq_u64_e32 vcc_lo, 0, v[0:1]
	v_and_or_b32 v0, v0, 3, v3
	s_and_b32 s10, s10, vcc_lo
	s_delay_alu instid0(VALU_DEP_1) | instid1(SALU_CYCLE_1)
	v_cndmask_b32_e64 v0, v0, 0, s10
	s_delay_alu instid0(VALU_DEP_1)
	v_or_b32_e32 v35, v0, v10
.LBB6_20001:                            ;   in Loop: Header=BB6_16763 Depth=2
	s_or_b32 exec_lo, exec_lo, s40
                                        ; implicit-def: $vgpr10
.LBB6_20002:                            ;   in Loop: Header=BB6_16763 Depth=2
	s_and_not1_saveexec_b32 s10, s29
; %bb.20003:                            ;   in Loop: Header=BB6_16763 Depth=2
	v_or_b32_e32 v35, 0x7b, v10
; %bb.20004:                            ;   in Loop: Header=BB6_16763 Depth=2
	s_or_b32 exec_lo, exec_lo, s10
                                        ; implicit-def: $vgpr0
                                        ; implicit-def: $vgpr1
.LBB6_20005:                            ;   in Loop: Header=BB6_16763 Depth=2
	s_and_not1_saveexec_b32 s10, s28
	s_cbranch_execz .LBB6_20011
; %bb.20006:                            ;   in Loop: Header=BB6_16763 Depth=2
	s_mov_b32 s28, exec_lo
                                        ; implicit-def: $vgpr35
	v_cmpx_ne_u64_e32 0, v[54:55]
	s_xor_b32 s28, exec_lo, s28
; %bb.20007:                            ;   in Loop: Header=BB6_16763 Depth=2
	v_or_b32_e32 v35, 0x7f, v1
                                        ; implicit-def: $vgpr0
; %bb.20008:                            ;   in Loop: Header=BB6_16763 Depth=2
	s_and_not1_saveexec_b32 s28, s28
; %bb.20009:                            ;   in Loop: Header=BB6_16763 Depth=2
	v_cmp_lt_i32_e32 vcc_lo, -1, v0
	v_cndmask_b32_e32 v35, 0xfc, v30, vcc_lo
; %bb.20010:                            ;   in Loop: Header=BB6_16763 Depth=2
	s_or_b32 exec_lo, exec_lo, s28
.LBB6_20011:                            ;   in Loop: Header=BB6_16763 Depth=2
	s_delay_alu instid0(SALU_CYCLE_1) | instskip(SKIP_3) | instid1(VALU_DEP_2)
	s_or_b32 exec_lo, exec_lo, s10
	v_and_b32_e32 v1, 0xff, v13
	v_dual_mov_b32 v54, v13 :: v_dual_mov_b32 v0, 0
	s_mov_b32 s28, exec_lo
	v_cmpx_ne_u16_e32 0, v1
	s_cbranch_execz .LBB6_20021
; %bb.20012:                            ;   in Loop: Header=BB6_16763 Depth=2
	v_bfrev_b32_e32 v0, 1
	s_mov_b32 s29, exec_lo
	v_cmpx_ne_u16_e32 0x80, v1
	s_cbranch_execz .LBB6_20020
; %bb.20013:                            ;   in Loop: Header=BB6_16763 Depth=2
	v_and_b32_e32 v0, 0x7c, v13
	v_and_b32_e32 v1, 3, v13
	s_delay_alu instid0(VALU_DEP_2) | instskip(SKIP_1) | instid1(SALU_CYCLE_1)
	v_cmp_ne_u32_e32 vcc_lo, 0x7c, v0
                                        ; implicit-def: $vgpr0
	s_and_saveexec_b32 s10, vcc_lo
	s_xor_b32 s10, exec_lo, s10
	s_cbranch_execz .LBB6_20017
; %bb.20014:                            ;   in Loop: Header=BB6_16763 Depth=2
	v_bfe_u32 v0, v13, 2, 5
	s_mov_b32 s40, exec_lo
	s_delay_alu instid0(VALU_DEP_1)
	v_cmpx_eq_u32_e32 0, v0
; %bb.20015:                            ;   in Loop: Header=BB6_16763 Depth=2
	v_clz_i32_u32_e32 v0, v1
	s_delay_alu instid0(VALU_DEP_1) | instskip(NEXT) | instid1(VALU_DEP_1)
	v_min_u32_e32 v0, 32, v0
	v_subrev_nc_u32_e32 v1, 29, v0
	s_delay_alu instid0(VALU_DEP_1) | instskip(NEXT) | instid1(VALU_DEP_1)
	v_lshlrev_b64_e32 v[2:3], v1, v[54:55]
	v_dual_sub_nc_u32 v0, 30, v0 :: v_dual_bitop2_b32 v1, 3, v2 bitop3:0x40
; %bb.20016:                            ;   in Loop: Header=BB6_16763 Depth=2
	s_or_b32 exec_lo, exec_lo, s40
	v_lshlrev_b32_e32 v2, 24, v13
	s_delay_alu instid0(VALU_DEP_1) | instskip(NEXT) | instid1(VALU_DEP_1)
	v_and_b32_e32 v2, 0x80000000, v2
	v_lshl_add_u32 v0, v0, 23, v2
	s_delay_alu instid0(VALU_DEP_1) | instskip(NEXT) | instid1(VALU_DEP_1)
	v_lshl_or_b32 v0, v1, 21, v0
                                        ; implicit-def: $vgpr1
	v_add_nc_u32_e32 v0, 0x38000000, v0
.LBB6_20017:                            ;   in Loop: Header=BB6_16763 Depth=2
	s_and_not1_saveexec_b32 s40, s10
; %bb.20018:                            ;   in Loop: Header=BB6_16763 Depth=2
	v_bfe_i32 v0, v13, 0, 8
	v_cmp_eq_u32_e32 vcc_lo, 0, v1
	s_delay_alu instid0(VALU_DEP_2) | instskip(NEXT) | instid1(VALU_DEP_1)
	v_cmp_lt_i16_e64 s10, -1, v0
	v_cndmask_b32_e64 v0, 0xff800000, v29, s10
	s_delay_alu instid0(VALU_DEP_1)
	v_cndmask_b32_e32 v0, 0x7f800001, v0, vcc_lo
; %bb.20019:                            ;   in Loop: Header=BB6_16763 Depth=2
	s_or_b32 exec_lo, exec_lo, s40
.LBB6_20020:                            ;   in Loop: Header=BB6_16763 Depth=2
	s_delay_alu instid0(SALU_CYCLE_1)
	s_or_b32 exec_lo, exec_lo, s29
.LBB6_20021:                            ;   in Loop: Header=BB6_16763 Depth=2
	s_delay_alu instid0(SALU_CYCLE_1) | instskip(NEXT) | instid1(VALU_DEP_1)
	s_or_b32 exec_lo, exec_lo, s28
	v_dual_mul_f32 v2, s27, v0 :: v_dual_mov_b32 v11, v55
	v_mov_b32_e32 v1, v55
                                        ; implicit-def: $vgpr36
	s_mov_b32 s10, exec_lo
	s_delay_alu instid0(VALU_DEP_2) | instskip(SKIP_2) | instid1(VALU_DEP_3)
	v_and_b32_e32 v10, 0x7f800000, v2
	v_and_b32_e32 v0, 0x7fffff, v2
	v_lshrrev_b32_e32 v3, 24, v2
	v_cmpx_ne_u64_e32 0x7f800000, v[10:11]
	s_xor_b32 s28, exec_lo, s10
	s_cbranch_execz .LBB6_20035
; %bb.20022:                            ;   in Loop: Header=BB6_16763 Depth=2
	v_and_b32_e32 v10, 0x7fffffff, v2
	v_mov_b32_e32 v11, v55
                                        ; implicit-def: $vgpr36
	s_delay_alu instid0(VALU_DEP_1) | instskip(SKIP_2) | instid1(SALU_CYCLE_1)
	v_cmp_gt_u64_e32 vcc_lo, 0x47600001, v[10:11]
	v_and_b32_e32 v10, 0x80, v3
	s_and_saveexec_b32 s10, vcc_lo
	s_xor_b32 s29, exec_lo, s10
	s_cbranch_execz .LBB6_20032
; %bb.20023:                            ;   in Loop: Header=BB6_16763 Depth=2
	v_mov_b32_e32 v36, 0
	s_mov_b32 s40, exec_lo
	v_cmpx_ne_u32_e32 0, v2
	s_cbranch_execz .LBB6_20031
; %bb.20024:                            ;   in Loop: Header=BB6_16763 Depth=2
	v_bfe_u32 v11, v2, 23, 8
	v_or_b32_e32 v3, 0x800000, v0
	s_delay_alu instid0(VALU_DEP_2) | instskip(SKIP_2) | instid1(VALU_DEP_2)
	v_cmp_gt_u32_e64 s10, 0x72, v11
	v_sub_nc_u32_e32 v2, 0x71, v11
	v_cmp_eq_u32_e32 vcc_lo, 0, v11
	v_dual_cndmask_b32 v2, 0, v2, s10 :: v_dual_cndmask_b32 v0, v3, v0, vcc_lo
	s_delay_alu instid0(VALU_DEP_1) | instskip(NEXT) | instid1(VALU_DEP_1)
	v_cndmask_b32_e64 v36, v2, 0x70, vcc_lo
	v_dual_add_nc_u32 v2, 21, v36 :: v_dual_add_nc_u32 v37, 20, v36
	s_delay_alu instid0(VALU_DEP_1) | instskip(NEXT) | instid1(VALU_DEP_2)
	v_lshlrev_b64_e64 v[2:3], v2, -1
	v_lshlrev_b64_e64 v[38:39], v37, 1
	s_delay_alu instid0(VALU_DEP_2) | instskip(SKIP_1) | instid1(VALU_DEP_4)
	v_bfi_b32 v2, v2, 0, v0
	v_lshrrev_b64 v[0:1], v36, v[0:1]
	v_bfi_b32 v3, v3, 0, 0
	s_delay_alu instid0(VALU_DEP_1) | instskip(NEXT) | instid1(VALU_DEP_3)
	v_cmp_eq_u64_e64 s10, v[2:3], v[38:39]
	v_mov_b64_e32 v[2:3], v[0:1]
	s_and_saveexec_b32 s41, s10
; %bb.20025:                            ;   in Loop: Header=BB6_16763 Depth=2
	v_bfe_u32 v2, v0, 21, 1
	v_mov_b32_e32 v3, v55
	s_delay_alu instid0(VALU_DEP_1) | instskip(NEXT) | instid1(VALU_DEP_1)
	v_add_nc_u64_e32 v[2:3], v[0:1], v[2:3]
	v_add_nc_u64_e32 v[2:3], -1, v[2:3]
; %bb.20026:                            ;   in Loop: Header=BB6_16763 Depth=2
	s_or_b32 exec_lo, exec_lo, s41
	v_add_nc_u32_e32 v1, 0xffffff81, v11
	v_lshrrev_b32_e32 v3, 23, v0
	s_mov_b32 s10, exec_lo
	s_delay_alu instid0(VALU_DEP_2) | instskip(NEXT) | instid1(VALU_DEP_1)
	v_cndmask_b32_e64 v1, v1, 0xffffff82, vcc_lo
	v_add3_u32 v11, v36, v1, v3
	v_and_b32_e32 v1, 0x1fffff, v2
                                        ; implicit-def: $vgpr2
	s_delay_alu instid0(VALU_DEP_1) | instskip(SKIP_1) | instid1(VALU_DEP_2)
	v_dual_add_nc_u32 v3, 14, v11 :: v_dual_add_nc_u32 v0, v1, v0
	v_mov_b32_e32 v1, v55
	v_cmpx_ne_u32_e32 0, v3
	s_xor_b32 s10, exec_lo, s10
; %bb.20027:                            ;   in Loop: Header=BB6_16763 Depth=2
	s_delay_alu instid0(VALU_DEP_2) | instskip(SKIP_1) | instid1(VALU_DEP_1)
	v_cmp_lt_u64_e32 vcc_lo, 0xffffff, v[0:1]
	v_add_nc_u32_e32 v2, 15, v11
	v_cndmask_b32_e32 v2, v3, v2, vcc_lo
	v_cndmask_b32_e64 v3, 0, 1, vcc_lo
	s_delay_alu instid0(VALU_DEP_1)
	v_lshrrev_b64 v[0:1], v3, v[0:1]
; %bb.20028:                            ;   in Loop: Header=BB6_16763 Depth=2
	s_and_not1_saveexec_b32 s10, s10
; %bb.20029:                            ;   in Loop: Header=BB6_16763 Depth=2
	s_delay_alu instid0(VALU_DEP_1)
	v_bfe_u32 v2, v0, 23, 1
; %bb.20030:                            ;   in Loop: Header=BB6_16763 Depth=2
	s_or_b32 exec_lo, exec_lo, s10
	s_delay_alu instid0(VALU_DEP_2) | instskip(NEXT) | instid1(VALU_DEP_2)
	v_lshrrev_b64 v[0:1], 21, v[0:1]
	v_cmp_gt_i32_e32 vcc_lo, 32, v2
	v_min_i32_e32 v3, 31, v2
	v_cmp_eq_u32_e64 s10, 0, v2
	s_delay_alu instid0(VALU_DEP_2) | instskip(SKIP_1) | instid1(VALU_DEP_2)
	v_dual_cndmask_b32 v1, 0, v1, vcc_lo :: v_dual_lshlrev_b32 v3, 2, v3
	v_cndmask_b32_e32 v0, 3, v0, vcc_lo
	v_and_b32_e32 v3, 0xfc, v3
	s_delay_alu instid0(VALU_DEP_2) | instskip(NEXT) | instid1(VALU_DEP_2)
	v_cmp_eq_u64_e32 vcc_lo, 0, v[0:1]
	v_and_or_b32 v0, v0, 3, v3
	s_and_b32 s10, s10, vcc_lo
	s_delay_alu instid0(VALU_DEP_1) | instid1(SALU_CYCLE_1)
	v_cndmask_b32_e64 v0, v0, 0, s10
	s_delay_alu instid0(VALU_DEP_1)
	v_or_b32_e32 v36, v0, v10
.LBB6_20031:                            ;   in Loop: Header=BB6_16763 Depth=2
	s_or_b32 exec_lo, exec_lo, s40
                                        ; implicit-def: $vgpr10
.LBB6_20032:                            ;   in Loop: Header=BB6_16763 Depth=2
	s_and_not1_saveexec_b32 s10, s29
; %bb.20033:                            ;   in Loop: Header=BB6_16763 Depth=2
	v_or_b32_e32 v36, 0x7b, v10
; %bb.20034:                            ;   in Loop: Header=BB6_16763 Depth=2
	s_or_b32 exec_lo, exec_lo, s10
                                        ; implicit-def: $vgpr2
                                        ; implicit-def: $vgpr0_vgpr1
                                        ; implicit-def: $vgpr3
.LBB6_20035:                            ;   in Loop: Header=BB6_16763 Depth=2
	s_and_not1_saveexec_b32 s10, s28
	s_cbranch_execz .LBB6_20041
; %bb.20036:                            ;   in Loop: Header=BB6_16763 Depth=2
	s_mov_b32 s28, exec_lo
                                        ; implicit-def: $vgpr36
	v_cmpx_ne_u64_e32 0, v[0:1]
	s_xor_b32 s28, exec_lo, s28
; %bb.20037:                            ;   in Loop: Header=BB6_16763 Depth=2
	v_or_b32_e32 v36, 0x7f, v3
                                        ; implicit-def: $vgpr2
; %bb.20038:                            ;   in Loop: Header=BB6_16763 Depth=2
	s_and_not1_saveexec_b32 s28, s28
; %bb.20039:                            ;   in Loop: Header=BB6_16763 Depth=2
	v_cmp_lt_i32_e32 vcc_lo, -1, v2
	v_cndmask_b32_e32 v36, 0xfc, v30, vcc_lo
; %bb.20040:                            ;   in Loop: Header=BB6_16763 Depth=2
	s_or_b32 exec_lo, exec_lo, s28
.LBB6_20041:                            ;   in Loop: Header=BB6_16763 Depth=2
	s_delay_alu instid0(SALU_CYCLE_1) | instskip(SKIP_3) | instid1(VALU_DEP_2)
	s_or_b32 exec_lo, exec_lo, s10
	v_lshrrev_b16 v0, 8, v54
	v_mov_b32_e32 v1, 0
	s_mov_b32 s28, exec_lo
	v_cmpx_ne_u16_e32 0, v0
	s_cbranch_execz .LBB6_20051
; %bb.20042:                            ;   in Loop: Header=BB6_16763 Depth=2
	v_bfrev_b32_e32 v1, 1
	s_mov_b32 s29, exec_lo
	v_cmpx_ne_u16_e32 0x80, v0
	s_cbranch_execz .LBB6_20050
; %bb.20043:                            ;   in Loop: Header=BB6_16763 Depth=2
	v_and_b32_e32 v3, 0xffff, v0
	s_delay_alu instid0(VALU_DEP_1) | instskip(SKIP_1) | instid1(VALU_DEP_2)
	v_and_b32_e32 v1, 0x7c, v3
	v_and_b32_e32 v2, 3, v3
	v_cmp_ne_u32_e32 vcc_lo, 0x7c, v1
                                        ; implicit-def: $vgpr1
	s_and_saveexec_b32 s10, vcc_lo
	s_delay_alu instid0(SALU_CYCLE_1)
	s_xor_b32 s10, exec_lo, s10
	s_cbranch_execz .LBB6_20047
; %bb.20044:                            ;   in Loop: Header=BB6_16763 Depth=2
	v_bfe_u32 v1, v3, 2, 5
	s_mov_b32 s40, exec_lo
	s_delay_alu instid0(VALU_DEP_1)
	v_cmpx_eq_u32_e32 0, v1
; %bb.20045:                            ;   in Loop: Header=BB6_16763 Depth=2
	v_clz_i32_u32_e32 v1, v2
	s_delay_alu instid0(VALU_DEP_1) | instskip(SKIP_1) | instid1(VALU_DEP_2)
	v_min_u32_e32 v2, 32, v1
	v_mov_b32_e32 v1, v55
	v_subrev_nc_u32_e32 v3, 29, v2
	s_delay_alu instid0(VALU_DEP_1) | instskip(NEXT) | instid1(VALU_DEP_1)
	v_lshlrev_b64_e32 v[0:1], v3, v[0:1]
	v_dual_sub_nc_u32 v1, 30, v2 :: v_dual_bitop2_b32 v2, 3, v0 bitop3:0x40
; %bb.20046:                            ;   in Loop: Header=BB6_16763 Depth=2
	s_or_b32 exec_lo, exec_lo, s40
	v_lshlrev_b32_e32 v0, 16, v54
	s_delay_alu instid0(VALU_DEP_1) | instskip(NEXT) | instid1(VALU_DEP_1)
	v_and_b32_e32 v0, 0x80000000, v0
	v_lshl_add_u32 v0, v1, 23, v0
	s_delay_alu instid0(VALU_DEP_1) | instskip(NEXT) | instid1(VALU_DEP_1)
	v_lshl_or_b32 v0, v2, 21, v0
                                        ; implicit-def: $vgpr2
	v_add_nc_u32_e32 v1, 0x38000000, v0
.LBB6_20047:                            ;   in Loop: Header=BB6_16763 Depth=2
	s_and_not1_saveexec_b32 s40, s10
; %bb.20048:                            ;   in Loop: Header=BB6_16763 Depth=2
	v_cmp_lt_i16_e64 s10, -1, v54
	v_cmp_eq_u32_e32 vcc_lo, 0, v2
	s_delay_alu instid0(VALU_DEP_2) | instskip(NEXT) | instid1(VALU_DEP_1)
	v_cndmask_b32_e64 v0, 0xff800000, v29, s10
	v_cndmask_b32_e32 v1, 0x7f800001, v0, vcc_lo
; %bb.20049:                            ;   in Loop: Header=BB6_16763 Depth=2
	s_or_b32 exec_lo, exec_lo, s40
.LBB6_20050:                            ;   in Loop: Header=BB6_16763 Depth=2
	s_delay_alu instid0(SALU_CYCLE_1)
	s_or_b32 exec_lo, exec_lo, s29
.LBB6_20051:                            ;   in Loop: Header=BB6_16763 Depth=2
	s_delay_alu instid0(SALU_CYCLE_1) | instskip(NEXT) | instid1(VALU_DEP_1)
	s_or_b32 exec_lo, exec_lo, s28
	v_dual_mul_f32 v0, s27, v1 :: v_dual_mov_b32 v3, v55
                                        ; implicit-def: $vgpr37
	s_mov_b32 s10, exec_lo
	s_delay_alu instid0(VALU_DEP_1) | instskip(SKIP_2) | instid1(VALU_DEP_3)
	v_and_b32_e32 v2, 0x7f800000, v0
	v_and_b32_e32 v54, 0x7fffff, v0
	v_lshrrev_b32_e32 v1, 24, v0
	v_cmpx_ne_u64_e32 0x7f800000, v[2:3]
	s_xor_b32 s28, exec_lo, s10
	s_cbranch_execz .LBB6_20065
; %bb.20052:                            ;   in Loop: Header=BB6_16763 Depth=2
	v_and_b32_e32 v2, 0x7fffffff, v0
	v_mov_b32_e32 v3, v55
	v_and_b32_e32 v10, 0x80, v1
                                        ; implicit-def: $vgpr37
	s_mov_b32 s10, exec_lo
	s_delay_alu instid0(VALU_DEP_2)
	v_cmpx_gt_u64_e32 0x47600001, v[2:3]
	s_xor_b32 s29, exec_lo, s10
	s_cbranch_execz .LBB6_20062
; %bb.20053:                            ;   in Loop: Header=BB6_16763 Depth=2
	v_mov_b32_e32 v37, 0
	s_mov_b32 s40, exec_lo
	v_cmpx_ne_u32_e32 0, v0
	s_cbranch_execz .LBB6_20061
; %bb.20054:                            ;   in Loop: Header=BB6_16763 Depth=2
	v_bfe_u32 v11, v0, 23, 8
	v_or_b32_e32 v1, 0x800000, v54
	s_delay_alu instid0(VALU_DEP_2) | instskip(SKIP_2) | instid1(VALU_DEP_2)
	v_cmp_gt_u32_e64 s10, 0x72, v11
	v_sub_nc_u32_e32 v0, 0x71, v11
	v_cmp_eq_u32_e32 vcc_lo, 0, v11
	v_cndmask_b32_e64 v0, 0, v0, s10
	s_delay_alu instid0(VALU_DEP_1) | instskip(SKIP_1) | instid1(VALU_DEP_2)
	v_cndmask_b32_e64 v37, v0, 0x70, vcc_lo
	v_dual_cndmask_b32 v0, v1, v54 :: v_dual_mov_b32 v1, v55
	v_dual_add_nc_u32 v2, 21, v37 :: v_dual_add_nc_u32 v38, 20, v37
	s_delay_alu instid0(VALU_DEP_1) | instskip(NEXT) | instid1(VALU_DEP_2)
	v_lshlrev_b64_e64 v[2:3], v2, -1
	v_lshlrev_b64_e64 v[38:39], v38, 1
	s_delay_alu instid0(VALU_DEP_2) | instskip(SKIP_1) | instid1(VALU_DEP_4)
	v_bfi_b32 v2, v2, 0, v0
	v_lshrrev_b64 v[0:1], v37, v[0:1]
	v_bfi_b32 v3, v3, 0, 0
	s_delay_alu instid0(VALU_DEP_1) | instskip(NEXT) | instid1(VALU_DEP_3)
	v_cmp_eq_u64_e64 s10, v[2:3], v[38:39]
	v_mov_b64_e32 v[2:3], v[0:1]
	s_and_saveexec_b32 s41, s10
; %bb.20055:                            ;   in Loop: Header=BB6_16763 Depth=2
	v_bfe_u32 v2, v0, 21, 1
	v_mov_b32_e32 v3, v55
	s_delay_alu instid0(VALU_DEP_1) | instskip(NEXT) | instid1(VALU_DEP_1)
	v_add_nc_u64_e32 v[2:3], v[0:1], v[2:3]
	v_add_nc_u64_e32 v[2:3], -1, v[2:3]
; %bb.20056:                            ;   in Loop: Header=BB6_16763 Depth=2
	s_or_b32 exec_lo, exec_lo, s41
	v_add_nc_u32_e32 v1, 0xffffff81, v11
	s_delay_alu instid0(VALU_DEP_2) | instskip(SKIP_2) | instid1(VALU_DEP_3)
	v_and_b32_e32 v2, 0x1fffff, v2
	v_lshrrev_b32_e32 v3, 23, v0
	s_mov_b32 s10, exec_lo
	v_cndmask_b32_e64 v1, v1, 0xffffff82, vcc_lo
	s_delay_alu instid0(VALU_DEP_3) | instskip(NEXT) | instid1(VALU_DEP_2)
	v_add_nc_u32_e32 v54, v2, v0
                                        ; implicit-def: $vgpr2
	v_add3_u32 v11, v37, v1, v3
                                        ; implicit-def: $vgpr0_vgpr1
	s_delay_alu instid0(VALU_DEP_1) | instskip(NEXT) | instid1(VALU_DEP_1)
	v_add_nc_u32_e32 v3, 14, v11
	v_cmpx_ne_u32_e32 0, v3
	s_xor_b32 s10, exec_lo, s10
; %bb.20057:                            ;   in Loop: Header=BB6_16763 Depth=2
	v_cmp_lt_u64_e32 vcc_lo, 0xffffff, v[54:55]
	v_add_nc_u32_e32 v0, 15, v11
	s_delay_alu instid0(VALU_DEP_1) | instskip(SKIP_1) | instid1(VALU_DEP_1)
	v_cndmask_b32_e32 v2, v3, v0, vcc_lo
	v_cndmask_b32_e64 v0, 0, 1, vcc_lo
	v_lshrrev_b64 v[0:1], v0, v[54:55]
; %bb.20058:                            ;   in Loop: Header=BB6_16763 Depth=2
	s_and_not1_saveexec_b32 s10, s10
; %bb.20059:                            ;   in Loop: Header=BB6_16763 Depth=2
	v_mov_b64_e32 v[0:1], v[54:55]
	v_bfe_u32 v2, v54, 23, 1
; %bb.20060:                            ;   in Loop: Header=BB6_16763 Depth=2
	s_or_b32 exec_lo, exec_lo, s10
	s_delay_alu instid0(VALU_DEP_2) | instskip(NEXT) | instid1(VALU_DEP_2)
	v_lshrrev_b64 v[0:1], 21, v[0:1]
	v_cmp_gt_i32_e32 vcc_lo, 32, v2
	v_min_i32_e32 v3, 31, v2
	v_cmp_eq_u32_e64 s10, 0, v2
	s_delay_alu instid0(VALU_DEP_2) | instskip(SKIP_1) | instid1(VALU_DEP_2)
	v_dual_cndmask_b32 v1, 0, v1, vcc_lo :: v_dual_lshlrev_b32 v3, 2, v3
	v_cndmask_b32_e32 v0, 3, v0, vcc_lo
	v_and_b32_e32 v3, 0xfc, v3
	s_delay_alu instid0(VALU_DEP_2) | instskip(NEXT) | instid1(VALU_DEP_2)
	v_cmp_eq_u64_e32 vcc_lo, 0, v[0:1]
	v_and_or_b32 v0, v0, 3, v3
	s_and_b32 s10, s10, vcc_lo
	s_delay_alu instid0(VALU_DEP_1) | instid1(SALU_CYCLE_1)
	v_cndmask_b32_e64 v0, v0, 0, s10
	s_delay_alu instid0(VALU_DEP_1)
	v_or_b32_e32 v37, v0, v10
.LBB6_20061:                            ;   in Loop: Header=BB6_16763 Depth=2
	s_or_b32 exec_lo, exec_lo, s40
                                        ; implicit-def: $vgpr10
.LBB6_20062:                            ;   in Loop: Header=BB6_16763 Depth=2
	s_and_not1_saveexec_b32 s10, s29
; %bb.20063:                            ;   in Loop: Header=BB6_16763 Depth=2
	v_or_b32_e32 v37, 0x7b, v10
; %bb.20064:                            ;   in Loop: Header=BB6_16763 Depth=2
	s_or_b32 exec_lo, exec_lo, s10
                                        ; implicit-def: $vgpr0
                                        ; implicit-def: $vgpr1
.LBB6_20065:                            ;   in Loop: Header=BB6_16763 Depth=2
	s_and_not1_saveexec_b32 s10, s28
	s_cbranch_execz .LBB6_20071
; %bb.20066:                            ;   in Loop: Header=BB6_16763 Depth=2
	s_mov_b32 s28, exec_lo
                                        ; implicit-def: $vgpr37
	v_cmpx_ne_u64_e32 0, v[54:55]
	s_xor_b32 s28, exec_lo, s28
; %bb.20067:                            ;   in Loop: Header=BB6_16763 Depth=2
	v_or_b32_e32 v37, 0x7f, v1
                                        ; implicit-def: $vgpr0
; %bb.20068:                            ;   in Loop: Header=BB6_16763 Depth=2
	s_and_not1_saveexec_b32 s28, s28
; %bb.20069:                            ;   in Loop: Header=BB6_16763 Depth=2
	v_cmp_lt_i32_e32 vcc_lo, -1, v0
	v_cndmask_b32_e32 v37, 0xfc, v30, vcc_lo
; %bb.20070:                            ;   in Loop: Header=BB6_16763 Depth=2
	s_or_b32 exec_lo, exec_lo, s28
.LBB6_20071:                            ;   in Loop: Header=BB6_16763 Depth=2
	s_delay_alu instid0(SALU_CYCLE_1) | instskip(SKIP_2) | instid1(VALU_DEP_1)
	s_or_b32 exec_lo, exec_lo, s10
	v_dual_mov_b32 v1, 0 :: v_dual_lshrrev_b32 v0, 16, v13
	s_mov_b32 s28, exec_lo
	v_and_b32_e32 v2, 0xff, v0
	s_delay_alu instid0(VALU_DEP_1)
	v_cmpx_ne_u16_e32 0, v2
	s_cbranch_execz .LBB6_20081
; %bb.20072:                            ;   in Loop: Header=BB6_16763 Depth=2
	v_bfrev_b32_e32 v1, 1
	s_mov_b32 s29, exec_lo
	v_cmpx_ne_u16_e32 0x80, v2
	s_cbranch_execz .LBB6_20080
; %bb.20073:                            ;   in Loop: Header=BB6_16763 Depth=2
	v_and_b32_e32 v1, 0x7c0000, v13
	v_bfe_u32 v2, v13, 16, 2
	s_delay_alu instid0(VALU_DEP_2) | instskip(SKIP_1) | instid1(SALU_CYCLE_1)
	v_cmp_ne_u32_e32 vcc_lo, 0x7c0000, v1
                                        ; implicit-def: $vgpr1
	s_and_saveexec_b32 s10, vcc_lo
	s_xor_b32 s10, exec_lo, s10
	s_cbranch_execz .LBB6_20077
; %bb.20074:                            ;   in Loop: Header=BB6_16763 Depth=2
	v_bfe_u32 v1, v13, 18, 5
	s_mov_b32 s40, exec_lo
	s_delay_alu instid0(VALU_DEP_1)
	v_cmpx_eq_u32_e32 0, v1
; %bb.20075:                            ;   in Loop: Header=BB6_16763 Depth=2
	v_clz_i32_u32_e32 v1, v2
	s_delay_alu instid0(VALU_DEP_1) | instskip(NEXT) | instid1(VALU_DEP_1)
	v_min_u32_e32 v1, 32, v1
	v_subrev_nc_u32_e32 v2, 29, v1
	s_delay_alu instid0(VALU_DEP_1) | instskip(NEXT) | instid1(VALU_DEP_1)
	v_lshlrev_b64_e32 v[2:3], v2, v[0:1]
	v_dual_sub_nc_u32 v1, 30, v1 :: v_dual_bitop2_b32 v2, 3, v2 bitop3:0x40
; %bb.20076:                            ;   in Loop: Header=BB6_16763 Depth=2
	s_or_b32 exec_lo, exec_lo, s40
	v_lshlrev_b32_e32 v0, 24, v0
	s_delay_alu instid0(VALU_DEP_1) | instskip(NEXT) | instid1(VALU_DEP_1)
	v_and_b32_e32 v0, 0x80000000, v0
	v_lshl_add_u32 v0, v1, 23, v0
	s_delay_alu instid0(VALU_DEP_1) | instskip(NEXT) | instid1(VALU_DEP_1)
	v_lshl_or_b32 v0, v2, 21, v0
                                        ; implicit-def: $vgpr2
	v_add_nc_u32_e32 v1, 0x38000000, v0
                                        ; implicit-def: $vgpr0
.LBB6_20077:                            ;   in Loop: Header=BB6_16763 Depth=2
	s_and_not1_saveexec_b32 s40, s10
; %bb.20078:                            ;   in Loop: Header=BB6_16763 Depth=2
	v_bfe_i32 v0, v0, 0, 8
	v_cmp_eq_u32_e32 vcc_lo, 0, v2
	s_delay_alu instid0(VALU_DEP_2) | instskip(NEXT) | instid1(VALU_DEP_1)
	v_cmp_lt_i16_e64 s10, -1, v0
	v_cndmask_b32_e64 v0, 0xff800000, v29, s10
	s_delay_alu instid0(VALU_DEP_1)
	v_cndmask_b32_e32 v1, 0x7f800001, v0, vcc_lo
; %bb.20079:                            ;   in Loop: Header=BB6_16763 Depth=2
	s_or_b32 exec_lo, exec_lo, s40
.LBB6_20080:                            ;   in Loop: Header=BB6_16763 Depth=2
	s_delay_alu instid0(SALU_CYCLE_1)
	s_or_b32 exec_lo, exec_lo, s29
.LBB6_20081:                            ;   in Loop: Header=BB6_16763 Depth=2
	s_delay_alu instid0(SALU_CYCLE_1) | instskip(NEXT) | instid1(VALU_DEP_1)
	s_or_b32 exec_lo, exec_lo, s28
	v_dual_mul_f32 v0, s27, v1 :: v_dual_mov_b32 v3, v55
                                        ; implicit-def: $vgpr38
	s_mov_b32 s10, exec_lo
	s_delay_alu instid0(VALU_DEP_1) | instskip(SKIP_2) | instid1(VALU_DEP_3)
	v_and_b32_e32 v2, 0x7f800000, v0
	v_and_b32_e32 v54, 0x7fffff, v0
	v_lshrrev_b32_e32 v1, 24, v0
	v_cmpx_ne_u64_e32 0x7f800000, v[2:3]
	s_xor_b32 s28, exec_lo, s10
	s_cbranch_execz .LBB6_20095
; %bb.20082:                            ;   in Loop: Header=BB6_16763 Depth=2
	v_and_b32_e32 v2, 0x7fffffff, v0
	v_mov_b32_e32 v3, v55
	v_and_b32_e32 v10, 0x80, v1
                                        ; implicit-def: $vgpr38
	s_mov_b32 s10, exec_lo
	s_delay_alu instid0(VALU_DEP_2)
	v_cmpx_gt_u64_e32 0x47600001, v[2:3]
	s_xor_b32 s29, exec_lo, s10
	s_cbranch_execz .LBB6_20092
; %bb.20083:                            ;   in Loop: Header=BB6_16763 Depth=2
	v_mov_b32_e32 v38, 0
	s_mov_b32 s40, exec_lo
	v_cmpx_ne_u32_e32 0, v0
	s_cbranch_execz .LBB6_20091
; %bb.20084:                            ;   in Loop: Header=BB6_16763 Depth=2
	v_bfe_u32 v11, v0, 23, 8
	v_or_b32_e32 v1, 0x800000, v54
	s_delay_alu instid0(VALU_DEP_2) | instskip(SKIP_2) | instid1(VALU_DEP_2)
	v_cmp_gt_u32_e64 s10, 0x72, v11
	v_sub_nc_u32_e32 v0, 0x71, v11
	v_cmp_eq_u32_e32 vcc_lo, 0, v11
	v_cndmask_b32_e64 v0, 0, v0, s10
	s_delay_alu instid0(VALU_DEP_1) | instskip(SKIP_1) | instid1(VALU_DEP_2)
	v_cndmask_b32_e64 v38, v0, 0x70, vcc_lo
	v_dual_cndmask_b32 v0, v1, v54 :: v_dual_mov_b32 v1, v55
	v_dual_add_nc_u32 v2, 21, v38 :: v_dual_add_nc_u32 v39, 20, v38
	s_delay_alu instid0(VALU_DEP_1) | instskip(NEXT) | instid1(VALU_DEP_2)
	v_lshlrev_b64_e64 v[2:3], v2, -1
	v_lshlrev_b64_e64 v[48:49], v39, 1
	s_delay_alu instid0(VALU_DEP_2) | instskip(SKIP_1) | instid1(VALU_DEP_4)
	v_bfi_b32 v2, v2, 0, v0
	v_lshrrev_b64 v[0:1], v38, v[0:1]
	v_bfi_b32 v3, v3, 0, 0
	s_delay_alu instid0(VALU_DEP_1) | instskip(NEXT) | instid1(VALU_DEP_3)
	v_cmp_eq_u64_e64 s10, v[2:3], v[48:49]
	v_mov_b64_e32 v[2:3], v[0:1]
	s_and_saveexec_b32 s41, s10
; %bb.20085:                            ;   in Loop: Header=BB6_16763 Depth=2
	v_bfe_u32 v2, v0, 21, 1
	v_mov_b32_e32 v3, v55
	s_delay_alu instid0(VALU_DEP_1) | instskip(NEXT) | instid1(VALU_DEP_1)
	v_add_nc_u64_e32 v[2:3], v[0:1], v[2:3]
	v_add_nc_u64_e32 v[2:3], -1, v[2:3]
; %bb.20086:                            ;   in Loop: Header=BB6_16763 Depth=2
	s_or_b32 exec_lo, exec_lo, s41
	v_add_nc_u32_e32 v1, 0xffffff81, v11
	s_delay_alu instid0(VALU_DEP_2) | instskip(SKIP_2) | instid1(VALU_DEP_3)
	v_and_b32_e32 v2, 0x1fffff, v2
	v_lshrrev_b32_e32 v3, 23, v0
	s_mov_b32 s10, exec_lo
	v_cndmask_b32_e64 v1, v1, 0xffffff82, vcc_lo
	s_delay_alu instid0(VALU_DEP_3) | instskip(NEXT) | instid1(VALU_DEP_2)
	v_add_nc_u32_e32 v54, v2, v0
                                        ; implicit-def: $vgpr2
	v_add3_u32 v11, v38, v1, v3
                                        ; implicit-def: $vgpr0_vgpr1
	s_delay_alu instid0(VALU_DEP_1) | instskip(NEXT) | instid1(VALU_DEP_1)
	v_add_nc_u32_e32 v3, 14, v11
	v_cmpx_ne_u32_e32 0, v3
	s_xor_b32 s10, exec_lo, s10
; %bb.20087:                            ;   in Loop: Header=BB6_16763 Depth=2
	v_cmp_lt_u64_e32 vcc_lo, 0xffffff, v[54:55]
	v_add_nc_u32_e32 v0, 15, v11
	s_delay_alu instid0(VALU_DEP_1) | instskip(SKIP_1) | instid1(VALU_DEP_1)
	v_cndmask_b32_e32 v2, v3, v0, vcc_lo
	v_cndmask_b32_e64 v0, 0, 1, vcc_lo
	v_lshrrev_b64 v[0:1], v0, v[54:55]
; %bb.20088:                            ;   in Loop: Header=BB6_16763 Depth=2
	s_and_not1_saveexec_b32 s10, s10
; %bb.20089:                            ;   in Loop: Header=BB6_16763 Depth=2
	v_mov_b64_e32 v[0:1], v[54:55]
	v_bfe_u32 v2, v54, 23, 1
; %bb.20090:                            ;   in Loop: Header=BB6_16763 Depth=2
	s_or_b32 exec_lo, exec_lo, s10
	s_delay_alu instid0(VALU_DEP_2) | instskip(NEXT) | instid1(VALU_DEP_2)
	v_lshrrev_b64 v[0:1], 21, v[0:1]
	v_cmp_gt_i32_e32 vcc_lo, 32, v2
	v_min_i32_e32 v3, 31, v2
	v_cmp_eq_u32_e64 s10, 0, v2
	s_delay_alu instid0(VALU_DEP_2) | instskip(SKIP_1) | instid1(VALU_DEP_2)
	v_dual_cndmask_b32 v1, 0, v1, vcc_lo :: v_dual_lshlrev_b32 v3, 2, v3
	v_cndmask_b32_e32 v0, 3, v0, vcc_lo
	v_and_b32_e32 v3, 0xfc, v3
	s_delay_alu instid0(VALU_DEP_2) | instskip(NEXT) | instid1(VALU_DEP_2)
	v_cmp_eq_u64_e32 vcc_lo, 0, v[0:1]
	v_and_or_b32 v0, v0, 3, v3
	s_and_b32 s10, s10, vcc_lo
	s_delay_alu instid0(VALU_DEP_1) | instid1(SALU_CYCLE_1)
	v_cndmask_b32_e64 v0, v0, 0, s10
	s_delay_alu instid0(VALU_DEP_1)
	v_or_b32_e32 v38, v0, v10
.LBB6_20091:                            ;   in Loop: Header=BB6_16763 Depth=2
	s_or_b32 exec_lo, exec_lo, s40
                                        ; implicit-def: $vgpr10
.LBB6_20092:                            ;   in Loop: Header=BB6_16763 Depth=2
	s_and_not1_saveexec_b32 s10, s29
; %bb.20093:                            ;   in Loop: Header=BB6_16763 Depth=2
	v_or_b32_e32 v38, 0x7b, v10
; %bb.20094:                            ;   in Loop: Header=BB6_16763 Depth=2
	s_or_b32 exec_lo, exec_lo, s10
                                        ; implicit-def: $vgpr0
                                        ; implicit-def: $vgpr1
.LBB6_20095:                            ;   in Loop: Header=BB6_16763 Depth=2
	s_and_not1_saveexec_b32 s10, s28
	s_cbranch_execz .LBB6_20101
; %bb.20096:                            ;   in Loop: Header=BB6_16763 Depth=2
	s_mov_b32 s28, exec_lo
                                        ; implicit-def: $vgpr38
	v_cmpx_ne_u64_e32 0, v[54:55]
	s_xor_b32 s28, exec_lo, s28
; %bb.20097:                            ;   in Loop: Header=BB6_16763 Depth=2
	v_or_b32_e32 v38, 0x7f, v1
                                        ; implicit-def: $vgpr0
; %bb.20098:                            ;   in Loop: Header=BB6_16763 Depth=2
	s_and_not1_saveexec_b32 s28, s28
; %bb.20099:                            ;   in Loop: Header=BB6_16763 Depth=2
	v_cmp_lt_i32_e32 vcc_lo, -1, v0
	v_cndmask_b32_e32 v38, 0xfc, v30, vcc_lo
; %bb.20100:                            ;   in Loop: Header=BB6_16763 Depth=2
	s_or_b32 exec_lo, exec_lo, s28
.LBB6_20101:                            ;   in Loop: Header=BB6_16763 Depth=2
	s_delay_alu instid0(SALU_CYCLE_1)
	s_or_b32 exec_lo, exec_lo, s10
	v_mov_b32_e32 v1, 0
	s_mov_b32 s28, exec_lo
	v_cmpx_lt_u64_e64 s[12:13], v[12:13]
	s_cbranch_execz .LBB6_20111
; %bb.20102:                            ;   in Loop: Header=BB6_16763 Depth=2
	v_lshrrev_b32_e32 v0, 24, v13
	v_bfrev_b32_e32 v1, 1
	s_mov_b32 s29, exec_lo
	s_delay_alu instid0(VALU_DEP_2)
	v_cmpx_ne_u32_e32 0x80, v0
	s_cbranch_execz .LBB6_20110
; %bb.20103:                            ;   in Loop: Header=BB6_16763 Depth=2
	v_and_b32_e32 v1, 0x7c000000, v13
	v_bfe_u32 v2, v13, 24, 2
	s_delay_alu instid0(VALU_DEP_2) | instskip(SKIP_1) | instid1(SALU_CYCLE_1)
	v_cmp_ne_u32_e32 vcc_lo, 0x7c000000, v1
                                        ; implicit-def: $vgpr1
	s_and_saveexec_b32 s10, vcc_lo
	s_xor_b32 s10, exec_lo, s10
	s_cbranch_execz .LBB6_20107
; %bb.20104:                            ;   in Loop: Header=BB6_16763 Depth=2
	v_bfe_u32 v1, v13, 26, 5
	s_mov_b32 s40, exec_lo
	s_delay_alu instid0(VALU_DEP_1)
	v_cmpx_eq_u32_e32 0, v1
; %bb.20105:                            ;   in Loop: Header=BB6_16763 Depth=2
	v_clz_i32_u32_e32 v1, v2
	s_delay_alu instid0(VALU_DEP_1) | instskip(NEXT) | instid1(VALU_DEP_1)
	v_min_u32_e32 v2, 32, v1
	v_subrev_nc_u32_e32 v1, 29, v2
	s_delay_alu instid0(VALU_DEP_1) | instskip(NEXT) | instid1(VALU_DEP_1)
	v_lshlrev_b64_e32 v[0:1], v1, v[0:1]
	v_dual_sub_nc_u32 v1, 30, v2 :: v_dual_bitop2_b32 v2, 3, v0 bitop3:0x40
; %bb.20106:                            ;   in Loop: Header=BB6_16763 Depth=2
	s_or_b32 exec_lo, exec_lo, s40
	v_and_b32_e32 v0, 0x80000000, v13
                                        ; implicit-def: $vgpr12_vgpr13
	s_delay_alu instid0(VALU_DEP_1) | instskip(NEXT) | instid1(VALU_DEP_1)
	v_lshl_add_u32 v0, v1, 23, v0
	v_lshl_or_b32 v0, v2, 21, v0
                                        ; implicit-def: $vgpr2
	s_delay_alu instid0(VALU_DEP_1)
	v_add_nc_u32_e32 v1, 0x38000000, v0
.LBB6_20107:                            ;   in Loop: Header=BB6_16763 Depth=2
	s_and_not1_saveexec_b32 s40, s10
; %bb.20108:                            ;   in Loop: Header=BB6_16763 Depth=2
	v_cmp_lt_i64_e64 s10, -1, v[12:13]
	v_cmp_eq_u32_e32 vcc_lo, 0, v2
	s_delay_alu instid0(VALU_DEP_2) | instskip(NEXT) | instid1(VALU_DEP_1)
	v_cndmask_b32_e64 v0, 0xff800000, v29, s10
	v_cndmask_b32_e32 v1, 0x7f800001, v0, vcc_lo
; %bb.20109:                            ;   in Loop: Header=BB6_16763 Depth=2
	s_or_b32 exec_lo, exec_lo, s40
.LBB6_20110:                            ;   in Loop: Header=BB6_16763 Depth=2
	s_delay_alu instid0(SALU_CYCLE_1)
	s_or_b32 exec_lo, exec_lo, s29
.LBB6_20111:                            ;   in Loop: Header=BB6_16763 Depth=2
	s_delay_alu instid0(SALU_CYCLE_1) | instskip(NEXT) | instid1(VALU_DEP_1)
	s_or_b32 exec_lo, exec_lo, s28
	v_dual_mul_f32 v0, s27, v1 :: v_dual_mov_b32 v3, v55
                                        ; implicit-def: $vgpr64
	s_mov_b32 s10, exec_lo
	s_delay_alu instid0(VALU_DEP_1) | instskip(SKIP_2) | instid1(VALU_DEP_3)
	v_and_b32_e32 v2, 0x7f800000, v0
	v_and_b32_e32 v54, 0x7fffff, v0
	v_lshrrev_b32_e32 v1, 24, v0
	v_cmpx_ne_u64_e32 0x7f800000, v[2:3]
	s_xor_b32 s28, exec_lo, s10
	s_cbranch_execz .LBB6_20125
; %bb.20112:                            ;   in Loop: Header=BB6_16763 Depth=2
	v_and_b32_e32 v2, 0x7fffffff, v0
	v_mov_b32_e32 v3, v55
	v_and_b32_e32 v10, 0x80, v1
                                        ; implicit-def: $vgpr64
	s_mov_b32 s10, exec_lo
	s_delay_alu instid0(VALU_DEP_2)
	v_cmpx_gt_u64_e32 0x47600001, v[2:3]
	s_xor_b32 s29, exec_lo, s10
	s_cbranch_execz .LBB6_20122
; %bb.20113:                            ;   in Loop: Header=BB6_16763 Depth=2
	v_mov_b32_e32 v64, 0
	s_mov_b32 s40, exec_lo
	v_cmpx_ne_u32_e32 0, v0
	s_cbranch_execz .LBB6_20121
; %bb.20114:                            ;   in Loop: Header=BB6_16763 Depth=2
	v_bfe_u32 v11, v0, 23, 8
	v_or_b32_e32 v1, 0x800000, v54
	s_delay_alu instid0(VALU_DEP_2) | instskip(SKIP_2) | instid1(VALU_DEP_2)
	v_cmp_gt_u32_e64 s10, 0x72, v11
	v_sub_nc_u32_e32 v0, 0x71, v11
	v_cmp_eq_u32_e32 vcc_lo, 0, v11
	v_cndmask_b32_e64 v0, 0, v0, s10
	s_delay_alu instid0(VALU_DEP_1) | instskip(SKIP_1) | instid1(VALU_DEP_2)
	v_cndmask_b32_e64 v12, v0, 0x70, vcc_lo
	v_dual_cndmask_b32 v0, v1, v54 :: v_dual_mov_b32 v1, v55
	v_dual_add_nc_u32 v2, 21, v12 :: v_dual_add_nc_u32 v13, 20, v12
	s_delay_alu instid0(VALU_DEP_1) | instskip(NEXT) | instid1(VALU_DEP_2)
	v_lshlrev_b64_e64 v[2:3], v2, -1
	v_lshlrev_b64_e64 v[48:49], v13, 1
	s_delay_alu instid0(VALU_DEP_2) | instskip(SKIP_1) | instid1(VALU_DEP_4)
	v_bfi_b32 v2, v2, 0, v0
	v_lshrrev_b64 v[0:1], v12, v[0:1]
	v_bfi_b32 v3, v3, 0, 0
	s_delay_alu instid0(VALU_DEP_1) | instskip(NEXT) | instid1(VALU_DEP_3)
	v_cmp_eq_u64_e64 s10, v[2:3], v[48:49]
	v_mov_b64_e32 v[2:3], v[0:1]
	s_and_saveexec_b32 s41, s10
; %bb.20115:                            ;   in Loop: Header=BB6_16763 Depth=2
	v_bfe_u32 v2, v0, 21, 1
	v_mov_b32_e32 v3, v55
	s_delay_alu instid0(VALU_DEP_1) | instskip(NEXT) | instid1(VALU_DEP_1)
	v_add_nc_u64_e32 v[2:3], v[0:1], v[2:3]
	v_add_nc_u64_e32 v[2:3], -1, v[2:3]
; %bb.20116:                            ;   in Loop: Header=BB6_16763 Depth=2
	s_or_b32 exec_lo, exec_lo, s41
	v_add_nc_u32_e32 v1, 0xffffff81, v11
	s_delay_alu instid0(VALU_DEP_2) | instskip(SKIP_2) | instid1(VALU_DEP_3)
	v_and_b32_e32 v2, 0x1fffff, v2
	v_lshrrev_b32_e32 v3, 23, v0
	s_mov_b32 s10, exec_lo
	v_cndmask_b32_e64 v1, v1, 0xffffff82, vcc_lo
	s_delay_alu instid0(VALU_DEP_3) | instskip(NEXT) | instid1(VALU_DEP_2)
	v_add_nc_u32_e32 v54, v2, v0
                                        ; implicit-def: $vgpr2
	v_add3_u32 v11, v12, v1, v3
                                        ; implicit-def: $vgpr0_vgpr1
	s_delay_alu instid0(VALU_DEP_1) | instskip(NEXT) | instid1(VALU_DEP_1)
	v_add_nc_u32_e32 v3, 14, v11
	v_cmpx_ne_u32_e32 0, v3
	s_xor_b32 s10, exec_lo, s10
; %bb.20117:                            ;   in Loop: Header=BB6_16763 Depth=2
	v_cmp_lt_u64_e32 vcc_lo, 0xffffff, v[54:55]
	v_add_nc_u32_e32 v0, 15, v11
	s_delay_alu instid0(VALU_DEP_1) | instskip(SKIP_1) | instid1(VALU_DEP_1)
	v_cndmask_b32_e32 v2, v3, v0, vcc_lo
	v_cndmask_b32_e64 v0, 0, 1, vcc_lo
	v_lshrrev_b64 v[0:1], v0, v[54:55]
; %bb.20118:                            ;   in Loop: Header=BB6_16763 Depth=2
	s_and_not1_saveexec_b32 s10, s10
; %bb.20119:                            ;   in Loop: Header=BB6_16763 Depth=2
	v_mov_b64_e32 v[0:1], v[54:55]
	v_bfe_u32 v2, v54, 23, 1
; %bb.20120:                            ;   in Loop: Header=BB6_16763 Depth=2
	s_or_b32 exec_lo, exec_lo, s10
	s_delay_alu instid0(VALU_DEP_2) | instskip(NEXT) | instid1(VALU_DEP_2)
	v_lshrrev_b64 v[0:1], 21, v[0:1]
	v_cmp_gt_i32_e32 vcc_lo, 32, v2
	v_min_i32_e32 v3, 31, v2
	v_cmp_eq_u32_e64 s10, 0, v2
	s_delay_alu instid0(VALU_DEP_2) | instskip(SKIP_1) | instid1(VALU_DEP_2)
	v_dual_cndmask_b32 v1, 0, v1, vcc_lo :: v_dual_lshlrev_b32 v3, 2, v3
	v_cndmask_b32_e32 v0, 3, v0, vcc_lo
	v_and_b32_e32 v3, 0xfc, v3
	s_delay_alu instid0(VALU_DEP_2) | instskip(NEXT) | instid1(VALU_DEP_2)
	v_cmp_eq_u64_e32 vcc_lo, 0, v[0:1]
	v_and_or_b32 v0, v0, 3, v3
	s_and_b32 s10, s10, vcc_lo
	s_delay_alu instid0(VALU_DEP_1) | instid1(SALU_CYCLE_1)
	v_cndmask_b32_e64 v0, v0, 0, s10
	s_delay_alu instid0(VALU_DEP_1)
	v_or_b32_e32 v64, v0, v10
.LBB6_20121:                            ;   in Loop: Header=BB6_16763 Depth=2
	s_or_b32 exec_lo, exec_lo, s40
                                        ; implicit-def: $vgpr10
.LBB6_20122:                            ;   in Loop: Header=BB6_16763 Depth=2
	s_and_not1_saveexec_b32 s10, s29
; %bb.20123:                            ;   in Loop: Header=BB6_16763 Depth=2
	v_or_b32_e32 v64, 0x7b, v10
; %bb.20124:                            ;   in Loop: Header=BB6_16763 Depth=2
	s_or_b32 exec_lo, exec_lo, s10
                                        ; implicit-def: $vgpr0
                                        ; implicit-def: $vgpr1
.LBB6_20125:                            ;   in Loop: Header=BB6_16763 Depth=2
	s_and_not1_saveexec_b32 s10, s28
	s_cbranch_execz .LBB6_20131
; %bb.20126:                            ;   in Loop: Header=BB6_16763 Depth=2
	s_mov_b32 s28, exec_lo
                                        ; implicit-def: $vgpr64
	v_cmpx_ne_u64_e32 0, v[54:55]
	s_xor_b32 s28, exec_lo, s28
; %bb.20127:                            ;   in Loop: Header=BB6_16763 Depth=2
	v_or_b32_e32 v64, 0x7f, v1
                                        ; implicit-def: $vgpr0
; %bb.20128:                            ;   in Loop: Header=BB6_16763 Depth=2
	s_and_not1_saveexec_b32 s28, s28
; %bb.20129:                            ;   in Loop: Header=BB6_16763 Depth=2
	v_cmp_lt_i32_e32 vcc_lo, -1, v0
	v_cndmask_b32_e32 v64, 0xfc, v30, vcc_lo
; %bb.20130:                            ;   in Loop: Header=BB6_16763 Depth=2
	s_or_b32 exec_lo, exec_lo, s28
.LBB6_20131:                            ;   in Loop: Header=BB6_16763 Depth=2
	s_delay_alu instid0(SALU_CYCLE_1) | instskip(SKIP_3) | instid1(VALU_DEP_1)
	s_or_b32 exec_lo, exec_lo, s10
	global_load_b128 v[10:13], v[14:15], off offset:3584 th:TH_LOAD_NT
	s_wait_loadcnt 0x0
	v_and_b32_e32 v0, 0xff, v10
	v_cmp_ne_u16_e32 vcc_lo, 0, v0
	v_mov_b32_e32 v0, 0
	s_wait_xcnt 0x0
	s_and_saveexec_b32 s28, vcc_lo
	s_cbranch_execz .LBB6_20141
; %bb.20132:                            ;   in Loop: Header=BB6_16763 Depth=2
	v_bfe_i32 v2, v10, 0, 8
	v_bfrev_b32_e32 v0, 1
	s_mov_b32 s29, exec_lo
	s_delay_alu instid0(VALU_DEP_2)
	v_cmpx_ne_u16_e32 0xff80, v2
	s_cbranch_execz .LBB6_20140
; %bb.20133:                            ;   in Loop: Header=BB6_16763 Depth=2
	v_and_b32_e32 v0, 0x7c, v10
	v_and_b32_e32 v1, 3, v10
	s_delay_alu instid0(VALU_DEP_2) | instskip(SKIP_1) | instid1(SALU_CYCLE_1)
	v_cmp_ne_u32_e32 vcc_lo, 0x7c, v0
                                        ; implicit-def: $vgpr0
	s_and_saveexec_b32 s10, vcc_lo
	s_xor_b32 s10, exec_lo, s10
	s_cbranch_execz .LBB6_20137
; %bb.20134:                            ;   in Loop: Header=BB6_16763 Depth=2
	v_bfe_u32 v0, v10, 2, 5
	s_mov_b32 s40, exec_lo
	s_delay_alu instid0(VALU_DEP_1)
	v_cmpx_eq_u32_e32 0, v0
; %bb.20135:                            ;   in Loop: Header=BB6_16763 Depth=2
	v_clz_i32_u32_e32 v0, v1
	s_delay_alu instid0(VALU_DEP_1) | instskip(NEXT) | instid1(VALU_DEP_1)
	v_min_u32_e32 v0, 32, v0
	v_subrev_nc_u32_e32 v1, 29, v0
	s_delay_alu instid0(VALU_DEP_1) | instskip(NEXT) | instid1(VALU_DEP_1)
	v_lshlrev_b64_e32 v[2:3], v1, v[10:11]
	v_dual_sub_nc_u32 v0, 30, v0 :: v_dual_bitop2_b32 v1, 3, v2 bitop3:0x40
; %bb.20136:                            ;   in Loop: Header=BB6_16763 Depth=2
	s_or_b32 exec_lo, exec_lo, s40
	v_lshlrev_b32_e32 v2, 24, v10
	s_delay_alu instid0(VALU_DEP_1) | instskip(NEXT) | instid1(VALU_DEP_1)
	v_and_b32_e32 v2, 0x80000000, v2
	v_lshl_add_u32 v0, v0, 23, v2
                                        ; implicit-def: $vgpr2
	s_delay_alu instid0(VALU_DEP_1) | instskip(NEXT) | instid1(VALU_DEP_1)
	v_lshl_or_b32 v0, v1, 21, v0
                                        ; implicit-def: $vgpr1
	v_add_nc_u32_e32 v0, 0x38000000, v0
.LBB6_20137:                            ;   in Loop: Header=BB6_16763 Depth=2
	s_and_not1_saveexec_b32 s40, s10
; %bb.20138:                            ;   in Loop: Header=BB6_16763 Depth=2
	v_cmp_lt_i16_e64 s10, -1, v2
	v_cmp_eq_u32_e32 vcc_lo, 0, v1
	s_delay_alu instid0(VALU_DEP_2) | instskip(NEXT) | instid1(VALU_DEP_1)
	v_cndmask_b32_e64 v0, 0xff800000, v29, s10
	v_cndmask_b32_e32 v0, 0x7f800001, v0, vcc_lo
; %bb.20139:                            ;   in Loop: Header=BB6_16763 Depth=2
	s_or_b32 exec_lo, exec_lo, s40
.LBB6_20140:                            ;   in Loop: Header=BB6_16763 Depth=2
	s_delay_alu instid0(SALU_CYCLE_1)
	s_or_b32 exec_lo, exec_lo, s29
.LBB6_20141:                            ;   in Loop: Header=BB6_16763 Depth=2
	s_delay_alu instid0(SALU_CYCLE_1) | instskip(NEXT) | instid1(VALU_DEP_1)
	s_or_b32 exec_lo, exec_lo, s28
	v_dual_mul_f32 v0, s27, v0 :: v_dual_mov_b32 v3, v55
                                        ; implicit-def: $vgpr65
	s_mov_b32 s10, exec_lo
	s_delay_alu instid0(VALU_DEP_1) | instskip(SKIP_2) | instid1(VALU_DEP_3)
	v_and_b32_e32 v2, 0x7f800000, v0
	v_and_b32_e32 v54, 0x7fffff, v0
	v_lshrrev_b32_e32 v1, 24, v0
	v_cmpx_ne_u64_e32 0x7f800000, v[2:3]
	s_xor_b32 s28, exec_lo, s10
	s_cbranch_execz .LBB6_20155
; %bb.20142:                            ;   in Loop: Header=BB6_16763 Depth=2
	v_and_b32_e32 v2, 0x7fffffff, v0
	v_mov_b32_e32 v3, v55
	v_and_b32_e32 v14, 0x80, v1
                                        ; implicit-def: $vgpr65
	s_mov_b32 s10, exec_lo
	s_delay_alu instid0(VALU_DEP_2)
	v_cmpx_gt_u64_e32 0x47600001, v[2:3]
	s_xor_b32 s29, exec_lo, s10
	s_cbranch_execz .LBB6_20152
; %bb.20143:                            ;   in Loop: Header=BB6_16763 Depth=2
	v_mov_b32_e32 v65, 0
	s_mov_b32 s40, exec_lo
	v_cmpx_ne_u32_e32 0, v0
	s_cbranch_execz .LBB6_20151
; %bb.20144:                            ;   in Loop: Header=BB6_16763 Depth=2
	v_bfe_u32 v15, v0, 23, 8
	v_or_b32_e32 v1, 0x800000, v54
	s_delay_alu instid0(VALU_DEP_2) | instskip(SKIP_2) | instid1(VALU_DEP_2)
	v_cmp_gt_u32_e64 s10, 0x72, v15
	v_sub_nc_u32_e32 v0, 0x71, v15
	v_cmp_eq_u32_e32 vcc_lo, 0, v15
	v_cndmask_b32_e64 v0, 0, v0, s10
	s_delay_alu instid0(VALU_DEP_1) | instskip(SKIP_1) | instid1(VALU_DEP_2)
	v_cndmask_b32_e64 v39, v0, 0x70, vcc_lo
	v_dual_cndmask_b32 v0, v1, v54 :: v_dual_mov_b32 v1, v55
	v_dual_add_nc_u32 v2, 21, v39 :: v_dual_add_nc_u32 v48, 20, v39
	s_delay_alu instid0(VALU_DEP_1) | instskip(NEXT) | instid1(VALU_DEP_2)
	v_lshlrev_b64_e64 v[2:3], v2, -1
	v_lshlrev_b64_e64 v[48:49], v48, 1
	s_delay_alu instid0(VALU_DEP_2) | instskip(SKIP_1) | instid1(VALU_DEP_4)
	v_bfi_b32 v2, v2, 0, v0
	v_lshrrev_b64 v[0:1], v39, v[0:1]
	v_bfi_b32 v3, v3, 0, 0
	s_delay_alu instid0(VALU_DEP_1) | instskip(NEXT) | instid1(VALU_DEP_3)
	v_cmp_eq_u64_e64 s10, v[2:3], v[48:49]
	v_mov_b64_e32 v[2:3], v[0:1]
	s_and_saveexec_b32 s41, s10
; %bb.20145:                            ;   in Loop: Header=BB6_16763 Depth=2
	v_bfe_u32 v2, v0, 21, 1
	v_mov_b32_e32 v3, v55
	s_delay_alu instid0(VALU_DEP_1) | instskip(NEXT) | instid1(VALU_DEP_1)
	v_add_nc_u64_e32 v[2:3], v[0:1], v[2:3]
	v_add_nc_u64_e32 v[2:3], -1, v[2:3]
; %bb.20146:                            ;   in Loop: Header=BB6_16763 Depth=2
	s_or_b32 exec_lo, exec_lo, s41
	v_add_nc_u32_e32 v1, 0xffffff81, v15
	s_delay_alu instid0(VALU_DEP_2) | instskip(SKIP_2) | instid1(VALU_DEP_3)
	v_and_b32_e32 v2, 0x1fffff, v2
	v_lshrrev_b32_e32 v3, 23, v0
	s_mov_b32 s10, exec_lo
	v_cndmask_b32_e64 v1, v1, 0xffffff82, vcc_lo
	s_delay_alu instid0(VALU_DEP_3) | instskip(NEXT) | instid1(VALU_DEP_2)
	v_add_nc_u32_e32 v54, v2, v0
                                        ; implicit-def: $vgpr2
	v_add3_u32 v15, v39, v1, v3
                                        ; implicit-def: $vgpr0_vgpr1
	s_delay_alu instid0(VALU_DEP_1) | instskip(NEXT) | instid1(VALU_DEP_1)
	v_add_nc_u32_e32 v3, 14, v15
	v_cmpx_ne_u32_e32 0, v3
	s_xor_b32 s10, exec_lo, s10
; %bb.20147:                            ;   in Loop: Header=BB6_16763 Depth=2
	v_cmp_lt_u64_e32 vcc_lo, 0xffffff, v[54:55]
	v_add_nc_u32_e32 v0, 15, v15
	s_delay_alu instid0(VALU_DEP_1) | instskip(SKIP_1) | instid1(VALU_DEP_1)
	v_cndmask_b32_e32 v2, v3, v0, vcc_lo
	v_cndmask_b32_e64 v0, 0, 1, vcc_lo
	v_lshrrev_b64 v[0:1], v0, v[54:55]
; %bb.20148:                            ;   in Loop: Header=BB6_16763 Depth=2
	s_and_not1_saveexec_b32 s10, s10
; %bb.20149:                            ;   in Loop: Header=BB6_16763 Depth=2
	v_mov_b64_e32 v[0:1], v[54:55]
	v_bfe_u32 v2, v54, 23, 1
; %bb.20150:                            ;   in Loop: Header=BB6_16763 Depth=2
	s_or_b32 exec_lo, exec_lo, s10
	s_delay_alu instid0(VALU_DEP_2) | instskip(NEXT) | instid1(VALU_DEP_2)
	v_lshrrev_b64 v[0:1], 21, v[0:1]
	v_cmp_gt_i32_e32 vcc_lo, 32, v2
	v_min_i32_e32 v3, 31, v2
	v_cmp_eq_u32_e64 s10, 0, v2
	s_delay_alu instid0(VALU_DEP_2) | instskip(SKIP_1) | instid1(VALU_DEP_2)
	v_dual_cndmask_b32 v1, 0, v1, vcc_lo :: v_dual_lshlrev_b32 v3, 2, v3
	v_cndmask_b32_e32 v0, 3, v0, vcc_lo
	v_and_b32_e32 v3, 0xfc, v3
	s_delay_alu instid0(VALU_DEP_2) | instskip(NEXT) | instid1(VALU_DEP_2)
	v_cmp_eq_u64_e32 vcc_lo, 0, v[0:1]
	v_and_or_b32 v0, v0, 3, v3
	s_and_b32 s10, s10, vcc_lo
	s_delay_alu instid0(VALU_DEP_1) | instid1(SALU_CYCLE_1)
	v_cndmask_b32_e64 v0, v0, 0, s10
	s_delay_alu instid0(VALU_DEP_1)
	v_or_b32_e32 v65, v0, v14
.LBB6_20151:                            ;   in Loop: Header=BB6_16763 Depth=2
	s_or_b32 exec_lo, exec_lo, s40
                                        ; implicit-def: $vgpr14
.LBB6_20152:                            ;   in Loop: Header=BB6_16763 Depth=2
	s_and_not1_saveexec_b32 s10, s29
; %bb.20153:                            ;   in Loop: Header=BB6_16763 Depth=2
	v_or_b32_e32 v65, 0x7b, v14
; %bb.20154:                            ;   in Loop: Header=BB6_16763 Depth=2
	s_or_b32 exec_lo, exec_lo, s10
                                        ; implicit-def: $vgpr0
                                        ; implicit-def: $vgpr1
.LBB6_20155:                            ;   in Loop: Header=BB6_16763 Depth=2
	s_and_not1_saveexec_b32 s10, s28
	s_cbranch_execz .LBB6_20161
; %bb.20156:                            ;   in Loop: Header=BB6_16763 Depth=2
	s_mov_b32 s28, exec_lo
                                        ; implicit-def: $vgpr65
	v_cmpx_ne_u64_e32 0, v[54:55]
	s_xor_b32 s28, exec_lo, s28
; %bb.20157:                            ;   in Loop: Header=BB6_16763 Depth=2
	v_or_b32_e32 v65, 0x7f, v1
                                        ; implicit-def: $vgpr0
; %bb.20158:                            ;   in Loop: Header=BB6_16763 Depth=2
	s_and_not1_saveexec_b32 s28, s28
; %bb.20159:                            ;   in Loop: Header=BB6_16763 Depth=2
	v_cmp_lt_i32_e32 vcc_lo, -1, v0
	v_cndmask_b32_e32 v65, 0xfc, v30, vcc_lo
; %bb.20160:                            ;   in Loop: Header=BB6_16763 Depth=2
	s_or_b32 exec_lo, exec_lo, s28
.LBB6_20161:                            ;   in Loop: Header=BB6_16763 Depth=2
	s_delay_alu instid0(SALU_CYCLE_1) | instskip(SKIP_3) | instid1(VALU_DEP_2)
	s_or_b32 exec_lo, exec_lo, s10
	v_lshrrev_b16 v0, 8, v10
	v_mov_b32_e32 v1, 0
	s_mov_b32 s28, exec_lo
	v_cmpx_ne_u16_e32 0, v0
	s_cbranch_execz .LBB6_20171
; %bb.20162:                            ;   in Loop: Header=BB6_16763 Depth=2
	v_bfrev_b32_e32 v1, 1
	s_mov_b32 s29, exec_lo
	v_cmpx_ne_u16_e32 0x80, v0
	s_cbranch_execz .LBB6_20170
; %bb.20163:                            ;   in Loop: Header=BB6_16763 Depth=2
	v_and_b32_e32 v3, 0xffff, v0
	s_delay_alu instid0(VALU_DEP_1) | instskip(SKIP_1) | instid1(VALU_DEP_2)
	v_and_b32_e32 v1, 0x7c, v3
	v_and_b32_e32 v2, 3, v3
	v_cmp_ne_u32_e32 vcc_lo, 0x7c, v1
                                        ; implicit-def: $vgpr1
	s_and_saveexec_b32 s10, vcc_lo
	s_delay_alu instid0(SALU_CYCLE_1)
	s_xor_b32 s10, exec_lo, s10
	s_cbranch_execz .LBB6_20167
; %bb.20164:                            ;   in Loop: Header=BB6_16763 Depth=2
	v_bfe_u32 v1, v3, 2, 5
	s_mov_b32 s40, exec_lo
	s_delay_alu instid0(VALU_DEP_1)
	v_cmpx_eq_u32_e32 0, v1
; %bb.20165:                            ;   in Loop: Header=BB6_16763 Depth=2
	v_clz_i32_u32_e32 v1, v2
	s_delay_alu instid0(VALU_DEP_1) | instskip(SKIP_1) | instid1(VALU_DEP_2)
	v_min_u32_e32 v2, 32, v1
	v_mov_b32_e32 v1, v55
	v_subrev_nc_u32_e32 v3, 29, v2
	s_delay_alu instid0(VALU_DEP_1) | instskip(NEXT) | instid1(VALU_DEP_1)
	v_lshlrev_b64_e32 v[0:1], v3, v[0:1]
	v_dual_sub_nc_u32 v1, 30, v2 :: v_dual_bitop2_b32 v2, 3, v0 bitop3:0x40
; %bb.20166:                            ;   in Loop: Header=BB6_16763 Depth=2
	s_or_b32 exec_lo, exec_lo, s40
	v_lshlrev_b32_e32 v0, 16, v10
	s_delay_alu instid0(VALU_DEP_1) | instskip(NEXT) | instid1(VALU_DEP_1)
	v_and_b32_e32 v0, 0x80000000, v0
	v_lshl_add_u32 v0, v1, 23, v0
	s_delay_alu instid0(VALU_DEP_1) | instskip(NEXT) | instid1(VALU_DEP_1)
	v_lshl_or_b32 v0, v2, 21, v0
                                        ; implicit-def: $vgpr2
	v_add_nc_u32_e32 v1, 0x38000000, v0
.LBB6_20167:                            ;   in Loop: Header=BB6_16763 Depth=2
	s_and_not1_saveexec_b32 s40, s10
; %bb.20168:                            ;   in Loop: Header=BB6_16763 Depth=2
	v_cmp_lt_i16_e64 s10, -1, v10
	v_cmp_eq_u32_e32 vcc_lo, 0, v2
	s_delay_alu instid0(VALU_DEP_2) | instskip(NEXT) | instid1(VALU_DEP_1)
	v_cndmask_b32_e64 v0, 0xff800000, v29, s10
	v_cndmask_b32_e32 v1, 0x7f800001, v0, vcc_lo
; %bb.20169:                            ;   in Loop: Header=BB6_16763 Depth=2
	s_or_b32 exec_lo, exec_lo, s40
.LBB6_20170:                            ;   in Loop: Header=BB6_16763 Depth=2
	s_delay_alu instid0(SALU_CYCLE_1)
	s_or_b32 exec_lo, exec_lo, s29
.LBB6_20171:                            ;   in Loop: Header=BB6_16763 Depth=2
	s_delay_alu instid0(SALU_CYCLE_1) | instskip(NEXT) | instid1(VALU_DEP_1)
	s_or_b32 exec_lo, exec_lo, s28
	v_dual_mul_f32 v0, s27, v1 :: v_dual_mov_b32 v3, v55
                                        ; implicit-def: $vgpr39
	s_mov_b32 s10, exec_lo
	s_delay_alu instid0(VALU_DEP_1) | instskip(SKIP_2) | instid1(VALU_DEP_3)
	v_and_b32_e32 v2, 0x7f800000, v0
	v_and_b32_e32 v54, 0x7fffff, v0
	v_lshrrev_b32_e32 v1, 24, v0
	v_cmpx_ne_u64_e32 0x7f800000, v[2:3]
	s_xor_b32 s28, exec_lo, s10
	s_cbranch_execz .LBB6_20185
; %bb.20172:                            ;   in Loop: Header=BB6_16763 Depth=2
	v_and_b32_e32 v2, 0x7fffffff, v0
	v_mov_b32_e32 v3, v55
	v_and_b32_e32 v14, 0x80, v1
                                        ; implicit-def: $vgpr39
	s_mov_b32 s10, exec_lo
	s_delay_alu instid0(VALU_DEP_2)
	v_cmpx_gt_u64_e32 0x47600001, v[2:3]
	s_xor_b32 s29, exec_lo, s10
	s_cbranch_execz .LBB6_20182
; %bb.20173:                            ;   in Loop: Header=BB6_16763 Depth=2
	v_mov_b32_e32 v39, 0
	s_mov_b32 s40, exec_lo
	v_cmpx_ne_u32_e32 0, v0
	s_cbranch_execz .LBB6_20181
; %bb.20174:                            ;   in Loop: Header=BB6_16763 Depth=2
	v_bfe_u32 v15, v0, 23, 8
	v_or_b32_e32 v1, 0x800000, v54
	s_delay_alu instid0(VALU_DEP_2) | instskip(SKIP_2) | instid1(VALU_DEP_2)
	v_cmp_gt_u32_e64 s10, 0x72, v15
	v_sub_nc_u32_e32 v0, 0x71, v15
	v_cmp_eq_u32_e32 vcc_lo, 0, v15
	v_cndmask_b32_e64 v0, 0, v0, s10
	s_delay_alu instid0(VALU_DEP_1) | instskip(SKIP_1) | instid1(VALU_DEP_2)
	v_cndmask_b32_e64 v39, v0, 0x70, vcc_lo
	v_dual_cndmask_b32 v0, v1, v54 :: v_dual_mov_b32 v1, v55
	v_dual_add_nc_u32 v2, 21, v39 :: v_dual_add_nc_u32 v48, 20, v39
	s_delay_alu instid0(VALU_DEP_1) | instskip(NEXT) | instid1(VALU_DEP_2)
	v_lshlrev_b64_e64 v[2:3], v2, -1
	v_lshlrev_b64_e64 v[48:49], v48, 1
	s_delay_alu instid0(VALU_DEP_2) | instskip(SKIP_1) | instid1(VALU_DEP_4)
	v_bfi_b32 v2, v2, 0, v0
	v_lshrrev_b64 v[0:1], v39, v[0:1]
	v_bfi_b32 v3, v3, 0, 0
	s_delay_alu instid0(VALU_DEP_1) | instskip(NEXT) | instid1(VALU_DEP_3)
	v_cmp_eq_u64_e64 s10, v[2:3], v[48:49]
	v_mov_b64_e32 v[2:3], v[0:1]
	s_and_saveexec_b32 s41, s10
; %bb.20175:                            ;   in Loop: Header=BB6_16763 Depth=2
	v_bfe_u32 v2, v0, 21, 1
	v_mov_b32_e32 v3, v55
	s_delay_alu instid0(VALU_DEP_1) | instskip(NEXT) | instid1(VALU_DEP_1)
	v_add_nc_u64_e32 v[2:3], v[0:1], v[2:3]
	v_add_nc_u64_e32 v[2:3], -1, v[2:3]
; %bb.20176:                            ;   in Loop: Header=BB6_16763 Depth=2
	s_or_b32 exec_lo, exec_lo, s41
	v_add_nc_u32_e32 v1, 0xffffff81, v15
	s_delay_alu instid0(VALU_DEP_2) | instskip(SKIP_2) | instid1(VALU_DEP_3)
	v_and_b32_e32 v2, 0x1fffff, v2
	v_lshrrev_b32_e32 v3, 23, v0
	s_mov_b32 s10, exec_lo
	v_cndmask_b32_e64 v1, v1, 0xffffff82, vcc_lo
	s_delay_alu instid0(VALU_DEP_3) | instskip(NEXT) | instid1(VALU_DEP_2)
	v_add_nc_u32_e32 v54, v2, v0
                                        ; implicit-def: $vgpr2
	v_add3_u32 v15, v39, v1, v3
                                        ; implicit-def: $vgpr0_vgpr1
	s_delay_alu instid0(VALU_DEP_1) | instskip(NEXT) | instid1(VALU_DEP_1)
	v_add_nc_u32_e32 v3, 14, v15
	v_cmpx_ne_u32_e32 0, v3
	s_xor_b32 s10, exec_lo, s10
; %bb.20177:                            ;   in Loop: Header=BB6_16763 Depth=2
	v_cmp_lt_u64_e32 vcc_lo, 0xffffff, v[54:55]
	v_add_nc_u32_e32 v0, 15, v15
	s_delay_alu instid0(VALU_DEP_1) | instskip(SKIP_1) | instid1(VALU_DEP_1)
	v_cndmask_b32_e32 v2, v3, v0, vcc_lo
	v_cndmask_b32_e64 v0, 0, 1, vcc_lo
	v_lshrrev_b64 v[0:1], v0, v[54:55]
; %bb.20178:                            ;   in Loop: Header=BB6_16763 Depth=2
	s_and_not1_saveexec_b32 s10, s10
; %bb.20179:                            ;   in Loop: Header=BB6_16763 Depth=2
	v_mov_b64_e32 v[0:1], v[54:55]
	v_bfe_u32 v2, v54, 23, 1
; %bb.20180:                            ;   in Loop: Header=BB6_16763 Depth=2
	s_or_b32 exec_lo, exec_lo, s10
	s_delay_alu instid0(VALU_DEP_2) | instskip(NEXT) | instid1(VALU_DEP_2)
	v_lshrrev_b64 v[0:1], 21, v[0:1]
	v_cmp_gt_i32_e32 vcc_lo, 32, v2
	v_min_i32_e32 v3, 31, v2
	v_cmp_eq_u32_e64 s10, 0, v2
	s_delay_alu instid0(VALU_DEP_2) | instskip(SKIP_1) | instid1(VALU_DEP_2)
	v_dual_cndmask_b32 v1, 0, v1, vcc_lo :: v_dual_lshlrev_b32 v3, 2, v3
	v_cndmask_b32_e32 v0, 3, v0, vcc_lo
	v_and_b32_e32 v3, 0xfc, v3
	s_delay_alu instid0(VALU_DEP_2) | instskip(NEXT) | instid1(VALU_DEP_2)
	v_cmp_eq_u64_e32 vcc_lo, 0, v[0:1]
	v_and_or_b32 v0, v0, 3, v3
	s_and_b32 s10, s10, vcc_lo
	s_delay_alu instid0(VALU_DEP_1) | instid1(SALU_CYCLE_1)
	v_cndmask_b32_e64 v0, v0, 0, s10
	s_delay_alu instid0(VALU_DEP_1)
	v_or_b32_e32 v39, v0, v14
.LBB6_20181:                            ;   in Loop: Header=BB6_16763 Depth=2
	s_or_b32 exec_lo, exec_lo, s40
                                        ; implicit-def: $vgpr14
.LBB6_20182:                            ;   in Loop: Header=BB6_16763 Depth=2
	s_and_not1_saveexec_b32 s10, s29
; %bb.20183:                            ;   in Loop: Header=BB6_16763 Depth=2
	v_or_b32_e32 v39, 0x7b, v14
; %bb.20184:                            ;   in Loop: Header=BB6_16763 Depth=2
	s_or_b32 exec_lo, exec_lo, s10
                                        ; implicit-def: $vgpr0
                                        ; implicit-def: $vgpr1
.LBB6_20185:                            ;   in Loop: Header=BB6_16763 Depth=2
	s_and_not1_saveexec_b32 s10, s28
	s_cbranch_execz .LBB6_20191
; %bb.20186:                            ;   in Loop: Header=BB6_16763 Depth=2
	s_mov_b32 s28, exec_lo
                                        ; implicit-def: $vgpr39
	v_cmpx_ne_u64_e32 0, v[54:55]
	s_xor_b32 s28, exec_lo, s28
; %bb.20187:                            ;   in Loop: Header=BB6_16763 Depth=2
	v_or_b32_e32 v39, 0x7f, v1
                                        ; implicit-def: $vgpr0
; %bb.20188:                            ;   in Loop: Header=BB6_16763 Depth=2
	s_and_not1_saveexec_b32 s28, s28
; %bb.20189:                            ;   in Loop: Header=BB6_16763 Depth=2
	v_cmp_lt_i32_e32 vcc_lo, -1, v0
	v_cndmask_b32_e32 v39, 0xfc, v30, vcc_lo
; %bb.20190:                            ;   in Loop: Header=BB6_16763 Depth=2
	s_or_b32 exec_lo, exec_lo, s28
.LBB6_20191:                            ;   in Loop: Header=BB6_16763 Depth=2
	s_delay_alu instid0(SALU_CYCLE_1) | instskip(SKIP_2) | instid1(VALU_DEP_1)
	s_or_b32 exec_lo, exec_lo, s10
	v_dual_mov_b32 v1, 0 :: v_dual_lshrrev_b32 v0, 16, v10
	s_mov_b32 s28, exec_lo
	v_and_b32_e32 v2, 0xff, v0
	s_delay_alu instid0(VALU_DEP_1)
	v_cmpx_ne_u16_e32 0, v2
	s_cbranch_execz .LBB6_20201
; %bb.20192:                            ;   in Loop: Header=BB6_16763 Depth=2
	v_bfrev_b32_e32 v1, 1
	s_mov_b32 s29, exec_lo
	v_cmpx_ne_u16_e32 0x80, v2
	s_cbranch_execz .LBB6_20200
; %bb.20193:                            ;   in Loop: Header=BB6_16763 Depth=2
	v_and_b32_e32 v1, 0x7c0000, v10
	v_bfe_u32 v2, v10, 16, 2
	s_delay_alu instid0(VALU_DEP_2) | instskip(SKIP_1) | instid1(SALU_CYCLE_1)
	v_cmp_ne_u32_e32 vcc_lo, 0x7c0000, v1
                                        ; implicit-def: $vgpr1
	s_and_saveexec_b32 s10, vcc_lo
	s_xor_b32 s10, exec_lo, s10
	s_cbranch_execz .LBB6_20197
; %bb.20194:                            ;   in Loop: Header=BB6_16763 Depth=2
	v_bfe_u32 v1, v10, 18, 5
	s_mov_b32 s40, exec_lo
	s_delay_alu instid0(VALU_DEP_1)
	v_cmpx_eq_u32_e32 0, v1
; %bb.20195:                            ;   in Loop: Header=BB6_16763 Depth=2
	v_clz_i32_u32_e32 v1, v2
	s_delay_alu instid0(VALU_DEP_1) | instskip(NEXT) | instid1(VALU_DEP_1)
	v_min_u32_e32 v1, 32, v1
	v_subrev_nc_u32_e32 v2, 29, v1
	s_delay_alu instid0(VALU_DEP_1) | instskip(NEXT) | instid1(VALU_DEP_1)
	v_lshlrev_b64_e32 v[2:3], v2, v[0:1]
	v_dual_sub_nc_u32 v1, 30, v1 :: v_dual_bitop2_b32 v2, 3, v2 bitop3:0x40
; %bb.20196:                            ;   in Loop: Header=BB6_16763 Depth=2
	s_or_b32 exec_lo, exec_lo, s40
	v_lshlrev_b32_e32 v0, 24, v0
	s_delay_alu instid0(VALU_DEP_1) | instskip(NEXT) | instid1(VALU_DEP_1)
	v_and_b32_e32 v0, 0x80000000, v0
	v_lshl_add_u32 v0, v1, 23, v0
	s_delay_alu instid0(VALU_DEP_1) | instskip(NEXT) | instid1(VALU_DEP_1)
	v_lshl_or_b32 v0, v2, 21, v0
                                        ; implicit-def: $vgpr2
	v_add_nc_u32_e32 v1, 0x38000000, v0
                                        ; implicit-def: $vgpr0
.LBB6_20197:                            ;   in Loop: Header=BB6_16763 Depth=2
	s_and_not1_saveexec_b32 s40, s10
; %bb.20198:                            ;   in Loop: Header=BB6_16763 Depth=2
	v_bfe_i32 v0, v0, 0, 8
	v_cmp_eq_u32_e32 vcc_lo, 0, v2
	s_delay_alu instid0(VALU_DEP_2) | instskip(NEXT) | instid1(VALU_DEP_1)
	v_cmp_lt_i16_e64 s10, -1, v0
	v_cndmask_b32_e64 v0, 0xff800000, v29, s10
	s_delay_alu instid0(VALU_DEP_1)
	v_cndmask_b32_e32 v1, 0x7f800001, v0, vcc_lo
; %bb.20199:                            ;   in Loop: Header=BB6_16763 Depth=2
	s_or_b32 exec_lo, exec_lo, s40
.LBB6_20200:                            ;   in Loop: Header=BB6_16763 Depth=2
	s_delay_alu instid0(SALU_CYCLE_1)
	s_or_b32 exec_lo, exec_lo, s29
.LBB6_20201:                            ;   in Loop: Header=BB6_16763 Depth=2
	s_delay_alu instid0(SALU_CYCLE_1) | instskip(NEXT) | instid1(VALU_DEP_1)
	s_or_b32 exec_lo, exec_lo, s28
	v_dual_mul_f32 v0, s27, v1 :: v_dual_mov_b32 v3, v55
                                        ; implicit-def: $vgpr48
	s_mov_b32 s10, exec_lo
	s_delay_alu instid0(VALU_DEP_1) | instskip(SKIP_2) | instid1(VALU_DEP_3)
	v_and_b32_e32 v2, 0x7f800000, v0
	v_and_b32_e32 v54, 0x7fffff, v0
	v_lshrrev_b32_e32 v1, 24, v0
	v_cmpx_ne_u64_e32 0x7f800000, v[2:3]
	s_xor_b32 s28, exec_lo, s10
	s_cbranch_execz .LBB6_20215
; %bb.20202:                            ;   in Loop: Header=BB6_16763 Depth=2
	v_and_b32_e32 v2, 0x7fffffff, v0
	v_mov_b32_e32 v3, v55
	v_and_b32_e32 v14, 0x80, v1
                                        ; implicit-def: $vgpr48
	s_mov_b32 s10, exec_lo
	s_delay_alu instid0(VALU_DEP_2)
	v_cmpx_gt_u64_e32 0x47600001, v[2:3]
	s_xor_b32 s29, exec_lo, s10
	s_cbranch_execz .LBB6_20212
; %bb.20203:                            ;   in Loop: Header=BB6_16763 Depth=2
	v_mov_b32_e32 v48, 0
	s_mov_b32 s40, exec_lo
	v_cmpx_ne_u32_e32 0, v0
	s_cbranch_execz .LBB6_20211
; %bb.20204:                            ;   in Loop: Header=BB6_16763 Depth=2
	v_bfe_u32 v15, v0, 23, 8
	v_or_b32_e32 v1, 0x800000, v54
	s_delay_alu instid0(VALU_DEP_2) | instskip(SKIP_2) | instid1(VALU_DEP_2)
	v_cmp_gt_u32_e64 s10, 0x72, v15
	v_sub_nc_u32_e32 v0, 0x71, v15
	v_cmp_eq_u32_e32 vcc_lo, 0, v15
	v_cndmask_b32_e64 v0, 0, v0, s10
	s_delay_alu instid0(VALU_DEP_1) | instskip(SKIP_1) | instid1(VALU_DEP_2)
	v_cndmask_b32_e64 v48, v0, 0x70, vcc_lo
	v_dual_cndmask_b32 v0, v1, v54 :: v_dual_mov_b32 v1, v55
	v_dual_add_nc_u32 v2, 21, v48 :: v_dual_add_nc_u32 v49, 20, v48
	s_delay_alu instid0(VALU_DEP_1) | instskip(NEXT) | instid1(VALU_DEP_2)
	v_lshlrev_b64_e64 v[2:3], v2, -1
	v_lshlrev_b64_e64 v[50:51], v49, 1
	s_delay_alu instid0(VALU_DEP_2) | instskip(SKIP_1) | instid1(VALU_DEP_4)
	v_bfi_b32 v2, v2, 0, v0
	v_lshrrev_b64 v[0:1], v48, v[0:1]
	v_bfi_b32 v3, v3, 0, 0
	s_delay_alu instid0(VALU_DEP_1) | instskip(NEXT) | instid1(VALU_DEP_3)
	v_cmp_eq_u64_e64 s10, v[2:3], v[50:51]
	v_mov_b64_e32 v[2:3], v[0:1]
	s_and_saveexec_b32 s41, s10
; %bb.20205:                            ;   in Loop: Header=BB6_16763 Depth=2
	v_bfe_u32 v2, v0, 21, 1
	v_mov_b32_e32 v3, v55
	s_delay_alu instid0(VALU_DEP_1) | instskip(NEXT) | instid1(VALU_DEP_1)
	v_add_nc_u64_e32 v[2:3], v[0:1], v[2:3]
	v_add_nc_u64_e32 v[2:3], -1, v[2:3]
; %bb.20206:                            ;   in Loop: Header=BB6_16763 Depth=2
	s_or_b32 exec_lo, exec_lo, s41
	v_add_nc_u32_e32 v1, 0xffffff81, v15
	s_delay_alu instid0(VALU_DEP_2) | instskip(SKIP_2) | instid1(VALU_DEP_3)
	v_and_b32_e32 v2, 0x1fffff, v2
	v_lshrrev_b32_e32 v3, 23, v0
	s_mov_b32 s10, exec_lo
	v_cndmask_b32_e64 v1, v1, 0xffffff82, vcc_lo
	s_delay_alu instid0(VALU_DEP_3) | instskip(NEXT) | instid1(VALU_DEP_2)
	v_add_nc_u32_e32 v54, v2, v0
                                        ; implicit-def: $vgpr2
	v_add3_u32 v15, v48, v1, v3
                                        ; implicit-def: $vgpr0_vgpr1
	s_delay_alu instid0(VALU_DEP_1) | instskip(NEXT) | instid1(VALU_DEP_1)
	v_add_nc_u32_e32 v3, 14, v15
	v_cmpx_ne_u32_e32 0, v3
	s_xor_b32 s10, exec_lo, s10
; %bb.20207:                            ;   in Loop: Header=BB6_16763 Depth=2
	v_cmp_lt_u64_e32 vcc_lo, 0xffffff, v[54:55]
	v_add_nc_u32_e32 v0, 15, v15
	s_delay_alu instid0(VALU_DEP_1) | instskip(SKIP_1) | instid1(VALU_DEP_1)
	v_cndmask_b32_e32 v2, v3, v0, vcc_lo
	v_cndmask_b32_e64 v0, 0, 1, vcc_lo
	v_lshrrev_b64 v[0:1], v0, v[54:55]
; %bb.20208:                            ;   in Loop: Header=BB6_16763 Depth=2
	s_and_not1_saveexec_b32 s10, s10
; %bb.20209:                            ;   in Loop: Header=BB6_16763 Depth=2
	v_mov_b64_e32 v[0:1], v[54:55]
	v_bfe_u32 v2, v54, 23, 1
; %bb.20210:                            ;   in Loop: Header=BB6_16763 Depth=2
	s_or_b32 exec_lo, exec_lo, s10
	s_delay_alu instid0(VALU_DEP_2) | instskip(NEXT) | instid1(VALU_DEP_2)
	v_lshrrev_b64 v[0:1], 21, v[0:1]
	v_cmp_gt_i32_e32 vcc_lo, 32, v2
	v_min_i32_e32 v3, 31, v2
	v_cmp_eq_u32_e64 s10, 0, v2
	s_delay_alu instid0(VALU_DEP_2) | instskip(SKIP_1) | instid1(VALU_DEP_2)
	v_dual_cndmask_b32 v1, 0, v1, vcc_lo :: v_dual_lshlrev_b32 v3, 2, v3
	v_cndmask_b32_e32 v0, 3, v0, vcc_lo
	v_and_b32_e32 v3, 0xfc, v3
	s_delay_alu instid0(VALU_DEP_2) | instskip(NEXT) | instid1(VALU_DEP_2)
	v_cmp_eq_u64_e32 vcc_lo, 0, v[0:1]
	v_and_or_b32 v0, v0, 3, v3
	s_and_b32 s10, s10, vcc_lo
	s_delay_alu instid0(VALU_DEP_1) | instid1(SALU_CYCLE_1)
	v_cndmask_b32_e64 v0, v0, 0, s10
	s_delay_alu instid0(VALU_DEP_1)
	v_or_b32_e32 v48, v0, v14
.LBB6_20211:                            ;   in Loop: Header=BB6_16763 Depth=2
	s_or_b32 exec_lo, exec_lo, s40
                                        ; implicit-def: $vgpr14
.LBB6_20212:                            ;   in Loop: Header=BB6_16763 Depth=2
	s_and_not1_saveexec_b32 s10, s29
; %bb.20213:                            ;   in Loop: Header=BB6_16763 Depth=2
	v_or_b32_e32 v48, 0x7b, v14
; %bb.20214:                            ;   in Loop: Header=BB6_16763 Depth=2
	s_or_b32 exec_lo, exec_lo, s10
                                        ; implicit-def: $vgpr0
                                        ; implicit-def: $vgpr1
.LBB6_20215:                            ;   in Loop: Header=BB6_16763 Depth=2
	s_and_not1_saveexec_b32 s10, s28
	s_cbranch_execz .LBB6_20221
; %bb.20216:                            ;   in Loop: Header=BB6_16763 Depth=2
	s_mov_b32 s28, exec_lo
                                        ; implicit-def: $vgpr48
	v_cmpx_ne_u64_e32 0, v[54:55]
	s_xor_b32 s28, exec_lo, s28
; %bb.20217:                            ;   in Loop: Header=BB6_16763 Depth=2
	v_or_b32_e32 v48, 0x7f, v1
                                        ; implicit-def: $vgpr0
; %bb.20218:                            ;   in Loop: Header=BB6_16763 Depth=2
	s_and_not1_saveexec_b32 s28, s28
; %bb.20219:                            ;   in Loop: Header=BB6_16763 Depth=2
	v_cmp_lt_i32_e32 vcc_lo, -1, v0
	v_cndmask_b32_e32 v48, 0xfc, v30, vcc_lo
; %bb.20220:                            ;   in Loop: Header=BB6_16763 Depth=2
	s_or_b32 exec_lo, exec_lo, s28
.LBB6_20221:                            ;   in Loop: Header=BB6_16763 Depth=2
	s_delay_alu instid0(SALU_CYCLE_1)
	s_or_b32 exec_lo, exec_lo, s10
	v_mov_b32_e32 v1, 0
	s_mov_b32 s28, exec_lo
	v_cmpx_lt_u32_e32 0xffffff, v10
	s_cbranch_execz .LBB6_20231
; %bb.20222:                            ;   in Loop: Header=BB6_16763 Depth=2
	v_lshrrev_b32_e32 v0, 24, v10
	v_bfrev_b32_e32 v1, 1
	s_mov_b32 s29, exec_lo
	s_delay_alu instid0(VALU_DEP_2)
	v_cmpx_ne_u32_e32 0x80, v0
	s_cbranch_execz .LBB6_20230
; %bb.20223:                            ;   in Loop: Header=BB6_16763 Depth=2
	v_and_b32_e32 v1, 0x7c000000, v10
	v_bfe_u32 v2, v10, 24, 2
	s_delay_alu instid0(VALU_DEP_2) | instskip(SKIP_1) | instid1(SALU_CYCLE_1)
	v_cmp_ne_u32_e32 vcc_lo, 0x7c000000, v1
                                        ; implicit-def: $vgpr1
	s_and_saveexec_b32 s10, vcc_lo
	s_xor_b32 s10, exec_lo, s10
	s_cbranch_execz .LBB6_20227
; %bb.20224:                            ;   in Loop: Header=BB6_16763 Depth=2
	v_bfe_u32 v1, v10, 26, 5
	s_mov_b32 s40, exec_lo
	s_delay_alu instid0(VALU_DEP_1)
	v_cmpx_eq_u32_e32 0, v1
; %bb.20225:                            ;   in Loop: Header=BB6_16763 Depth=2
	v_clz_i32_u32_e32 v1, v2
	s_delay_alu instid0(VALU_DEP_1) | instskip(NEXT) | instid1(VALU_DEP_1)
	v_min_u32_e32 v2, 32, v1
	v_subrev_nc_u32_e32 v1, 29, v2
	s_delay_alu instid0(VALU_DEP_1) | instskip(NEXT) | instid1(VALU_DEP_1)
	v_lshlrev_b64_e32 v[0:1], v1, v[0:1]
	v_dual_sub_nc_u32 v1, 30, v2 :: v_dual_bitop2_b32 v2, 3, v0 bitop3:0x40
; %bb.20226:                            ;   in Loop: Header=BB6_16763 Depth=2
	s_or_b32 exec_lo, exec_lo, s40
	v_and_b32_e32 v0, 0x80000000, v10
	s_delay_alu instid0(VALU_DEP_1) | instskip(NEXT) | instid1(VALU_DEP_1)
	v_lshl_add_u32 v0, v1, 23, v0
	v_lshl_or_b32 v0, v2, 21, v0
                                        ; implicit-def: $vgpr2
	s_delay_alu instid0(VALU_DEP_1)
	v_add_nc_u32_e32 v1, 0x38000000, v0
.LBB6_20227:                            ;   in Loop: Header=BB6_16763 Depth=2
	s_and_not1_saveexec_b32 s40, s10
; %bb.20228:                            ;   in Loop: Header=BB6_16763 Depth=2
	v_cmp_lt_i32_e64 s10, -1, v10
	v_cmp_eq_u32_e32 vcc_lo, 0, v2
	s_delay_alu instid0(VALU_DEP_2) | instskip(NEXT) | instid1(VALU_DEP_1)
	v_cndmask_b32_e64 v0, 0xff800000, v29, s10
	v_cndmask_b32_e32 v1, 0x7f800001, v0, vcc_lo
; %bb.20229:                            ;   in Loop: Header=BB6_16763 Depth=2
	s_or_b32 exec_lo, exec_lo, s40
.LBB6_20230:                            ;   in Loop: Header=BB6_16763 Depth=2
	s_delay_alu instid0(SALU_CYCLE_1)
	s_or_b32 exec_lo, exec_lo, s29
.LBB6_20231:                            ;   in Loop: Header=BB6_16763 Depth=2
	s_delay_alu instid0(SALU_CYCLE_1) | instskip(NEXT) | instid1(VALU_DEP_1)
	s_or_b32 exec_lo, exec_lo, s28
	v_dual_mul_f32 v0, s27, v1 :: v_dual_mov_b32 v3, v55
                                        ; implicit-def: $vgpr49
	s_mov_b32 s10, exec_lo
	s_delay_alu instid0(VALU_DEP_1) | instskip(SKIP_2) | instid1(VALU_DEP_3)
	v_and_b32_e32 v2, 0x7f800000, v0
	v_and_b32_e32 v54, 0x7fffff, v0
	v_lshrrev_b32_e32 v1, 24, v0
	v_cmpx_ne_u64_e32 0x7f800000, v[2:3]
	s_xor_b32 s28, exec_lo, s10
	s_cbranch_execz .LBB6_20245
; %bb.20232:                            ;   in Loop: Header=BB6_16763 Depth=2
	v_and_b32_e32 v2, 0x7fffffff, v0
	v_mov_b32_e32 v3, v55
	v_and_b32_e32 v14, 0x80, v1
                                        ; implicit-def: $vgpr49
	s_mov_b32 s10, exec_lo
	s_delay_alu instid0(VALU_DEP_2)
	v_cmpx_gt_u64_e32 0x47600001, v[2:3]
	s_xor_b32 s29, exec_lo, s10
	s_cbranch_execz .LBB6_20242
; %bb.20233:                            ;   in Loop: Header=BB6_16763 Depth=2
	v_mov_b32_e32 v49, 0
	s_mov_b32 s40, exec_lo
	v_cmpx_ne_u32_e32 0, v0
	s_cbranch_execz .LBB6_20241
; %bb.20234:                            ;   in Loop: Header=BB6_16763 Depth=2
	v_bfe_u32 v15, v0, 23, 8
	v_or_b32_e32 v1, 0x800000, v54
	s_delay_alu instid0(VALU_DEP_2) | instskip(SKIP_2) | instid1(VALU_DEP_2)
	v_cmp_gt_u32_e64 s10, 0x72, v15
	v_sub_nc_u32_e32 v0, 0x71, v15
	v_cmp_eq_u32_e32 vcc_lo, 0, v15
	v_cndmask_b32_e64 v0, 0, v0, s10
	s_delay_alu instid0(VALU_DEP_1) | instskip(SKIP_1) | instid1(VALU_DEP_2)
	v_cndmask_b32_e64 v49, v0, 0x70, vcc_lo
	v_dual_cndmask_b32 v0, v1, v54 :: v_dual_mov_b32 v1, v55
	v_dual_add_nc_u32 v2, 21, v49 :: v_dual_add_nc_u32 v50, 20, v49
	s_delay_alu instid0(VALU_DEP_1) | instskip(NEXT) | instid1(VALU_DEP_2)
	v_lshlrev_b64_e64 v[2:3], v2, -1
	v_lshlrev_b64_e64 v[50:51], v50, 1
	s_delay_alu instid0(VALU_DEP_2) | instskip(SKIP_1) | instid1(VALU_DEP_4)
	v_bfi_b32 v2, v2, 0, v0
	v_lshrrev_b64 v[0:1], v49, v[0:1]
	v_bfi_b32 v3, v3, 0, 0
	s_delay_alu instid0(VALU_DEP_1) | instskip(NEXT) | instid1(VALU_DEP_3)
	v_cmp_eq_u64_e64 s10, v[2:3], v[50:51]
	v_mov_b64_e32 v[2:3], v[0:1]
	s_and_saveexec_b32 s41, s10
; %bb.20235:                            ;   in Loop: Header=BB6_16763 Depth=2
	v_bfe_u32 v2, v0, 21, 1
	v_mov_b32_e32 v3, v55
	s_delay_alu instid0(VALU_DEP_1) | instskip(NEXT) | instid1(VALU_DEP_1)
	v_add_nc_u64_e32 v[2:3], v[0:1], v[2:3]
	v_add_nc_u64_e32 v[2:3], -1, v[2:3]
; %bb.20236:                            ;   in Loop: Header=BB6_16763 Depth=2
	s_or_b32 exec_lo, exec_lo, s41
	v_add_nc_u32_e32 v1, 0xffffff81, v15
	s_delay_alu instid0(VALU_DEP_2) | instskip(SKIP_2) | instid1(VALU_DEP_3)
	v_and_b32_e32 v2, 0x1fffff, v2
	v_lshrrev_b32_e32 v3, 23, v0
	s_mov_b32 s10, exec_lo
	v_cndmask_b32_e64 v1, v1, 0xffffff82, vcc_lo
	s_delay_alu instid0(VALU_DEP_3) | instskip(NEXT) | instid1(VALU_DEP_2)
	v_add_nc_u32_e32 v54, v2, v0
                                        ; implicit-def: $vgpr2
	v_add3_u32 v15, v49, v1, v3
                                        ; implicit-def: $vgpr0_vgpr1
	s_delay_alu instid0(VALU_DEP_1) | instskip(NEXT) | instid1(VALU_DEP_1)
	v_add_nc_u32_e32 v3, 14, v15
	v_cmpx_ne_u32_e32 0, v3
	s_xor_b32 s10, exec_lo, s10
; %bb.20237:                            ;   in Loop: Header=BB6_16763 Depth=2
	v_cmp_lt_u64_e32 vcc_lo, 0xffffff, v[54:55]
	v_add_nc_u32_e32 v0, 15, v15
	s_delay_alu instid0(VALU_DEP_1) | instskip(SKIP_1) | instid1(VALU_DEP_1)
	v_cndmask_b32_e32 v2, v3, v0, vcc_lo
	v_cndmask_b32_e64 v0, 0, 1, vcc_lo
	v_lshrrev_b64 v[0:1], v0, v[54:55]
; %bb.20238:                            ;   in Loop: Header=BB6_16763 Depth=2
	s_and_not1_saveexec_b32 s10, s10
; %bb.20239:                            ;   in Loop: Header=BB6_16763 Depth=2
	v_mov_b64_e32 v[0:1], v[54:55]
	v_bfe_u32 v2, v54, 23, 1
; %bb.20240:                            ;   in Loop: Header=BB6_16763 Depth=2
	s_or_b32 exec_lo, exec_lo, s10
	s_delay_alu instid0(VALU_DEP_2) | instskip(NEXT) | instid1(VALU_DEP_2)
	v_lshrrev_b64 v[0:1], 21, v[0:1]
	v_cmp_gt_i32_e32 vcc_lo, 32, v2
	v_min_i32_e32 v3, 31, v2
	v_cmp_eq_u32_e64 s10, 0, v2
	s_delay_alu instid0(VALU_DEP_2) | instskip(SKIP_1) | instid1(VALU_DEP_2)
	v_dual_cndmask_b32 v1, 0, v1, vcc_lo :: v_dual_lshlrev_b32 v3, 2, v3
	v_cndmask_b32_e32 v0, 3, v0, vcc_lo
	v_and_b32_e32 v3, 0xfc, v3
	s_delay_alu instid0(VALU_DEP_2) | instskip(NEXT) | instid1(VALU_DEP_2)
	v_cmp_eq_u64_e32 vcc_lo, 0, v[0:1]
	v_and_or_b32 v0, v0, 3, v3
	s_and_b32 s10, s10, vcc_lo
	s_delay_alu instid0(VALU_DEP_1) | instid1(SALU_CYCLE_1)
	v_cndmask_b32_e64 v0, v0, 0, s10
	s_delay_alu instid0(VALU_DEP_1)
	v_or_b32_e32 v49, v0, v14
.LBB6_20241:                            ;   in Loop: Header=BB6_16763 Depth=2
	s_or_b32 exec_lo, exec_lo, s40
                                        ; implicit-def: $vgpr14
.LBB6_20242:                            ;   in Loop: Header=BB6_16763 Depth=2
	s_and_not1_saveexec_b32 s10, s29
; %bb.20243:                            ;   in Loop: Header=BB6_16763 Depth=2
	v_or_b32_e32 v49, 0x7b, v14
; %bb.20244:                            ;   in Loop: Header=BB6_16763 Depth=2
	s_or_b32 exec_lo, exec_lo, s10
                                        ; implicit-def: $vgpr0
                                        ; implicit-def: $vgpr1
.LBB6_20245:                            ;   in Loop: Header=BB6_16763 Depth=2
	s_and_not1_saveexec_b32 s10, s28
	s_cbranch_execz .LBB6_20251
; %bb.20246:                            ;   in Loop: Header=BB6_16763 Depth=2
	s_mov_b32 s28, exec_lo
                                        ; implicit-def: $vgpr49
	v_cmpx_ne_u64_e32 0, v[54:55]
	s_xor_b32 s28, exec_lo, s28
; %bb.20247:                            ;   in Loop: Header=BB6_16763 Depth=2
	v_or_b32_e32 v49, 0x7f, v1
                                        ; implicit-def: $vgpr0
; %bb.20248:                            ;   in Loop: Header=BB6_16763 Depth=2
	s_and_not1_saveexec_b32 s28, s28
; %bb.20249:                            ;   in Loop: Header=BB6_16763 Depth=2
	v_cmp_lt_i32_e32 vcc_lo, -1, v0
	v_cndmask_b32_e32 v49, 0xfc, v30, vcc_lo
; %bb.20250:                            ;   in Loop: Header=BB6_16763 Depth=2
	s_or_b32 exec_lo, exec_lo, s28
.LBB6_20251:                            ;   in Loop: Header=BB6_16763 Depth=2
	s_delay_alu instid0(SALU_CYCLE_1) | instskip(SKIP_3) | instid1(VALU_DEP_2)
	s_or_b32 exec_lo, exec_lo, s10
	v_and_b32_e32 v1, 0xff, v11
	v_dual_mov_b32 v54, v11 :: v_dual_mov_b32 v0, 0
	s_mov_b32 s28, exec_lo
	v_cmpx_ne_u16_e32 0, v1
	s_cbranch_execz .LBB6_20261
; %bb.20252:                            ;   in Loop: Header=BB6_16763 Depth=2
	v_bfrev_b32_e32 v0, 1
	s_mov_b32 s29, exec_lo
	v_cmpx_ne_u16_e32 0x80, v1
	s_cbranch_execz .LBB6_20260
; %bb.20253:                            ;   in Loop: Header=BB6_16763 Depth=2
	v_and_b32_e32 v0, 0x7c, v11
	v_and_b32_e32 v1, 3, v11
	s_delay_alu instid0(VALU_DEP_2) | instskip(SKIP_1) | instid1(SALU_CYCLE_1)
	v_cmp_ne_u32_e32 vcc_lo, 0x7c, v0
                                        ; implicit-def: $vgpr0
	s_and_saveexec_b32 s10, vcc_lo
	s_xor_b32 s10, exec_lo, s10
	s_cbranch_execz .LBB6_20257
; %bb.20254:                            ;   in Loop: Header=BB6_16763 Depth=2
	v_bfe_u32 v0, v11, 2, 5
	s_mov_b32 s40, exec_lo
	s_delay_alu instid0(VALU_DEP_1)
	v_cmpx_eq_u32_e32 0, v0
; %bb.20255:                            ;   in Loop: Header=BB6_16763 Depth=2
	v_clz_i32_u32_e32 v0, v1
	s_delay_alu instid0(VALU_DEP_1) | instskip(NEXT) | instid1(VALU_DEP_1)
	v_min_u32_e32 v0, 32, v0
	v_subrev_nc_u32_e32 v1, 29, v0
	s_delay_alu instid0(VALU_DEP_1) | instskip(NEXT) | instid1(VALU_DEP_1)
	v_lshlrev_b64_e32 v[2:3], v1, v[54:55]
	v_dual_sub_nc_u32 v0, 30, v0 :: v_dual_bitop2_b32 v1, 3, v2 bitop3:0x40
; %bb.20256:                            ;   in Loop: Header=BB6_16763 Depth=2
	s_or_b32 exec_lo, exec_lo, s40
	v_lshlrev_b32_e32 v2, 24, v11
	s_delay_alu instid0(VALU_DEP_1) | instskip(NEXT) | instid1(VALU_DEP_1)
	v_and_b32_e32 v2, 0x80000000, v2
	v_lshl_add_u32 v0, v0, 23, v2
	s_delay_alu instid0(VALU_DEP_1) | instskip(NEXT) | instid1(VALU_DEP_1)
	v_lshl_or_b32 v0, v1, 21, v0
                                        ; implicit-def: $vgpr1
	v_add_nc_u32_e32 v0, 0x38000000, v0
.LBB6_20257:                            ;   in Loop: Header=BB6_16763 Depth=2
	s_and_not1_saveexec_b32 s40, s10
; %bb.20258:                            ;   in Loop: Header=BB6_16763 Depth=2
	v_bfe_i32 v0, v11, 0, 8
	v_cmp_eq_u32_e32 vcc_lo, 0, v1
	s_delay_alu instid0(VALU_DEP_2) | instskip(NEXT) | instid1(VALU_DEP_1)
	v_cmp_lt_i16_e64 s10, -1, v0
	v_cndmask_b32_e64 v0, 0xff800000, v29, s10
	s_delay_alu instid0(VALU_DEP_1)
	v_cndmask_b32_e32 v0, 0x7f800001, v0, vcc_lo
; %bb.20259:                            ;   in Loop: Header=BB6_16763 Depth=2
	s_or_b32 exec_lo, exec_lo, s40
.LBB6_20260:                            ;   in Loop: Header=BB6_16763 Depth=2
	s_delay_alu instid0(SALU_CYCLE_1)
	s_or_b32 exec_lo, exec_lo, s29
.LBB6_20261:                            ;   in Loop: Header=BB6_16763 Depth=2
	s_delay_alu instid0(SALU_CYCLE_1) | instskip(NEXT) | instid1(VALU_DEP_1)
	s_or_b32 exec_lo, exec_lo, s28
	v_dual_mul_f32 v2, s27, v0 :: v_dual_mov_b32 v15, v55
	v_mov_b32_e32 v1, v55
                                        ; implicit-def: $vgpr50
	s_mov_b32 s10, exec_lo
	s_delay_alu instid0(VALU_DEP_2) | instskip(SKIP_2) | instid1(VALU_DEP_3)
	v_and_b32_e32 v14, 0x7f800000, v2
	v_and_b32_e32 v0, 0x7fffff, v2
	v_lshrrev_b32_e32 v3, 24, v2
	v_cmpx_ne_u64_e32 0x7f800000, v[14:15]
	s_xor_b32 s28, exec_lo, s10
	s_cbranch_execz .LBB6_20275
; %bb.20262:                            ;   in Loop: Header=BB6_16763 Depth=2
	v_and_b32_e32 v14, 0x7fffffff, v2
	v_mov_b32_e32 v15, v55
                                        ; implicit-def: $vgpr50
	s_delay_alu instid0(VALU_DEP_1) | instskip(SKIP_2) | instid1(SALU_CYCLE_1)
	v_cmp_gt_u64_e32 vcc_lo, 0x47600001, v[14:15]
	v_and_b32_e32 v14, 0x80, v3
	s_and_saveexec_b32 s10, vcc_lo
	s_xor_b32 s29, exec_lo, s10
	s_cbranch_execz .LBB6_20272
; %bb.20263:                            ;   in Loop: Header=BB6_16763 Depth=2
	v_mov_b32_e32 v50, 0
	s_mov_b32 s40, exec_lo
	v_cmpx_ne_u32_e32 0, v2
	s_cbranch_execz .LBB6_20271
; %bb.20264:                            ;   in Loop: Header=BB6_16763 Depth=2
	v_bfe_u32 v15, v2, 23, 8
	v_or_b32_e32 v3, 0x800000, v0
	s_delay_alu instid0(VALU_DEP_2) | instskip(SKIP_2) | instid1(VALU_DEP_2)
	v_cmp_gt_u32_e64 s10, 0x72, v15
	v_sub_nc_u32_e32 v2, 0x71, v15
	v_cmp_eq_u32_e32 vcc_lo, 0, v15
	v_dual_cndmask_b32 v2, 0, v2, s10 :: v_dual_cndmask_b32 v0, v3, v0, vcc_lo
	s_delay_alu instid0(VALU_DEP_1) | instskip(NEXT) | instid1(VALU_DEP_1)
	v_cndmask_b32_e64 v50, v2, 0x70, vcc_lo
	v_dual_add_nc_u32 v2, 21, v50 :: v_dual_add_nc_u32 v51, 20, v50
	s_delay_alu instid0(VALU_DEP_1) | instskip(NEXT) | instid1(VALU_DEP_2)
	v_lshlrev_b64_e64 v[2:3], v2, -1
	v_lshlrev_b64_e64 v[52:53], v51, 1
	s_delay_alu instid0(VALU_DEP_2) | instskip(SKIP_1) | instid1(VALU_DEP_4)
	v_bfi_b32 v2, v2, 0, v0
	v_lshrrev_b64 v[0:1], v50, v[0:1]
	v_bfi_b32 v3, v3, 0, 0
	s_delay_alu instid0(VALU_DEP_1) | instskip(NEXT) | instid1(VALU_DEP_3)
	v_cmp_eq_u64_e64 s10, v[2:3], v[52:53]
	v_mov_b64_e32 v[2:3], v[0:1]
	s_and_saveexec_b32 s41, s10
; %bb.20265:                            ;   in Loop: Header=BB6_16763 Depth=2
	v_bfe_u32 v2, v0, 21, 1
	v_mov_b32_e32 v3, v55
	s_delay_alu instid0(VALU_DEP_1) | instskip(NEXT) | instid1(VALU_DEP_1)
	v_add_nc_u64_e32 v[2:3], v[0:1], v[2:3]
	v_add_nc_u64_e32 v[2:3], -1, v[2:3]
; %bb.20266:                            ;   in Loop: Header=BB6_16763 Depth=2
	s_or_b32 exec_lo, exec_lo, s41
	v_add_nc_u32_e32 v1, 0xffffff81, v15
	v_lshrrev_b32_e32 v3, 23, v0
	s_mov_b32 s10, exec_lo
	s_delay_alu instid0(VALU_DEP_2) | instskip(NEXT) | instid1(VALU_DEP_1)
	v_cndmask_b32_e64 v1, v1, 0xffffff82, vcc_lo
	v_add3_u32 v15, v50, v1, v3
	v_and_b32_e32 v1, 0x1fffff, v2
                                        ; implicit-def: $vgpr2
	s_delay_alu instid0(VALU_DEP_1) | instskip(SKIP_1) | instid1(VALU_DEP_2)
	v_dual_add_nc_u32 v3, 14, v15 :: v_dual_add_nc_u32 v0, v1, v0
	v_mov_b32_e32 v1, v55
	v_cmpx_ne_u32_e32 0, v3
	s_xor_b32 s10, exec_lo, s10
; %bb.20267:                            ;   in Loop: Header=BB6_16763 Depth=2
	s_delay_alu instid0(VALU_DEP_2) | instskip(SKIP_1) | instid1(VALU_DEP_1)
	v_cmp_lt_u64_e32 vcc_lo, 0xffffff, v[0:1]
	v_add_nc_u32_e32 v2, 15, v15
	v_cndmask_b32_e32 v2, v3, v2, vcc_lo
	v_cndmask_b32_e64 v3, 0, 1, vcc_lo
	s_delay_alu instid0(VALU_DEP_1)
	v_lshrrev_b64 v[0:1], v3, v[0:1]
; %bb.20268:                            ;   in Loop: Header=BB6_16763 Depth=2
	s_and_not1_saveexec_b32 s10, s10
; %bb.20269:                            ;   in Loop: Header=BB6_16763 Depth=2
	s_delay_alu instid0(VALU_DEP_1)
	v_bfe_u32 v2, v0, 23, 1
; %bb.20270:                            ;   in Loop: Header=BB6_16763 Depth=2
	s_or_b32 exec_lo, exec_lo, s10
	s_delay_alu instid0(VALU_DEP_2) | instskip(NEXT) | instid1(VALU_DEP_2)
	v_lshrrev_b64 v[0:1], 21, v[0:1]
	v_cmp_gt_i32_e32 vcc_lo, 32, v2
	v_min_i32_e32 v3, 31, v2
	v_cmp_eq_u32_e64 s10, 0, v2
	s_delay_alu instid0(VALU_DEP_2) | instskip(SKIP_1) | instid1(VALU_DEP_2)
	v_dual_cndmask_b32 v1, 0, v1, vcc_lo :: v_dual_lshlrev_b32 v3, 2, v3
	v_cndmask_b32_e32 v0, 3, v0, vcc_lo
	v_and_b32_e32 v3, 0xfc, v3
	s_delay_alu instid0(VALU_DEP_2) | instskip(NEXT) | instid1(VALU_DEP_2)
	v_cmp_eq_u64_e32 vcc_lo, 0, v[0:1]
	v_and_or_b32 v0, v0, 3, v3
	s_and_b32 s10, s10, vcc_lo
	s_delay_alu instid0(VALU_DEP_1) | instid1(SALU_CYCLE_1)
	v_cndmask_b32_e64 v0, v0, 0, s10
	s_delay_alu instid0(VALU_DEP_1)
	v_or_b32_e32 v50, v0, v14
.LBB6_20271:                            ;   in Loop: Header=BB6_16763 Depth=2
	s_or_b32 exec_lo, exec_lo, s40
                                        ; implicit-def: $vgpr14
.LBB6_20272:                            ;   in Loop: Header=BB6_16763 Depth=2
	s_and_not1_saveexec_b32 s10, s29
; %bb.20273:                            ;   in Loop: Header=BB6_16763 Depth=2
	v_or_b32_e32 v50, 0x7b, v14
; %bb.20274:                            ;   in Loop: Header=BB6_16763 Depth=2
	s_or_b32 exec_lo, exec_lo, s10
                                        ; implicit-def: $vgpr2
                                        ; implicit-def: $vgpr0_vgpr1
                                        ; implicit-def: $vgpr3
.LBB6_20275:                            ;   in Loop: Header=BB6_16763 Depth=2
	s_and_not1_saveexec_b32 s10, s28
	s_cbranch_execz .LBB6_20281
; %bb.20276:                            ;   in Loop: Header=BB6_16763 Depth=2
	s_mov_b32 s28, exec_lo
                                        ; implicit-def: $vgpr50
	v_cmpx_ne_u64_e32 0, v[0:1]
	s_xor_b32 s28, exec_lo, s28
; %bb.20277:                            ;   in Loop: Header=BB6_16763 Depth=2
	v_or_b32_e32 v50, 0x7f, v3
                                        ; implicit-def: $vgpr2
; %bb.20278:                            ;   in Loop: Header=BB6_16763 Depth=2
	s_and_not1_saveexec_b32 s28, s28
; %bb.20279:                            ;   in Loop: Header=BB6_16763 Depth=2
	v_cmp_lt_i32_e32 vcc_lo, -1, v2
	v_cndmask_b32_e32 v50, 0xfc, v30, vcc_lo
; %bb.20280:                            ;   in Loop: Header=BB6_16763 Depth=2
	s_or_b32 exec_lo, exec_lo, s28
.LBB6_20281:                            ;   in Loop: Header=BB6_16763 Depth=2
	s_delay_alu instid0(SALU_CYCLE_1) | instskip(SKIP_3) | instid1(VALU_DEP_2)
	s_or_b32 exec_lo, exec_lo, s10
	v_lshrrev_b16 v0, 8, v54
	v_mov_b32_e32 v1, 0
	s_mov_b32 s28, exec_lo
	v_cmpx_ne_u16_e32 0, v0
	s_cbranch_execz .LBB6_20291
; %bb.20282:                            ;   in Loop: Header=BB6_16763 Depth=2
	v_bfrev_b32_e32 v1, 1
	s_mov_b32 s29, exec_lo
	v_cmpx_ne_u16_e32 0x80, v0
	s_cbranch_execz .LBB6_20290
; %bb.20283:                            ;   in Loop: Header=BB6_16763 Depth=2
	v_and_b32_e32 v3, 0xffff, v0
	s_delay_alu instid0(VALU_DEP_1) | instskip(SKIP_1) | instid1(VALU_DEP_2)
	v_and_b32_e32 v1, 0x7c, v3
	v_and_b32_e32 v2, 3, v3
	v_cmp_ne_u32_e32 vcc_lo, 0x7c, v1
                                        ; implicit-def: $vgpr1
	s_and_saveexec_b32 s10, vcc_lo
	s_delay_alu instid0(SALU_CYCLE_1)
	s_xor_b32 s10, exec_lo, s10
	s_cbranch_execz .LBB6_20287
; %bb.20284:                            ;   in Loop: Header=BB6_16763 Depth=2
	v_bfe_u32 v1, v3, 2, 5
	s_mov_b32 s40, exec_lo
	s_delay_alu instid0(VALU_DEP_1)
	v_cmpx_eq_u32_e32 0, v1
; %bb.20285:                            ;   in Loop: Header=BB6_16763 Depth=2
	v_clz_i32_u32_e32 v1, v2
	s_delay_alu instid0(VALU_DEP_1) | instskip(SKIP_1) | instid1(VALU_DEP_2)
	v_min_u32_e32 v2, 32, v1
	v_mov_b32_e32 v1, v55
	v_subrev_nc_u32_e32 v3, 29, v2
	s_delay_alu instid0(VALU_DEP_1) | instskip(NEXT) | instid1(VALU_DEP_1)
	v_lshlrev_b64_e32 v[0:1], v3, v[0:1]
	v_dual_sub_nc_u32 v1, 30, v2 :: v_dual_bitop2_b32 v2, 3, v0 bitop3:0x40
; %bb.20286:                            ;   in Loop: Header=BB6_16763 Depth=2
	s_or_b32 exec_lo, exec_lo, s40
	v_lshlrev_b32_e32 v0, 16, v54
	s_delay_alu instid0(VALU_DEP_1) | instskip(NEXT) | instid1(VALU_DEP_1)
	v_and_b32_e32 v0, 0x80000000, v0
	v_lshl_add_u32 v0, v1, 23, v0
	s_delay_alu instid0(VALU_DEP_1) | instskip(NEXT) | instid1(VALU_DEP_1)
	v_lshl_or_b32 v0, v2, 21, v0
                                        ; implicit-def: $vgpr2
	v_add_nc_u32_e32 v1, 0x38000000, v0
.LBB6_20287:                            ;   in Loop: Header=BB6_16763 Depth=2
	s_and_not1_saveexec_b32 s40, s10
; %bb.20288:                            ;   in Loop: Header=BB6_16763 Depth=2
	v_cmp_lt_i16_e64 s10, -1, v54
	v_cmp_eq_u32_e32 vcc_lo, 0, v2
	s_delay_alu instid0(VALU_DEP_2) | instskip(NEXT) | instid1(VALU_DEP_1)
	v_cndmask_b32_e64 v0, 0xff800000, v29, s10
	v_cndmask_b32_e32 v1, 0x7f800001, v0, vcc_lo
; %bb.20289:                            ;   in Loop: Header=BB6_16763 Depth=2
	s_or_b32 exec_lo, exec_lo, s40
.LBB6_20290:                            ;   in Loop: Header=BB6_16763 Depth=2
	s_delay_alu instid0(SALU_CYCLE_1)
	s_or_b32 exec_lo, exec_lo, s29
.LBB6_20291:                            ;   in Loop: Header=BB6_16763 Depth=2
	s_delay_alu instid0(SALU_CYCLE_1) | instskip(NEXT) | instid1(VALU_DEP_1)
	s_or_b32 exec_lo, exec_lo, s28
	v_dual_mul_f32 v0, s27, v1 :: v_dual_mov_b32 v3, v55
                                        ; implicit-def: $vgpr51
	s_mov_b32 s10, exec_lo
	s_delay_alu instid0(VALU_DEP_1) | instskip(SKIP_2) | instid1(VALU_DEP_3)
	v_and_b32_e32 v2, 0x7f800000, v0
	v_and_b32_e32 v54, 0x7fffff, v0
	v_lshrrev_b32_e32 v1, 24, v0
	v_cmpx_ne_u64_e32 0x7f800000, v[2:3]
	s_xor_b32 s28, exec_lo, s10
	s_cbranch_execz .LBB6_20305
; %bb.20292:                            ;   in Loop: Header=BB6_16763 Depth=2
	v_and_b32_e32 v2, 0x7fffffff, v0
	v_mov_b32_e32 v3, v55
	v_and_b32_e32 v14, 0x80, v1
                                        ; implicit-def: $vgpr51
	s_mov_b32 s10, exec_lo
	s_delay_alu instid0(VALU_DEP_2)
	v_cmpx_gt_u64_e32 0x47600001, v[2:3]
	s_xor_b32 s29, exec_lo, s10
	s_cbranch_execz .LBB6_20302
; %bb.20293:                            ;   in Loop: Header=BB6_16763 Depth=2
	v_mov_b32_e32 v51, 0
	s_mov_b32 s40, exec_lo
	v_cmpx_ne_u32_e32 0, v0
	s_cbranch_execz .LBB6_20301
; %bb.20294:                            ;   in Loop: Header=BB6_16763 Depth=2
	v_bfe_u32 v15, v0, 23, 8
	v_or_b32_e32 v1, 0x800000, v54
	s_delay_alu instid0(VALU_DEP_2) | instskip(SKIP_2) | instid1(VALU_DEP_2)
	v_cmp_gt_u32_e64 s10, 0x72, v15
	v_sub_nc_u32_e32 v0, 0x71, v15
	v_cmp_eq_u32_e32 vcc_lo, 0, v15
	v_cndmask_b32_e64 v0, 0, v0, s10
	s_delay_alu instid0(VALU_DEP_1) | instskip(SKIP_1) | instid1(VALU_DEP_2)
	v_cndmask_b32_e64 v51, v0, 0x70, vcc_lo
	v_dual_cndmask_b32 v0, v1, v54 :: v_dual_mov_b32 v1, v55
	v_dual_add_nc_u32 v2, 21, v51 :: v_dual_add_nc_u32 v52, 20, v51
	s_delay_alu instid0(VALU_DEP_1) | instskip(NEXT) | instid1(VALU_DEP_2)
	v_lshlrev_b64_e64 v[2:3], v2, -1
	v_lshlrev_b64_e64 v[52:53], v52, 1
	s_delay_alu instid0(VALU_DEP_2) | instskip(SKIP_1) | instid1(VALU_DEP_4)
	v_bfi_b32 v2, v2, 0, v0
	v_lshrrev_b64 v[0:1], v51, v[0:1]
	v_bfi_b32 v3, v3, 0, 0
	s_delay_alu instid0(VALU_DEP_1) | instskip(NEXT) | instid1(VALU_DEP_3)
	v_cmp_eq_u64_e64 s10, v[2:3], v[52:53]
	v_mov_b64_e32 v[2:3], v[0:1]
	s_and_saveexec_b32 s41, s10
; %bb.20295:                            ;   in Loop: Header=BB6_16763 Depth=2
	v_bfe_u32 v2, v0, 21, 1
	v_mov_b32_e32 v3, v55
	s_delay_alu instid0(VALU_DEP_1) | instskip(NEXT) | instid1(VALU_DEP_1)
	v_add_nc_u64_e32 v[2:3], v[0:1], v[2:3]
	v_add_nc_u64_e32 v[2:3], -1, v[2:3]
; %bb.20296:                            ;   in Loop: Header=BB6_16763 Depth=2
	s_or_b32 exec_lo, exec_lo, s41
	v_add_nc_u32_e32 v1, 0xffffff81, v15
	s_delay_alu instid0(VALU_DEP_2) | instskip(SKIP_2) | instid1(VALU_DEP_3)
	v_and_b32_e32 v2, 0x1fffff, v2
	v_lshrrev_b32_e32 v3, 23, v0
	s_mov_b32 s10, exec_lo
	v_cndmask_b32_e64 v1, v1, 0xffffff82, vcc_lo
	s_delay_alu instid0(VALU_DEP_3) | instskip(NEXT) | instid1(VALU_DEP_2)
	v_add_nc_u32_e32 v54, v2, v0
                                        ; implicit-def: $vgpr2
	v_add3_u32 v15, v51, v1, v3
                                        ; implicit-def: $vgpr0_vgpr1
	s_delay_alu instid0(VALU_DEP_1) | instskip(NEXT) | instid1(VALU_DEP_1)
	v_add_nc_u32_e32 v3, 14, v15
	v_cmpx_ne_u32_e32 0, v3
	s_xor_b32 s10, exec_lo, s10
; %bb.20297:                            ;   in Loop: Header=BB6_16763 Depth=2
	v_cmp_lt_u64_e32 vcc_lo, 0xffffff, v[54:55]
	v_add_nc_u32_e32 v0, 15, v15
	s_delay_alu instid0(VALU_DEP_1) | instskip(SKIP_1) | instid1(VALU_DEP_1)
	v_cndmask_b32_e32 v2, v3, v0, vcc_lo
	v_cndmask_b32_e64 v0, 0, 1, vcc_lo
	v_lshrrev_b64 v[0:1], v0, v[54:55]
; %bb.20298:                            ;   in Loop: Header=BB6_16763 Depth=2
	s_and_not1_saveexec_b32 s10, s10
; %bb.20299:                            ;   in Loop: Header=BB6_16763 Depth=2
	v_mov_b64_e32 v[0:1], v[54:55]
	v_bfe_u32 v2, v54, 23, 1
; %bb.20300:                            ;   in Loop: Header=BB6_16763 Depth=2
	s_or_b32 exec_lo, exec_lo, s10
	s_delay_alu instid0(VALU_DEP_2) | instskip(NEXT) | instid1(VALU_DEP_2)
	v_lshrrev_b64 v[0:1], 21, v[0:1]
	v_cmp_gt_i32_e32 vcc_lo, 32, v2
	v_min_i32_e32 v3, 31, v2
	v_cmp_eq_u32_e64 s10, 0, v2
	s_delay_alu instid0(VALU_DEP_2) | instskip(SKIP_1) | instid1(VALU_DEP_2)
	v_dual_cndmask_b32 v1, 0, v1, vcc_lo :: v_dual_lshlrev_b32 v3, 2, v3
	v_cndmask_b32_e32 v0, 3, v0, vcc_lo
	v_and_b32_e32 v3, 0xfc, v3
	s_delay_alu instid0(VALU_DEP_2) | instskip(NEXT) | instid1(VALU_DEP_2)
	v_cmp_eq_u64_e32 vcc_lo, 0, v[0:1]
	v_and_or_b32 v0, v0, 3, v3
	s_and_b32 s10, s10, vcc_lo
	s_delay_alu instid0(VALU_DEP_1) | instid1(SALU_CYCLE_1)
	v_cndmask_b32_e64 v0, v0, 0, s10
	s_delay_alu instid0(VALU_DEP_1)
	v_or_b32_e32 v51, v0, v14
.LBB6_20301:                            ;   in Loop: Header=BB6_16763 Depth=2
	s_or_b32 exec_lo, exec_lo, s40
                                        ; implicit-def: $vgpr14
.LBB6_20302:                            ;   in Loop: Header=BB6_16763 Depth=2
	s_and_not1_saveexec_b32 s10, s29
; %bb.20303:                            ;   in Loop: Header=BB6_16763 Depth=2
	v_or_b32_e32 v51, 0x7b, v14
; %bb.20304:                            ;   in Loop: Header=BB6_16763 Depth=2
	s_or_b32 exec_lo, exec_lo, s10
                                        ; implicit-def: $vgpr0
                                        ; implicit-def: $vgpr1
.LBB6_20305:                            ;   in Loop: Header=BB6_16763 Depth=2
	s_and_not1_saveexec_b32 s10, s28
	s_cbranch_execz .LBB6_20311
; %bb.20306:                            ;   in Loop: Header=BB6_16763 Depth=2
	s_mov_b32 s28, exec_lo
                                        ; implicit-def: $vgpr51
	v_cmpx_ne_u64_e32 0, v[54:55]
	s_xor_b32 s28, exec_lo, s28
; %bb.20307:                            ;   in Loop: Header=BB6_16763 Depth=2
	v_or_b32_e32 v51, 0x7f, v1
                                        ; implicit-def: $vgpr0
; %bb.20308:                            ;   in Loop: Header=BB6_16763 Depth=2
	s_and_not1_saveexec_b32 s28, s28
; %bb.20309:                            ;   in Loop: Header=BB6_16763 Depth=2
	v_cmp_lt_i32_e32 vcc_lo, -1, v0
	v_cndmask_b32_e32 v51, 0xfc, v30, vcc_lo
; %bb.20310:                            ;   in Loop: Header=BB6_16763 Depth=2
	s_or_b32 exec_lo, exec_lo, s28
.LBB6_20311:                            ;   in Loop: Header=BB6_16763 Depth=2
	s_delay_alu instid0(SALU_CYCLE_1) | instskip(SKIP_2) | instid1(VALU_DEP_1)
	s_or_b32 exec_lo, exec_lo, s10
	v_dual_mov_b32 v1, 0 :: v_dual_lshrrev_b32 v0, 16, v11
	s_mov_b32 s28, exec_lo
	v_and_b32_e32 v2, 0xff, v0
	s_delay_alu instid0(VALU_DEP_1)
	v_cmpx_ne_u16_e32 0, v2
	s_cbranch_execz .LBB6_20321
; %bb.20312:                            ;   in Loop: Header=BB6_16763 Depth=2
	v_bfrev_b32_e32 v1, 1
	s_mov_b32 s29, exec_lo
	v_cmpx_ne_u16_e32 0x80, v2
	s_cbranch_execz .LBB6_20320
; %bb.20313:                            ;   in Loop: Header=BB6_16763 Depth=2
	v_and_b32_e32 v1, 0x7c0000, v11
	v_bfe_u32 v2, v11, 16, 2
	s_delay_alu instid0(VALU_DEP_2) | instskip(SKIP_1) | instid1(SALU_CYCLE_1)
	v_cmp_ne_u32_e32 vcc_lo, 0x7c0000, v1
                                        ; implicit-def: $vgpr1
	s_and_saveexec_b32 s10, vcc_lo
	s_xor_b32 s10, exec_lo, s10
	s_cbranch_execz .LBB6_20317
; %bb.20314:                            ;   in Loop: Header=BB6_16763 Depth=2
	v_bfe_u32 v1, v11, 18, 5
	s_mov_b32 s40, exec_lo
	s_delay_alu instid0(VALU_DEP_1)
	v_cmpx_eq_u32_e32 0, v1
; %bb.20315:                            ;   in Loop: Header=BB6_16763 Depth=2
	v_clz_i32_u32_e32 v1, v2
	s_delay_alu instid0(VALU_DEP_1) | instskip(NEXT) | instid1(VALU_DEP_1)
	v_min_u32_e32 v1, 32, v1
	v_subrev_nc_u32_e32 v2, 29, v1
	s_delay_alu instid0(VALU_DEP_1) | instskip(NEXT) | instid1(VALU_DEP_1)
	v_lshlrev_b64_e32 v[2:3], v2, v[0:1]
	v_dual_sub_nc_u32 v1, 30, v1 :: v_dual_bitop2_b32 v2, 3, v2 bitop3:0x40
; %bb.20316:                            ;   in Loop: Header=BB6_16763 Depth=2
	s_or_b32 exec_lo, exec_lo, s40
	v_lshlrev_b32_e32 v0, 24, v0
	s_delay_alu instid0(VALU_DEP_1) | instskip(NEXT) | instid1(VALU_DEP_1)
	v_and_b32_e32 v0, 0x80000000, v0
	v_lshl_add_u32 v0, v1, 23, v0
	s_delay_alu instid0(VALU_DEP_1) | instskip(NEXT) | instid1(VALU_DEP_1)
	v_lshl_or_b32 v0, v2, 21, v0
                                        ; implicit-def: $vgpr2
	v_add_nc_u32_e32 v1, 0x38000000, v0
                                        ; implicit-def: $vgpr0
.LBB6_20317:                            ;   in Loop: Header=BB6_16763 Depth=2
	s_and_not1_saveexec_b32 s40, s10
; %bb.20318:                            ;   in Loop: Header=BB6_16763 Depth=2
	v_bfe_i32 v0, v0, 0, 8
	v_cmp_eq_u32_e32 vcc_lo, 0, v2
	s_delay_alu instid0(VALU_DEP_2) | instskip(NEXT) | instid1(VALU_DEP_1)
	v_cmp_lt_i16_e64 s10, -1, v0
	v_cndmask_b32_e64 v0, 0xff800000, v29, s10
	s_delay_alu instid0(VALU_DEP_1)
	v_cndmask_b32_e32 v1, 0x7f800001, v0, vcc_lo
; %bb.20319:                            ;   in Loop: Header=BB6_16763 Depth=2
	s_or_b32 exec_lo, exec_lo, s40
.LBB6_20320:                            ;   in Loop: Header=BB6_16763 Depth=2
	s_delay_alu instid0(SALU_CYCLE_1)
	s_or_b32 exec_lo, exec_lo, s29
.LBB6_20321:                            ;   in Loop: Header=BB6_16763 Depth=2
	s_delay_alu instid0(SALU_CYCLE_1) | instskip(NEXT) | instid1(VALU_DEP_1)
	s_or_b32 exec_lo, exec_lo, s28
	v_dual_mul_f32 v0, s27, v1 :: v_dual_mov_b32 v3, v55
                                        ; implicit-def: $vgpr52
	s_mov_b32 s10, exec_lo
	s_delay_alu instid0(VALU_DEP_1) | instskip(SKIP_2) | instid1(VALU_DEP_3)
	v_and_b32_e32 v2, 0x7f800000, v0
	v_and_b32_e32 v54, 0x7fffff, v0
	v_lshrrev_b32_e32 v1, 24, v0
	v_cmpx_ne_u64_e32 0x7f800000, v[2:3]
	s_xor_b32 s28, exec_lo, s10
	s_cbranch_execz .LBB6_20335
; %bb.20322:                            ;   in Loop: Header=BB6_16763 Depth=2
	v_and_b32_e32 v2, 0x7fffffff, v0
	v_mov_b32_e32 v3, v55
	v_and_b32_e32 v14, 0x80, v1
                                        ; implicit-def: $vgpr52
	s_mov_b32 s10, exec_lo
	s_delay_alu instid0(VALU_DEP_2)
	v_cmpx_gt_u64_e32 0x47600001, v[2:3]
	s_xor_b32 s29, exec_lo, s10
	s_cbranch_execz .LBB6_20332
; %bb.20323:                            ;   in Loop: Header=BB6_16763 Depth=2
	v_mov_b32_e32 v52, 0
	s_mov_b32 s40, exec_lo
	v_cmpx_ne_u32_e32 0, v0
	s_cbranch_execz .LBB6_20331
; %bb.20324:                            ;   in Loop: Header=BB6_16763 Depth=2
	v_bfe_u32 v15, v0, 23, 8
	v_or_b32_e32 v1, 0x800000, v54
	s_delay_alu instid0(VALU_DEP_2) | instskip(SKIP_2) | instid1(VALU_DEP_2)
	v_cmp_gt_u32_e64 s10, 0x72, v15
	v_sub_nc_u32_e32 v0, 0x71, v15
	v_cmp_eq_u32_e32 vcc_lo, 0, v15
	v_cndmask_b32_e64 v0, 0, v0, s10
	s_delay_alu instid0(VALU_DEP_1) | instskip(SKIP_1) | instid1(VALU_DEP_2)
	v_cndmask_b32_e64 v52, v0, 0x70, vcc_lo
	v_dual_cndmask_b32 v0, v1, v54 :: v_dual_mov_b32 v1, v55
	v_dual_add_nc_u32 v2, 21, v52 :: v_dual_add_nc_u32 v53, 20, v52
	s_delay_alu instid0(VALU_DEP_1) | instskip(NEXT) | instid1(VALU_DEP_2)
	v_lshlrev_b64_e64 v[2:3], v2, -1
	v_lshlrev_b64_e64 v[86:87], v53, 1
	s_delay_alu instid0(VALU_DEP_2) | instskip(SKIP_1) | instid1(VALU_DEP_4)
	v_bfi_b32 v2, v2, 0, v0
	v_lshrrev_b64 v[0:1], v52, v[0:1]
	v_bfi_b32 v3, v3, 0, 0
	s_delay_alu instid0(VALU_DEP_1) | instskip(NEXT) | instid1(VALU_DEP_3)
	v_cmp_eq_u64_e64 s10, v[2:3], v[86:87]
	v_mov_b64_e32 v[2:3], v[0:1]
	s_and_saveexec_b32 s41, s10
; %bb.20325:                            ;   in Loop: Header=BB6_16763 Depth=2
	v_bfe_u32 v2, v0, 21, 1
	v_mov_b32_e32 v3, v55
	s_delay_alu instid0(VALU_DEP_1) | instskip(NEXT) | instid1(VALU_DEP_1)
	v_add_nc_u64_e32 v[2:3], v[0:1], v[2:3]
	v_add_nc_u64_e32 v[2:3], -1, v[2:3]
; %bb.20326:                            ;   in Loop: Header=BB6_16763 Depth=2
	s_or_b32 exec_lo, exec_lo, s41
	v_add_nc_u32_e32 v1, 0xffffff81, v15
	s_delay_alu instid0(VALU_DEP_2) | instskip(SKIP_2) | instid1(VALU_DEP_3)
	v_and_b32_e32 v2, 0x1fffff, v2
	v_lshrrev_b32_e32 v3, 23, v0
	s_mov_b32 s10, exec_lo
	v_cndmask_b32_e64 v1, v1, 0xffffff82, vcc_lo
	s_delay_alu instid0(VALU_DEP_3) | instskip(NEXT) | instid1(VALU_DEP_2)
	v_add_nc_u32_e32 v54, v2, v0
                                        ; implicit-def: $vgpr2
	v_add3_u32 v15, v52, v1, v3
                                        ; implicit-def: $vgpr0_vgpr1
	s_delay_alu instid0(VALU_DEP_1) | instskip(NEXT) | instid1(VALU_DEP_1)
	v_add_nc_u32_e32 v3, 14, v15
	v_cmpx_ne_u32_e32 0, v3
	s_xor_b32 s10, exec_lo, s10
; %bb.20327:                            ;   in Loop: Header=BB6_16763 Depth=2
	v_cmp_lt_u64_e32 vcc_lo, 0xffffff, v[54:55]
	v_add_nc_u32_e32 v0, 15, v15
	s_delay_alu instid0(VALU_DEP_1) | instskip(SKIP_1) | instid1(VALU_DEP_1)
	v_cndmask_b32_e32 v2, v3, v0, vcc_lo
	v_cndmask_b32_e64 v0, 0, 1, vcc_lo
	v_lshrrev_b64 v[0:1], v0, v[54:55]
; %bb.20328:                            ;   in Loop: Header=BB6_16763 Depth=2
	s_and_not1_saveexec_b32 s10, s10
; %bb.20329:                            ;   in Loop: Header=BB6_16763 Depth=2
	v_mov_b64_e32 v[0:1], v[54:55]
	v_bfe_u32 v2, v54, 23, 1
; %bb.20330:                            ;   in Loop: Header=BB6_16763 Depth=2
	s_or_b32 exec_lo, exec_lo, s10
	s_delay_alu instid0(VALU_DEP_2) | instskip(NEXT) | instid1(VALU_DEP_2)
	v_lshrrev_b64 v[0:1], 21, v[0:1]
	v_cmp_gt_i32_e32 vcc_lo, 32, v2
	v_min_i32_e32 v3, 31, v2
	v_cmp_eq_u32_e64 s10, 0, v2
	s_delay_alu instid0(VALU_DEP_2) | instskip(SKIP_1) | instid1(VALU_DEP_2)
	v_dual_cndmask_b32 v1, 0, v1, vcc_lo :: v_dual_lshlrev_b32 v3, 2, v3
	v_cndmask_b32_e32 v0, 3, v0, vcc_lo
	v_and_b32_e32 v3, 0xfc, v3
	s_delay_alu instid0(VALU_DEP_2) | instskip(NEXT) | instid1(VALU_DEP_2)
	v_cmp_eq_u64_e32 vcc_lo, 0, v[0:1]
	v_and_or_b32 v0, v0, 3, v3
	s_and_b32 s10, s10, vcc_lo
	s_delay_alu instid0(VALU_DEP_1) | instid1(SALU_CYCLE_1)
	v_cndmask_b32_e64 v0, v0, 0, s10
	s_delay_alu instid0(VALU_DEP_1)
	v_or_b32_e32 v52, v0, v14
.LBB6_20331:                            ;   in Loop: Header=BB6_16763 Depth=2
	s_or_b32 exec_lo, exec_lo, s40
                                        ; implicit-def: $vgpr14
.LBB6_20332:                            ;   in Loop: Header=BB6_16763 Depth=2
	s_and_not1_saveexec_b32 s10, s29
; %bb.20333:                            ;   in Loop: Header=BB6_16763 Depth=2
	v_or_b32_e32 v52, 0x7b, v14
; %bb.20334:                            ;   in Loop: Header=BB6_16763 Depth=2
	s_or_b32 exec_lo, exec_lo, s10
                                        ; implicit-def: $vgpr0
                                        ; implicit-def: $vgpr1
.LBB6_20335:                            ;   in Loop: Header=BB6_16763 Depth=2
	s_and_not1_saveexec_b32 s10, s28
	s_cbranch_execz .LBB6_20341
; %bb.20336:                            ;   in Loop: Header=BB6_16763 Depth=2
	s_mov_b32 s28, exec_lo
                                        ; implicit-def: $vgpr52
	v_cmpx_ne_u64_e32 0, v[54:55]
	s_xor_b32 s28, exec_lo, s28
; %bb.20337:                            ;   in Loop: Header=BB6_16763 Depth=2
	v_or_b32_e32 v52, 0x7f, v1
                                        ; implicit-def: $vgpr0
; %bb.20338:                            ;   in Loop: Header=BB6_16763 Depth=2
	s_and_not1_saveexec_b32 s28, s28
; %bb.20339:                            ;   in Loop: Header=BB6_16763 Depth=2
	v_cmp_lt_i32_e32 vcc_lo, -1, v0
	v_cndmask_b32_e32 v52, 0xfc, v30, vcc_lo
; %bb.20340:                            ;   in Loop: Header=BB6_16763 Depth=2
	s_or_b32 exec_lo, exec_lo, s28
.LBB6_20341:                            ;   in Loop: Header=BB6_16763 Depth=2
	s_delay_alu instid0(SALU_CYCLE_1)
	s_or_b32 exec_lo, exec_lo, s10
	v_mov_b32_e32 v1, 0
	s_mov_b32 s28, exec_lo
	v_cmpx_lt_u64_e64 s[12:13], v[10:11]
	s_cbranch_execz .LBB6_20351
; %bb.20342:                            ;   in Loop: Header=BB6_16763 Depth=2
	v_lshrrev_b32_e32 v0, 24, v11
	v_bfrev_b32_e32 v1, 1
	s_mov_b32 s29, exec_lo
	s_delay_alu instid0(VALU_DEP_2)
	v_cmpx_ne_u32_e32 0x80, v0
	s_cbranch_execz .LBB6_20350
; %bb.20343:                            ;   in Loop: Header=BB6_16763 Depth=2
	v_and_b32_e32 v1, 0x7c000000, v11
	v_bfe_u32 v2, v11, 24, 2
	s_delay_alu instid0(VALU_DEP_2) | instskip(SKIP_1) | instid1(SALU_CYCLE_1)
	v_cmp_ne_u32_e32 vcc_lo, 0x7c000000, v1
                                        ; implicit-def: $vgpr1
	s_and_saveexec_b32 s10, vcc_lo
	s_xor_b32 s10, exec_lo, s10
	s_cbranch_execz .LBB6_20347
; %bb.20344:                            ;   in Loop: Header=BB6_16763 Depth=2
	v_bfe_u32 v1, v11, 26, 5
	s_mov_b32 s40, exec_lo
	s_delay_alu instid0(VALU_DEP_1)
	v_cmpx_eq_u32_e32 0, v1
; %bb.20345:                            ;   in Loop: Header=BB6_16763 Depth=2
	v_clz_i32_u32_e32 v1, v2
	s_delay_alu instid0(VALU_DEP_1) | instskip(NEXT) | instid1(VALU_DEP_1)
	v_min_u32_e32 v2, 32, v1
	v_subrev_nc_u32_e32 v1, 29, v2
	s_delay_alu instid0(VALU_DEP_1) | instskip(NEXT) | instid1(VALU_DEP_1)
	v_lshlrev_b64_e32 v[0:1], v1, v[0:1]
	v_dual_sub_nc_u32 v1, 30, v2 :: v_dual_bitop2_b32 v2, 3, v0 bitop3:0x40
; %bb.20346:                            ;   in Loop: Header=BB6_16763 Depth=2
	s_or_b32 exec_lo, exec_lo, s40
	v_and_b32_e32 v0, 0x80000000, v11
	s_delay_alu instid0(VALU_DEP_1) | instskip(NEXT) | instid1(VALU_DEP_1)
	v_lshl_add_u32 v0, v1, 23, v0
	v_lshl_or_b32 v0, v2, 21, v0
                                        ; implicit-def: $vgpr2
	s_delay_alu instid0(VALU_DEP_1)
	v_add_nc_u32_e32 v1, 0x38000000, v0
.LBB6_20347:                            ;   in Loop: Header=BB6_16763 Depth=2
	s_and_not1_saveexec_b32 s40, s10
; %bb.20348:                            ;   in Loop: Header=BB6_16763 Depth=2
	v_cmp_lt_i64_e64 s10, -1, v[10:11]
	v_cmp_eq_u32_e32 vcc_lo, 0, v2
	s_delay_alu instid0(VALU_DEP_2) | instskip(NEXT) | instid1(VALU_DEP_1)
	v_cndmask_b32_e64 v0, 0xff800000, v29, s10
	v_cndmask_b32_e32 v1, 0x7f800001, v0, vcc_lo
; %bb.20349:                            ;   in Loop: Header=BB6_16763 Depth=2
	s_or_b32 exec_lo, exec_lo, s40
.LBB6_20350:                            ;   in Loop: Header=BB6_16763 Depth=2
	s_delay_alu instid0(SALU_CYCLE_1)
	s_or_b32 exec_lo, exec_lo, s29
.LBB6_20351:                            ;   in Loop: Header=BB6_16763 Depth=2
	s_delay_alu instid0(SALU_CYCLE_1) | instskip(NEXT) | instid1(VALU_DEP_1)
	s_or_b32 exec_lo, exec_lo, s28
	v_dual_mul_f32 v0, s27, v1 :: v_dual_mov_b32 v3, v55
                                        ; implicit-def: $vgpr86
	s_mov_b32 s10, exec_lo
	s_delay_alu instid0(VALU_DEP_1) | instskip(SKIP_2) | instid1(VALU_DEP_3)
	v_and_b32_e32 v2, 0x7f800000, v0
	v_and_b32_e32 v54, 0x7fffff, v0
	v_lshrrev_b32_e32 v1, 24, v0
	v_cmpx_ne_u64_e32 0x7f800000, v[2:3]
	s_xor_b32 s28, exec_lo, s10
	s_cbranch_execz .LBB6_20365
; %bb.20352:                            ;   in Loop: Header=BB6_16763 Depth=2
	v_and_b32_e32 v2, 0x7fffffff, v0
	v_mov_b32_e32 v3, v55
	v_and_b32_e32 v10, 0x80, v1
                                        ; implicit-def: $vgpr86
	s_mov_b32 s10, exec_lo
	s_delay_alu instid0(VALU_DEP_2)
	v_cmpx_gt_u64_e32 0x47600001, v[2:3]
	s_xor_b32 s29, exec_lo, s10
	s_cbranch_execz .LBB6_20362
; %bb.20353:                            ;   in Loop: Header=BB6_16763 Depth=2
	v_mov_b32_e32 v86, 0
	s_mov_b32 s40, exec_lo
	v_cmpx_ne_u32_e32 0, v0
	s_cbranch_execz .LBB6_20361
; %bb.20354:                            ;   in Loop: Header=BB6_16763 Depth=2
	v_bfe_u32 v11, v0, 23, 8
	v_or_b32_e32 v1, 0x800000, v54
	s_delay_alu instid0(VALU_DEP_2) | instskip(SKIP_2) | instid1(VALU_DEP_2)
	v_cmp_gt_u32_e64 s10, 0x72, v11
	v_sub_nc_u32_e32 v0, 0x71, v11
	v_cmp_eq_u32_e32 vcc_lo, 0, v11
	v_cndmask_b32_e64 v0, 0, v0, s10
	s_delay_alu instid0(VALU_DEP_1) | instskip(SKIP_1) | instid1(VALU_DEP_2)
	v_cndmask_b32_e64 v14, v0, 0x70, vcc_lo
	v_dual_cndmask_b32 v0, v1, v54 :: v_dual_mov_b32 v1, v55
	v_dual_add_nc_u32 v2, 21, v14 :: v_dual_add_nc_u32 v15, 20, v14
	s_delay_alu instid0(VALU_DEP_1) | instskip(NEXT) | instid1(VALU_DEP_2)
	v_lshlrev_b64_e64 v[2:3], v2, -1
	v_lshlrev_b64_e64 v[86:87], v15, 1
	s_delay_alu instid0(VALU_DEP_2) | instskip(SKIP_1) | instid1(VALU_DEP_4)
	v_bfi_b32 v2, v2, 0, v0
	v_lshrrev_b64 v[0:1], v14, v[0:1]
	v_bfi_b32 v3, v3, 0, 0
	s_delay_alu instid0(VALU_DEP_1) | instskip(NEXT) | instid1(VALU_DEP_3)
	v_cmp_eq_u64_e64 s10, v[2:3], v[86:87]
	v_mov_b64_e32 v[2:3], v[0:1]
	s_and_saveexec_b32 s41, s10
; %bb.20355:                            ;   in Loop: Header=BB6_16763 Depth=2
	v_bfe_u32 v2, v0, 21, 1
	v_mov_b32_e32 v3, v55
	s_delay_alu instid0(VALU_DEP_1) | instskip(NEXT) | instid1(VALU_DEP_1)
	v_add_nc_u64_e32 v[2:3], v[0:1], v[2:3]
	v_add_nc_u64_e32 v[2:3], -1, v[2:3]
; %bb.20356:                            ;   in Loop: Header=BB6_16763 Depth=2
	s_or_b32 exec_lo, exec_lo, s41
	v_add_nc_u32_e32 v1, 0xffffff81, v11
	s_delay_alu instid0(VALU_DEP_2) | instskip(SKIP_2) | instid1(VALU_DEP_3)
	v_and_b32_e32 v2, 0x1fffff, v2
	v_lshrrev_b32_e32 v3, 23, v0
	s_mov_b32 s10, exec_lo
	v_cndmask_b32_e64 v1, v1, 0xffffff82, vcc_lo
	s_delay_alu instid0(VALU_DEP_3) | instskip(NEXT) | instid1(VALU_DEP_2)
	v_add_nc_u32_e32 v54, v2, v0
                                        ; implicit-def: $vgpr2
	v_add3_u32 v11, v14, v1, v3
                                        ; implicit-def: $vgpr0_vgpr1
	s_delay_alu instid0(VALU_DEP_1) | instskip(NEXT) | instid1(VALU_DEP_1)
	v_add_nc_u32_e32 v3, 14, v11
	v_cmpx_ne_u32_e32 0, v3
	s_xor_b32 s10, exec_lo, s10
; %bb.20357:                            ;   in Loop: Header=BB6_16763 Depth=2
	v_cmp_lt_u64_e32 vcc_lo, 0xffffff, v[54:55]
	v_add_nc_u32_e32 v0, 15, v11
	s_delay_alu instid0(VALU_DEP_1) | instskip(SKIP_1) | instid1(VALU_DEP_1)
	v_cndmask_b32_e32 v2, v3, v0, vcc_lo
	v_cndmask_b32_e64 v0, 0, 1, vcc_lo
	v_lshrrev_b64 v[0:1], v0, v[54:55]
; %bb.20358:                            ;   in Loop: Header=BB6_16763 Depth=2
	s_and_not1_saveexec_b32 s10, s10
; %bb.20359:                            ;   in Loop: Header=BB6_16763 Depth=2
	v_mov_b64_e32 v[0:1], v[54:55]
	v_bfe_u32 v2, v54, 23, 1
; %bb.20360:                            ;   in Loop: Header=BB6_16763 Depth=2
	s_or_b32 exec_lo, exec_lo, s10
	s_delay_alu instid0(VALU_DEP_2) | instskip(NEXT) | instid1(VALU_DEP_2)
	v_lshrrev_b64 v[0:1], 21, v[0:1]
	v_cmp_gt_i32_e32 vcc_lo, 32, v2
	v_min_i32_e32 v3, 31, v2
	v_cmp_eq_u32_e64 s10, 0, v2
	s_delay_alu instid0(VALU_DEP_2) | instskip(SKIP_1) | instid1(VALU_DEP_2)
	v_dual_cndmask_b32 v1, 0, v1, vcc_lo :: v_dual_lshlrev_b32 v3, 2, v3
	v_cndmask_b32_e32 v0, 3, v0, vcc_lo
	v_and_b32_e32 v3, 0xfc, v3
	s_delay_alu instid0(VALU_DEP_2) | instskip(NEXT) | instid1(VALU_DEP_2)
	v_cmp_eq_u64_e32 vcc_lo, 0, v[0:1]
	v_and_or_b32 v0, v0, 3, v3
	s_and_b32 s10, s10, vcc_lo
	s_delay_alu instid0(VALU_DEP_1) | instid1(SALU_CYCLE_1)
	v_cndmask_b32_e64 v0, v0, 0, s10
	s_delay_alu instid0(VALU_DEP_1)
	v_or_b32_e32 v86, v0, v10
.LBB6_20361:                            ;   in Loop: Header=BB6_16763 Depth=2
	s_or_b32 exec_lo, exec_lo, s40
                                        ; implicit-def: $vgpr10
.LBB6_20362:                            ;   in Loop: Header=BB6_16763 Depth=2
	s_and_not1_saveexec_b32 s10, s29
; %bb.20363:                            ;   in Loop: Header=BB6_16763 Depth=2
	v_or_b32_e32 v86, 0x7b, v10
; %bb.20364:                            ;   in Loop: Header=BB6_16763 Depth=2
	s_or_b32 exec_lo, exec_lo, s10
                                        ; implicit-def: $vgpr0
                                        ; implicit-def: $vgpr1
.LBB6_20365:                            ;   in Loop: Header=BB6_16763 Depth=2
	s_and_not1_saveexec_b32 s10, s28
	s_cbranch_execz .LBB6_20371
; %bb.20366:                            ;   in Loop: Header=BB6_16763 Depth=2
	s_mov_b32 s28, exec_lo
                                        ; implicit-def: $vgpr86
	v_cmpx_ne_u64_e32 0, v[54:55]
	s_xor_b32 s28, exec_lo, s28
; %bb.20367:                            ;   in Loop: Header=BB6_16763 Depth=2
	v_or_b32_e32 v86, 0x7f, v1
                                        ; implicit-def: $vgpr0
; %bb.20368:                            ;   in Loop: Header=BB6_16763 Depth=2
	s_and_not1_saveexec_b32 s28, s28
; %bb.20369:                            ;   in Loop: Header=BB6_16763 Depth=2
	v_cmp_lt_i32_e32 vcc_lo, -1, v0
	v_cndmask_b32_e32 v86, 0xfc, v30, vcc_lo
; %bb.20370:                            ;   in Loop: Header=BB6_16763 Depth=2
	s_or_b32 exec_lo, exec_lo, s28
.LBB6_20371:                            ;   in Loop: Header=BB6_16763 Depth=2
	s_delay_alu instid0(SALU_CYCLE_1) | instskip(SKIP_1) | instid1(VALU_DEP_1)
	s_or_b32 exec_lo, exec_lo, s10
	v_and_b32_e32 v0, 0xff, v12
	v_cmp_ne_u16_e32 vcc_lo, 0, v0
	v_mov_b32_e32 v0, 0
	s_and_saveexec_b32 s28, vcc_lo
	s_cbranch_execz .LBB6_20381
; %bb.20372:                            ;   in Loop: Header=BB6_16763 Depth=2
	v_bfe_i32 v2, v12, 0, 8
	v_bfrev_b32_e32 v0, 1
	s_mov_b32 s29, exec_lo
	s_delay_alu instid0(VALU_DEP_2)
	v_cmpx_ne_u16_e32 0xff80, v2
	s_cbranch_execz .LBB6_20380
; %bb.20373:                            ;   in Loop: Header=BB6_16763 Depth=2
	v_and_b32_e32 v0, 0x7c, v12
	v_and_b32_e32 v1, 3, v12
	s_delay_alu instid0(VALU_DEP_2) | instskip(SKIP_1) | instid1(SALU_CYCLE_1)
	v_cmp_ne_u32_e32 vcc_lo, 0x7c, v0
                                        ; implicit-def: $vgpr0
	s_and_saveexec_b32 s10, vcc_lo
	s_xor_b32 s10, exec_lo, s10
	s_cbranch_execz .LBB6_20377
; %bb.20374:                            ;   in Loop: Header=BB6_16763 Depth=2
	v_bfe_u32 v0, v12, 2, 5
	s_mov_b32 s40, exec_lo
	s_delay_alu instid0(VALU_DEP_1)
	v_cmpx_eq_u32_e32 0, v0
; %bb.20375:                            ;   in Loop: Header=BB6_16763 Depth=2
	v_clz_i32_u32_e32 v0, v1
	s_delay_alu instid0(VALU_DEP_1) | instskip(NEXT) | instid1(VALU_DEP_1)
	v_min_u32_e32 v0, 32, v0
	v_subrev_nc_u32_e32 v1, 29, v0
	s_delay_alu instid0(VALU_DEP_1) | instskip(NEXT) | instid1(VALU_DEP_1)
	v_lshlrev_b64_e32 v[2:3], v1, v[12:13]
	v_dual_sub_nc_u32 v0, 30, v0 :: v_dual_bitop2_b32 v1, 3, v2 bitop3:0x40
; %bb.20376:                            ;   in Loop: Header=BB6_16763 Depth=2
	s_or_b32 exec_lo, exec_lo, s40
	v_lshlrev_b32_e32 v2, 24, v12
	s_delay_alu instid0(VALU_DEP_1) | instskip(NEXT) | instid1(VALU_DEP_1)
	v_and_b32_e32 v2, 0x80000000, v2
	v_lshl_add_u32 v0, v0, 23, v2
                                        ; implicit-def: $vgpr2
	s_delay_alu instid0(VALU_DEP_1) | instskip(NEXT) | instid1(VALU_DEP_1)
	v_lshl_or_b32 v0, v1, 21, v0
                                        ; implicit-def: $vgpr1
	v_add_nc_u32_e32 v0, 0x38000000, v0
.LBB6_20377:                            ;   in Loop: Header=BB6_16763 Depth=2
	s_and_not1_saveexec_b32 s40, s10
; %bb.20378:                            ;   in Loop: Header=BB6_16763 Depth=2
	v_cmp_lt_i16_e64 s10, -1, v2
	v_cmp_eq_u32_e32 vcc_lo, 0, v1
	s_delay_alu instid0(VALU_DEP_2) | instskip(NEXT) | instid1(VALU_DEP_1)
	v_cndmask_b32_e64 v0, 0xff800000, v29, s10
	v_cndmask_b32_e32 v0, 0x7f800001, v0, vcc_lo
; %bb.20379:                            ;   in Loop: Header=BB6_16763 Depth=2
	s_or_b32 exec_lo, exec_lo, s40
.LBB6_20380:                            ;   in Loop: Header=BB6_16763 Depth=2
	s_delay_alu instid0(SALU_CYCLE_1)
	s_or_b32 exec_lo, exec_lo, s29
.LBB6_20381:                            ;   in Loop: Header=BB6_16763 Depth=2
	s_delay_alu instid0(SALU_CYCLE_1) | instskip(NEXT) | instid1(VALU_DEP_1)
	s_or_b32 exec_lo, exec_lo, s28
	v_dual_mul_f32 v0, s27, v0 :: v_dual_mov_b32 v3, v55
                                        ; implicit-def: $vgpr53
	s_mov_b32 s10, exec_lo
	s_delay_alu instid0(VALU_DEP_1) | instskip(SKIP_2) | instid1(VALU_DEP_3)
	v_and_b32_e32 v2, 0x7f800000, v0
	v_and_b32_e32 v54, 0x7fffff, v0
	v_lshrrev_b32_e32 v1, 24, v0
	v_cmpx_ne_u64_e32 0x7f800000, v[2:3]
	s_xor_b32 s28, exec_lo, s10
	s_cbranch_execz .LBB6_20395
; %bb.20382:                            ;   in Loop: Header=BB6_16763 Depth=2
	v_and_b32_e32 v2, 0x7fffffff, v0
	v_mov_b32_e32 v3, v55
	v_and_b32_e32 v10, 0x80, v1
                                        ; implicit-def: $vgpr53
	s_mov_b32 s10, exec_lo
	s_delay_alu instid0(VALU_DEP_2)
	v_cmpx_gt_u64_e32 0x47600001, v[2:3]
	s_xor_b32 s29, exec_lo, s10
	s_cbranch_execz .LBB6_20392
; %bb.20383:                            ;   in Loop: Header=BB6_16763 Depth=2
	v_mov_b32_e32 v53, 0
	s_mov_b32 s40, exec_lo
	v_cmpx_ne_u32_e32 0, v0
	s_cbranch_execz .LBB6_20391
; %bb.20384:                            ;   in Loop: Header=BB6_16763 Depth=2
	v_bfe_u32 v11, v0, 23, 8
	v_or_b32_e32 v1, 0x800000, v54
	s_delay_alu instid0(VALU_DEP_2) | instskip(SKIP_2) | instid1(VALU_DEP_2)
	v_cmp_gt_u32_e64 s10, 0x72, v11
	v_sub_nc_u32_e32 v0, 0x71, v11
	v_cmp_eq_u32_e32 vcc_lo, 0, v11
	v_cndmask_b32_e64 v0, 0, v0, s10
	s_delay_alu instid0(VALU_DEP_1) | instskip(SKIP_1) | instid1(VALU_DEP_2)
	v_cndmask_b32_e64 v14, v0, 0x70, vcc_lo
	v_dual_cndmask_b32 v0, v1, v54 :: v_dual_mov_b32 v1, v55
	v_dual_add_nc_u32 v2, 21, v14 :: v_dual_add_nc_u32 v15, 20, v14
	s_delay_alu instid0(VALU_DEP_1) | instskip(NEXT) | instid1(VALU_DEP_2)
	v_lshlrev_b64_e64 v[2:3], v2, -1
	v_lshlrev_b64_e64 v[114:115], v15, 1
	s_delay_alu instid0(VALU_DEP_2) | instskip(SKIP_1) | instid1(VALU_DEP_4)
	v_bfi_b32 v2, v2, 0, v0
	v_lshrrev_b64 v[0:1], v14, v[0:1]
	v_bfi_b32 v3, v3, 0, 0
	s_delay_alu instid0(VALU_DEP_1) | instskip(NEXT) | instid1(VALU_DEP_3)
	v_cmp_eq_u64_e64 s10, v[2:3], v[114:115]
	v_mov_b64_e32 v[2:3], v[0:1]
	s_and_saveexec_b32 s41, s10
; %bb.20385:                            ;   in Loop: Header=BB6_16763 Depth=2
	v_bfe_u32 v2, v0, 21, 1
	v_mov_b32_e32 v3, v55
	s_delay_alu instid0(VALU_DEP_1) | instskip(NEXT) | instid1(VALU_DEP_1)
	v_add_nc_u64_e32 v[2:3], v[0:1], v[2:3]
	v_add_nc_u64_e32 v[2:3], -1, v[2:3]
; %bb.20386:                            ;   in Loop: Header=BB6_16763 Depth=2
	s_or_b32 exec_lo, exec_lo, s41
	v_add_nc_u32_e32 v1, 0xffffff81, v11
	s_delay_alu instid0(VALU_DEP_2) | instskip(SKIP_2) | instid1(VALU_DEP_3)
	v_and_b32_e32 v2, 0x1fffff, v2
	v_lshrrev_b32_e32 v3, 23, v0
	s_mov_b32 s10, exec_lo
	v_cndmask_b32_e64 v1, v1, 0xffffff82, vcc_lo
	s_delay_alu instid0(VALU_DEP_3) | instskip(NEXT) | instid1(VALU_DEP_2)
	v_add_nc_u32_e32 v54, v2, v0
                                        ; implicit-def: $vgpr2
	v_add3_u32 v11, v14, v1, v3
                                        ; implicit-def: $vgpr0_vgpr1
	s_delay_alu instid0(VALU_DEP_1) | instskip(NEXT) | instid1(VALU_DEP_1)
	v_add_nc_u32_e32 v3, 14, v11
	v_cmpx_ne_u32_e32 0, v3
	s_xor_b32 s10, exec_lo, s10
; %bb.20387:                            ;   in Loop: Header=BB6_16763 Depth=2
	v_cmp_lt_u64_e32 vcc_lo, 0xffffff, v[54:55]
	v_add_nc_u32_e32 v0, 15, v11
	s_delay_alu instid0(VALU_DEP_1) | instskip(SKIP_1) | instid1(VALU_DEP_1)
	v_cndmask_b32_e32 v2, v3, v0, vcc_lo
	v_cndmask_b32_e64 v0, 0, 1, vcc_lo
	v_lshrrev_b64 v[0:1], v0, v[54:55]
; %bb.20388:                            ;   in Loop: Header=BB6_16763 Depth=2
	s_and_not1_saveexec_b32 s10, s10
; %bb.20389:                            ;   in Loop: Header=BB6_16763 Depth=2
	v_mov_b64_e32 v[0:1], v[54:55]
	v_bfe_u32 v2, v54, 23, 1
; %bb.20390:                            ;   in Loop: Header=BB6_16763 Depth=2
	s_or_b32 exec_lo, exec_lo, s10
	s_delay_alu instid0(VALU_DEP_2) | instskip(NEXT) | instid1(VALU_DEP_2)
	v_lshrrev_b64 v[0:1], 21, v[0:1]
	v_cmp_gt_i32_e32 vcc_lo, 32, v2
	v_min_i32_e32 v3, 31, v2
	v_cmp_eq_u32_e64 s10, 0, v2
	s_delay_alu instid0(VALU_DEP_2) | instskip(SKIP_1) | instid1(VALU_DEP_2)
	v_dual_cndmask_b32 v1, 0, v1, vcc_lo :: v_dual_lshlrev_b32 v3, 2, v3
	v_cndmask_b32_e32 v0, 3, v0, vcc_lo
	v_and_b32_e32 v3, 0xfc, v3
	s_delay_alu instid0(VALU_DEP_2) | instskip(NEXT) | instid1(VALU_DEP_2)
	v_cmp_eq_u64_e32 vcc_lo, 0, v[0:1]
	v_and_or_b32 v0, v0, 3, v3
	s_and_b32 s10, s10, vcc_lo
	s_delay_alu instid0(VALU_DEP_1) | instid1(SALU_CYCLE_1)
	v_cndmask_b32_e64 v0, v0, 0, s10
	s_delay_alu instid0(VALU_DEP_1)
	v_or_b32_e32 v53, v0, v10
.LBB6_20391:                            ;   in Loop: Header=BB6_16763 Depth=2
	s_or_b32 exec_lo, exec_lo, s40
                                        ; implicit-def: $vgpr10
.LBB6_20392:                            ;   in Loop: Header=BB6_16763 Depth=2
	s_and_not1_saveexec_b32 s10, s29
; %bb.20393:                            ;   in Loop: Header=BB6_16763 Depth=2
	v_or_b32_e32 v53, 0x7b, v10
; %bb.20394:                            ;   in Loop: Header=BB6_16763 Depth=2
	s_or_b32 exec_lo, exec_lo, s10
                                        ; implicit-def: $vgpr0
                                        ; implicit-def: $vgpr1
.LBB6_20395:                            ;   in Loop: Header=BB6_16763 Depth=2
	s_and_not1_saveexec_b32 s10, s28
	s_cbranch_execz .LBB6_20401
; %bb.20396:                            ;   in Loop: Header=BB6_16763 Depth=2
	s_mov_b32 s28, exec_lo
                                        ; implicit-def: $vgpr53
	v_cmpx_ne_u64_e32 0, v[54:55]
	s_xor_b32 s28, exec_lo, s28
; %bb.20397:                            ;   in Loop: Header=BB6_16763 Depth=2
	v_or_b32_e32 v53, 0x7f, v1
                                        ; implicit-def: $vgpr0
; %bb.20398:                            ;   in Loop: Header=BB6_16763 Depth=2
	s_and_not1_saveexec_b32 s28, s28
; %bb.20399:                            ;   in Loop: Header=BB6_16763 Depth=2
	v_cmp_lt_i32_e32 vcc_lo, -1, v0
	v_cndmask_b32_e32 v53, 0xfc, v30, vcc_lo
; %bb.20400:                            ;   in Loop: Header=BB6_16763 Depth=2
	s_or_b32 exec_lo, exec_lo, s28
.LBB6_20401:                            ;   in Loop: Header=BB6_16763 Depth=2
	s_delay_alu instid0(SALU_CYCLE_1) | instskip(SKIP_3) | instid1(VALU_DEP_2)
	s_or_b32 exec_lo, exec_lo, s10
	v_lshrrev_b16 v0, 8, v12
	v_mov_b32_e32 v1, 0
	s_mov_b32 s28, exec_lo
	v_cmpx_ne_u16_e32 0, v0
	s_cbranch_execz .LBB6_20411
; %bb.20402:                            ;   in Loop: Header=BB6_16763 Depth=2
	v_bfrev_b32_e32 v1, 1
	s_mov_b32 s29, exec_lo
	v_cmpx_ne_u16_e32 0x80, v0
	s_cbranch_execz .LBB6_20410
; %bb.20403:                            ;   in Loop: Header=BB6_16763 Depth=2
	v_and_b32_e32 v3, 0xffff, v0
	s_delay_alu instid0(VALU_DEP_1) | instskip(SKIP_1) | instid1(VALU_DEP_2)
	v_and_b32_e32 v1, 0x7c, v3
	v_and_b32_e32 v2, 3, v3
	v_cmp_ne_u32_e32 vcc_lo, 0x7c, v1
                                        ; implicit-def: $vgpr1
	s_and_saveexec_b32 s10, vcc_lo
	s_delay_alu instid0(SALU_CYCLE_1)
	s_xor_b32 s10, exec_lo, s10
	s_cbranch_execz .LBB6_20407
; %bb.20404:                            ;   in Loop: Header=BB6_16763 Depth=2
	v_bfe_u32 v1, v3, 2, 5
	s_mov_b32 s40, exec_lo
	s_delay_alu instid0(VALU_DEP_1)
	v_cmpx_eq_u32_e32 0, v1
; %bb.20405:                            ;   in Loop: Header=BB6_16763 Depth=2
	v_clz_i32_u32_e32 v1, v2
	s_delay_alu instid0(VALU_DEP_1) | instskip(SKIP_1) | instid1(VALU_DEP_2)
	v_min_u32_e32 v2, 32, v1
	v_mov_b32_e32 v1, v55
	v_subrev_nc_u32_e32 v3, 29, v2
	s_delay_alu instid0(VALU_DEP_1) | instskip(NEXT) | instid1(VALU_DEP_1)
	v_lshlrev_b64_e32 v[0:1], v3, v[0:1]
	v_dual_sub_nc_u32 v1, 30, v2 :: v_dual_bitop2_b32 v2, 3, v0 bitop3:0x40
; %bb.20406:                            ;   in Loop: Header=BB6_16763 Depth=2
	s_or_b32 exec_lo, exec_lo, s40
	v_lshlrev_b32_e32 v0, 16, v12
	s_delay_alu instid0(VALU_DEP_1) | instskip(NEXT) | instid1(VALU_DEP_1)
	v_and_b32_e32 v0, 0x80000000, v0
	v_lshl_add_u32 v0, v1, 23, v0
	s_delay_alu instid0(VALU_DEP_1) | instskip(NEXT) | instid1(VALU_DEP_1)
	v_lshl_or_b32 v0, v2, 21, v0
                                        ; implicit-def: $vgpr2
	v_add_nc_u32_e32 v1, 0x38000000, v0
.LBB6_20407:                            ;   in Loop: Header=BB6_16763 Depth=2
	s_and_not1_saveexec_b32 s40, s10
; %bb.20408:                            ;   in Loop: Header=BB6_16763 Depth=2
	v_cmp_lt_i16_e64 s10, -1, v12
	v_cmp_eq_u32_e32 vcc_lo, 0, v2
	s_delay_alu instid0(VALU_DEP_2) | instskip(NEXT) | instid1(VALU_DEP_1)
	v_cndmask_b32_e64 v0, 0xff800000, v29, s10
	v_cndmask_b32_e32 v1, 0x7f800001, v0, vcc_lo
; %bb.20409:                            ;   in Loop: Header=BB6_16763 Depth=2
	s_or_b32 exec_lo, exec_lo, s40
.LBB6_20410:                            ;   in Loop: Header=BB6_16763 Depth=2
	s_delay_alu instid0(SALU_CYCLE_1)
	s_or_b32 exec_lo, exec_lo, s29
.LBB6_20411:                            ;   in Loop: Header=BB6_16763 Depth=2
	s_delay_alu instid0(SALU_CYCLE_1) | instskip(NEXT) | instid1(VALU_DEP_1)
	s_or_b32 exec_lo, exec_lo, s28
	v_dual_mul_f32 v0, s27, v1 :: v_dual_mov_b32 v3, v55
                                        ; implicit-def: $vgpr87
	s_mov_b32 s10, exec_lo
	s_delay_alu instid0(VALU_DEP_1) | instskip(SKIP_2) | instid1(VALU_DEP_3)
	v_and_b32_e32 v2, 0x7f800000, v0
	v_and_b32_e32 v54, 0x7fffff, v0
	v_lshrrev_b32_e32 v1, 24, v0
	v_cmpx_ne_u64_e32 0x7f800000, v[2:3]
	s_xor_b32 s28, exec_lo, s10
	s_cbranch_execz .LBB6_20425
; %bb.20412:                            ;   in Loop: Header=BB6_16763 Depth=2
	v_and_b32_e32 v2, 0x7fffffff, v0
	v_mov_b32_e32 v3, v55
	v_and_b32_e32 v10, 0x80, v1
                                        ; implicit-def: $vgpr87
	s_mov_b32 s10, exec_lo
	s_delay_alu instid0(VALU_DEP_2)
	v_cmpx_gt_u64_e32 0x47600001, v[2:3]
	s_xor_b32 s29, exec_lo, s10
	s_cbranch_execz .LBB6_20422
; %bb.20413:                            ;   in Loop: Header=BB6_16763 Depth=2
	v_mov_b32_e32 v87, 0
	s_mov_b32 s40, exec_lo
	v_cmpx_ne_u32_e32 0, v0
	s_cbranch_execz .LBB6_20421
; %bb.20414:                            ;   in Loop: Header=BB6_16763 Depth=2
	v_bfe_u32 v11, v0, 23, 8
	v_or_b32_e32 v1, 0x800000, v54
	s_delay_alu instid0(VALU_DEP_2) | instskip(SKIP_2) | instid1(VALU_DEP_2)
	v_cmp_gt_u32_e64 s10, 0x72, v11
	v_sub_nc_u32_e32 v0, 0x71, v11
	v_cmp_eq_u32_e32 vcc_lo, 0, v11
	v_cndmask_b32_e64 v0, 0, v0, s10
	s_delay_alu instid0(VALU_DEP_1) | instskip(SKIP_1) | instid1(VALU_DEP_2)
	v_cndmask_b32_e64 v14, v0, 0x70, vcc_lo
	v_dual_cndmask_b32 v0, v1, v54 :: v_dual_mov_b32 v1, v55
	v_dual_add_nc_u32 v2, 21, v14 :: v_dual_add_nc_u32 v15, 20, v14
	s_delay_alu instid0(VALU_DEP_1) | instskip(NEXT) | instid1(VALU_DEP_2)
	v_lshlrev_b64_e64 v[2:3], v2, -1
	v_lshlrev_b64_e64 v[114:115], v15, 1
	s_delay_alu instid0(VALU_DEP_2) | instskip(SKIP_1) | instid1(VALU_DEP_4)
	v_bfi_b32 v2, v2, 0, v0
	v_lshrrev_b64 v[0:1], v14, v[0:1]
	v_bfi_b32 v3, v3, 0, 0
	s_delay_alu instid0(VALU_DEP_1) | instskip(NEXT) | instid1(VALU_DEP_3)
	v_cmp_eq_u64_e64 s10, v[2:3], v[114:115]
	v_mov_b64_e32 v[2:3], v[0:1]
	s_and_saveexec_b32 s41, s10
; %bb.20415:                            ;   in Loop: Header=BB6_16763 Depth=2
	v_bfe_u32 v2, v0, 21, 1
	v_mov_b32_e32 v3, v55
	s_delay_alu instid0(VALU_DEP_1) | instskip(NEXT) | instid1(VALU_DEP_1)
	v_add_nc_u64_e32 v[2:3], v[0:1], v[2:3]
	v_add_nc_u64_e32 v[2:3], -1, v[2:3]
; %bb.20416:                            ;   in Loop: Header=BB6_16763 Depth=2
	s_or_b32 exec_lo, exec_lo, s41
	v_add_nc_u32_e32 v1, 0xffffff81, v11
	s_delay_alu instid0(VALU_DEP_2) | instskip(SKIP_2) | instid1(VALU_DEP_3)
	v_and_b32_e32 v2, 0x1fffff, v2
	v_lshrrev_b32_e32 v3, 23, v0
	s_mov_b32 s10, exec_lo
	v_cndmask_b32_e64 v1, v1, 0xffffff82, vcc_lo
	s_delay_alu instid0(VALU_DEP_3) | instskip(NEXT) | instid1(VALU_DEP_2)
	v_add_nc_u32_e32 v54, v2, v0
                                        ; implicit-def: $vgpr2
	v_add3_u32 v11, v14, v1, v3
                                        ; implicit-def: $vgpr0_vgpr1
	s_delay_alu instid0(VALU_DEP_1) | instskip(NEXT) | instid1(VALU_DEP_1)
	v_add_nc_u32_e32 v3, 14, v11
	v_cmpx_ne_u32_e32 0, v3
	s_xor_b32 s10, exec_lo, s10
; %bb.20417:                            ;   in Loop: Header=BB6_16763 Depth=2
	v_cmp_lt_u64_e32 vcc_lo, 0xffffff, v[54:55]
	v_add_nc_u32_e32 v0, 15, v11
	s_delay_alu instid0(VALU_DEP_1) | instskip(SKIP_1) | instid1(VALU_DEP_1)
	v_cndmask_b32_e32 v2, v3, v0, vcc_lo
	v_cndmask_b32_e64 v0, 0, 1, vcc_lo
	v_lshrrev_b64 v[0:1], v0, v[54:55]
; %bb.20418:                            ;   in Loop: Header=BB6_16763 Depth=2
	s_and_not1_saveexec_b32 s10, s10
; %bb.20419:                            ;   in Loop: Header=BB6_16763 Depth=2
	v_mov_b64_e32 v[0:1], v[54:55]
	v_bfe_u32 v2, v54, 23, 1
; %bb.20420:                            ;   in Loop: Header=BB6_16763 Depth=2
	s_or_b32 exec_lo, exec_lo, s10
	s_delay_alu instid0(VALU_DEP_2) | instskip(NEXT) | instid1(VALU_DEP_2)
	v_lshrrev_b64 v[0:1], 21, v[0:1]
	v_cmp_gt_i32_e32 vcc_lo, 32, v2
	v_min_i32_e32 v3, 31, v2
	v_cmp_eq_u32_e64 s10, 0, v2
	s_delay_alu instid0(VALU_DEP_2) | instskip(SKIP_1) | instid1(VALU_DEP_2)
	v_dual_cndmask_b32 v1, 0, v1, vcc_lo :: v_dual_lshlrev_b32 v3, 2, v3
	v_cndmask_b32_e32 v0, 3, v0, vcc_lo
	v_and_b32_e32 v3, 0xfc, v3
	s_delay_alu instid0(VALU_DEP_2) | instskip(NEXT) | instid1(VALU_DEP_2)
	v_cmp_eq_u64_e32 vcc_lo, 0, v[0:1]
	v_and_or_b32 v0, v0, 3, v3
	s_and_b32 s10, s10, vcc_lo
	s_delay_alu instid0(VALU_DEP_1) | instid1(SALU_CYCLE_1)
	v_cndmask_b32_e64 v0, v0, 0, s10
	s_delay_alu instid0(VALU_DEP_1)
	v_or_b32_e32 v87, v0, v10
.LBB6_20421:                            ;   in Loop: Header=BB6_16763 Depth=2
	s_or_b32 exec_lo, exec_lo, s40
                                        ; implicit-def: $vgpr10
.LBB6_20422:                            ;   in Loop: Header=BB6_16763 Depth=2
	s_and_not1_saveexec_b32 s10, s29
; %bb.20423:                            ;   in Loop: Header=BB6_16763 Depth=2
	v_or_b32_e32 v87, 0x7b, v10
; %bb.20424:                            ;   in Loop: Header=BB6_16763 Depth=2
	s_or_b32 exec_lo, exec_lo, s10
                                        ; implicit-def: $vgpr0
                                        ; implicit-def: $vgpr1
.LBB6_20425:                            ;   in Loop: Header=BB6_16763 Depth=2
	s_and_not1_saveexec_b32 s10, s28
	s_cbranch_execz .LBB6_20431
; %bb.20426:                            ;   in Loop: Header=BB6_16763 Depth=2
	s_mov_b32 s28, exec_lo
                                        ; implicit-def: $vgpr87
	v_cmpx_ne_u64_e32 0, v[54:55]
	s_xor_b32 s28, exec_lo, s28
; %bb.20427:                            ;   in Loop: Header=BB6_16763 Depth=2
	v_or_b32_e32 v87, 0x7f, v1
                                        ; implicit-def: $vgpr0
; %bb.20428:                            ;   in Loop: Header=BB6_16763 Depth=2
	s_and_not1_saveexec_b32 s28, s28
; %bb.20429:                            ;   in Loop: Header=BB6_16763 Depth=2
	v_cmp_lt_i32_e32 vcc_lo, -1, v0
	v_cndmask_b32_e32 v87, 0xfc, v30, vcc_lo
; %bb.20430:                            ;   in Loop: Header=BB6_16763 Depth=2
	s_or_b32 exec_lo, exec_lo, s28
.LBB6_20431:                            ;   in Loop: Header=BB6_16763 Depth=2
	s_delay_alu instid0(SALU_CYCLE_1) | instskip(SKIP_2) | instid1(VALU_DEP_1)
	s_or_b32 exec_lo, exec_lo, s10
	v_dual_mov_b32 v1, 0 :: v_dual_lshrrev_b32 v0, 16, v12
	s_mov_b32 s28, exec_lo
	v_and_b32_e32 v2, 0xff, v0
	s_delay_alu instid0(VALU_DEP_1)
	v_cmpx_ne_u16_e32 0, v2
	s_cbranch_execz .LBB6_20441
; %bb.20432:                            ;   in Loop: Header=BB6_16763 Depth=2
	v_bfrev_b32_e32 v1, 1
	s_mov_b32 s29, exec_lo
	v_cmpx_ne_u16_e32 0x80, v2
	s_cbranch_execz .LBB6_20440
; %bb.20433:                            ;   in Loop: Header=BB6_16763 Depth=2
	v_and_b32_e32 v1, 0x7c0000, v12
	v_bfe_u32 v2, v12, 16, 2
	s_delay_alu instid0(VALU_DEP_2) | instskip(SKIP_1) | instid1(SALU_CYCLE_1)
	v_cmp_ne_u32_e32 vcc_lo, 0x7c0000, v1
                                        ; implicit-def: $vgpr1
	s_and_saveexec_b32 s10, vcc_lo
	s_xor_b32 s10, exec_lo, s10
	s_cbranch_execz .LBB6_20437
; %bb.20434:                            ;   in Loop: Header=BB6_16763 Depth=2
	v_bfe_u32 v1, v12, 18, 5
	s_mov_b32 s40, exec_lo
	s_delay_alu instid0(VALU_DEP_1)
	v_cmpx_eq_u32_e32 0, v1
; %bb.20435:                            ;   in Loop: Header=BB6_16763 Depth=2
	v_clz_i32_u32_e32 v1, v2
	s_delay_alu instid0(VALU_DEP_1) | instskip(NEXT) | instid1(VALU_DEP_1)
	v_min_u32_e32 v1, 32, v1
	v_subrev_nc_u32_e32 v2, 29, v1
	s_delay_alu instid0(VALU_DEP_1) | instskip(NEXT) | instid1(VALU_DEP_1)
	v_lshlrev_b64_e32 v[2:3], v2, v[0:1]
	v_dual_sub_nc_u32 v1, 30, v1 :: v_dual_bitop2_b32 v2, 3, v2 bitop3:0x40
; %bb.20436:                            ;   in Loop: Header=BB6_16763 Depth=2
	s_or_b32 exec_lo, exec_lo, s40
	v_lshlrev_b32_e32 v0, 24, v0
	s_delay_alu instid0(VALU_DEP_1) | instskip(NEXT) | instid1(VALU_DEP_1)
	v_and_b32_e32 v0, 0x80000000, v0
	v_lshl_add_u32 v0, v1, 23, v0
	s_delay_alu instid0(VALU_DEP_1) | instskip(NEXT) | instid1(VALU_DEP_1)
	v_lshl_or_b32 v0, v2, 21, v0
                                        ; implicit-def: $vgpr2
	v_add_nc_u32_e32 v1, 0x38000000, v0
                                        ; implicit-def: $vgpr0
.LBB6_20437:                            ;   in Loop: Header=BB6_16763 Depth=2
	s_and_not1_saveexec_b32 s40, s10
; %bb.20438:                            ;   in Loop: Header=BB6_16763 Depth=2
	v_bfe_i32 v0, v0, 0, 8
	v_cmp_eq_u32_e32 vcc_lo, 0, v2
	s_delay_alu instid0(VALU_DEP_2) | instskip(NEXT) | instid1(VALU_DEP_1)
	v_cmp_lt_i16_e64 s10, -1, v0
	v_cndmask_b32_e64 v0, 0xff800000, v29, s10
	s_delay_alu instid0(VALU_DEP_1)
	v_cndmask_b32_e32 v1, 0x7f800001, v0, vcc_lo
; %bb.20439:                            ;   in Loop: Header=BB6_16763 Depth=2
	s_or_b32 exec_lo, exec_lo, s40
.LBB6_20440:                            ;   in Loop: Header=BB6_16763 Depth=2
	s_delay_alu instid0(SALU_CYCLE_1)
	s_or_b32 exec_lo, exec_lo, s29
.LBB6_20441:                            ;   in Loop: Header=BB6_16763 Depth=2
	s_delay_alu instid0(SALU_CYCLE_1) | instskip(NEXT) | instid1(VALU_DEP_1)
	s_or_b32 exec_lo, exec_lo, s28
	v_dual_mul_f32 v0, s27, v1 :: v_dual_mov_b32 v3, v55
                                        ; implicit-def: $vgpr97
	s_mov_b32 s10, exec_lo
	s_delay_alu instid0(VALU_DEP_1) | instskip(SKIP_2) | instid1(VALU_DEP_3)
	v_and_b32_e32 v2, 0x7f800000, v0
	v_and_b32_e32 v54, 0x7fffff, v0
	v_lshrrev_b32_e32 v1, 24, v0
	v_cmpx_ne_u64_e32 0x7f800000, v[2:3]
	s_xor_b32 s28, exec_lo, s10
	s_cbranch_execz .LBB6_20455
; %bb.20442:                            ;   in Loop: Header=BB6_16763 Depth=2
	v_and_b32_e32 v2, 0x7fffffff, v0
	v_mov_b32_e32 v3, v55
	v_and_b32_e32 v10, 0x80, v1
                                        ; implicit-def: $vgpr97
	s_mov_b32 s10, exec_lo
	s_delay_alu instid0(VALU_DEP_2)
	v_cmpx_gt_u64_e32 0x47600001, v[2:3]
	s_xor_b32 s29, exec_lo, s10
	s_cbranch_execz .LBB6_20452
; %bb.20443:                            ;   in Loop: Header=BB6_16763 Depth=2
	v_mov_b32_e32 v97, 0
	s_mov_b32 s40, exec_lo
	v_cmpx_ne_u32_e32 0, v0
	s_cbranch_execz .LBB6_20451
; %bb.20444:                            ;   in Loop: Header=BB6_16763 Depth=2
	v_bfe_u32 v11, v0, 23, 8
	v_or_b32_e32 v1, 0x800000, v54
	s_delay_alu instid0(VALU_DEP_2) | instskip(SKIP_2) | instid1(VALU_DEP_2)
	v_cmp_gt_u32_e64 s10, 0x72, v11
	v_sub_nc_u32_e32 v0, 0x71, v11
	v_cmp_eq_u32_e32 vcc_lo, 0, v11
	v_cndmask_b32_e64 v0, 0, v0, s10
	s_delay_alu instid0(VALU_DEP_1) | instskip(SKIP_1) | instid1(VALU_DEP_2)
	v_cndmask_b32_e64 v14, v0, 0x70, vcc_lo
	v_dual_cndmask_b32 v0, v1, v54 :: v_dual_mov_b32 v1, v55
	v_dual_add_nc_u32 v2, 21, v14 :: v_dual_add_nc_u32 v15, 20, v14
	s_delay_alu instid0(VALU_DEP_1) | instskip(NEXT) | instid1(VALU_DEP_2)
	v_lshlrev_b64_e64 v[2:3], v2, -1
	v_lshlrev_b64_e64 v[114:115], v15, 1
	s_delay_alu instid0(VALU_DEP_2) | instskip(SKIP_1) | instid1(VALU_DEP_4)
	v_bfi_b32 v2, v2, 0, v0
	v_lshrrev_b64 v[0:1], v14, v[0:1]
	v_bfi_b32 v3, v3, 0, 0
	s_delay_alu instid0(VALU_DEP_1) | instskip(NEXT) | instid1(VALU_DEP_3)
	v_cmp_eq_u64_e64 s10, v[2:3], v[114:115]
	v_mov_b64_e32 v[2:3], v[0:1]
	s_and_saveexec_b32 s41, s10
; %bb.20445:                            ;   in Loop: Header=BB6_16763 Depth=2
	v_bfe_u32 v2, v0, 21, 1
	v_mov_b32_e32 v3, v55
	s_delay_alu instid0(VALU_DEP_1) | instskip(NEXT) | instid1(VALU_DEP_1)
	v_add_nc_u64_e32 v[2:3], v[0:1], v[2:3]
	v_add_nc_u64_e32 v[2:3], -1, v[2:3]
; %bb.20446:                            ;   in Loop: Header=BB6_16763 Depth=2
	s_or_b32 exec_lo, exec_lo, s41
	v_add_nc_u32_e32 v1, 0xffffff81, v11
	s_delay_alu instid0(VALU_DEP_2) | instskip(SKIP_2) | instid1(VALU_DEP_3)
	v_and_b32_e32 v2, 0x1fffff, v2
	v_lshrrev_b32_e32 v3, 23, v0
	s_mov_b32 s10, exec_lo
	v_cndmask_b32_e64 v1, v1, 0xffffff82, vcc_lo
	s_delay_alu instid0(VALU_DEP_3) | instskip(NEXT) | instid1(VALU_DEP_2)
	v_add_nc_u32_e32 v54, v2, v0
                                        ; implicit-def: $vgpr2
	v_add3_u32 v11, v14, v1, v3
                                        ; implicit-def: $vgpr0_vgpr1
	s_delay_alu instid0(VALU_DEP_1) | instskip(NEXT) | instid1(VALU_DEP_1)
	v_add_nc_u32_e32 v3, 14, v11
	v_cmpx_ne_u32_e32 0, v3
	s_xor_b32 s10, exec_lo, s10
; %bb.20447:                            ;   in Loop: Header=BB6_16763 Depth=2
	v_cmp_lt_u64_e32 vcc_lo, 0xffffff, v[54:55]
	v_add_nc_u32_e32 v0, 15, v11
	s_delay_alu instid0(VALU_DEP_1) | instskip(SKIP_1) | instid1(VALU_DEP_1)
	v_cndmask_b32_e32 v2, v3, v0, vcc_lo
	v_cndmask_b32_e64 v0, 0, 1, vcc_lo
	v_lshrrev_b64 v[0:1], v0, v[54:55]
; %bb.20448:                            ;   in Loop: Header=BB6_16763 Depth=2
	s_and_not1_saveexec_b32 s10, s10
; %bb.20449:                            ;   in Loop: Header=BB6_16763 Depth=2
	v_mov_b64_e32 v[0:1], v[54:55]
	v_bfe_u32 v2, v54, 23, 1
; %bb.20450:                            ;   in Loop: Header=BB6_16763 Depth=2
	s_or_b32 exec_lo, exec_lo, s10
	s_delay_alu instid0(VALU_DEP_2) | instskip(NEXT) | instid1(VALU_DEP_2)
	v_lshrrev_b64 v[0:1], 21, v[0:1]
	v_cmp_gt_i32_e32 vcc_lo, 32, v2
	v_min_i32_e32 v3, 31, v2
	v_cmp_eq_u32_e64 s10, 0, v2
	s_delay_alu instid0(VALU_DEP_2) | instskip(SKIP_1) | instid1(VALU_DEP_2)
	v_dual_cndmask_b32 v1, 0, v1, vcc_lo :: v_dual_lshlrev_b32 v3, 2, v3
	v_cndmask_b32_e32 v0, 3, v0, vcc_lo
	v_and_b32_e32 v3, 0xfc, v3
	s_delay_alu instid0(VALU_DEP_2) | instskip(NEXT) | instid1(VALU_DEP_2)
	v_cmp_eq_u64_e32 vcc_lo, 0, v[0:1]
	v_and_or_b32 v0, v0, 3, v3
	s_and_b32 s10, s10, vcc_lo
	s_delay_alu instid0(VALU_DEP_1) | instid1(SALU_CYCLE_1)
	v_cndmask_b32_e64 v0, v0, 0, s10
	s_delay_alu instid0(VALU_DEP_1)
	v_or_b32_e32 v97, v0, v10
.LBB6_20451:                            ;   in Loop: Header=BB6_16763 Depth=2
	s_or_b32 exec_lo, exec_lo, s40
                                        ; implicit-def: $vgpr10
.LBB6_20452:                            ;   in Loop: Header=BB6_16763 Depth=2
	s_and_not1_saveexec_b32 s10, s29
; %bb.20453:                            ;   in Loop: Header=BB6_16763 Depth=2
	v_or_b32_e32 v97, 0x7b, v10
; %bb.20454:                            ;   in Loop: Header=BB6_16763 Depth=2
	s_or_b32 exec_lo, exec_lo, s10
                                        ; implicit-def: $vgpr0
                                        ; implicit-def: $vgpr1
.LBB6_20455:                            ;   in Loop: Header=BB6_16763 Depth=2
	s_and_not1_saveexec_b32 s10, s28
	s_cbranch_execz .LBB6_20461
; %bb.20456:                            ;   in Loop: Header=BB6_16763 Depth=2
	s_mov_b32 s28, exec_lo
                                        ; implicit-def: $vgpr97
	v_cmpx_ne_u64_e32 0, v[54:55]
	s_xor_b32 s28, exec_lo, s28
; %bb.20457:                            ;   in Loop: Header=BB6_16763 Depth=2
	v_or_b32_e32 v97, 0x7f, v1
                                        ; implicit-def: $vgpr0
; %bb.20458:                            ;   in Loop: Header=BB6_16763 Depth=2
	s_and_not1_saveexec_b32 s28, s28
; %bb.20459:                            ;   in Loop: Header=BB6_16763 Depth=2
	v_cmp_lt_i32_e32 vcc_lo, -1, v0
	v_cndmask_b32_e32 v97, 0xfc, v30, vcc_lo
; %bb.20460:                            ;   in Loop: Header=BB6_16763 Depth=2
	s_or_b32 exec_lo, exec_lo, s28
.LBB6_20461:                            ;   in Loop: Header=BB6_16763 Depth=2
	s_delay_alu instid0(SALU_CYCLE_1)
	s_or_b32 exec_lo, exec_lo, s10
	v_mov_b32_e32 v1, 0
	s_mov_b32 s28, exec_lo
	v_cmpx_lt_u32_e32 0xffffff, v12
	s_cbranch_execz .LBB6_20471
; %bb.20462:                            ;   in Loop: Header=BB6_16763 Depth=2
	v_lshrrev_b32_e32 v0, 24, v12
	v_bfrev_b32_e32 v1, 1
	s_mov_b32 s29, exec_lo
	s_delay_alu instid0(VALU_DEP_2)
	v_cmpx_ne_u32_e32 0x80, v0
	s_cbranch_execz .LBB6_20470
; %bb.20463:                            ;   in Loop: Header=BB6_16763 Depth=2
	v_and_b32_e32 v1, 0x7c000000, v12
	v_bfe_u32 v2, v12, 24, 2
	s_delay_alu instid0(VALU_DEP_2) | instskip(SKIP_1) | instid1(SALU_CYCLE_1)
	v_cmp_ne_u32_e32 vcc_lo, 0x7c000000, v1
                                        ; implicit-def: $vgpr1
	s_and_saveexec_b32 s10, vcc_lo
	s_xor_b32 s10, exec_lo, s10
	s_cbranch_execz .LBB6_20467
; %bb.20464:                            ;   in Loop: Header=BB6_16763 Depth=2
	v_bfe_u32 v1, v12, 26, 5
	s_mov_b32 s40, exec_lo
	s_delay_alu instid0(VALU_DEP_1)
	v_cmpx_eq_u32_e32 0, v1
; %bb.20465:                            ;   in Loop: Header=BB6_16763 Depth=2
	v_clz_i32_u32_e32 v1, v2
	s_delay_alu instid0(VALU_DEP_1) | instskip(NEXT) | instid1(VALU_DEP_1)
	v_min_u32_e32 v2, 32, v1
	v_subrev_nc_u32_e32 v1, 29, v2
	s_delay_alu instid0(VALU_DEP_1) | instskip(NEXT) | instid1(VALU_DEP_1)
	v_lshlrev_b64_e32 v[0:1], v1, v[0:1]
	v_dual_sub_nc_u32 v1, 30, v2 :: v_dual_bitop2_b32 v2, 3, v0 bitop3:0x40
; %bb.20466:                            ;   in Loop: Header=BB6_16763 Depth=2
	s_or_b32 exec_lo, exec_lo, s40
	v_and_b32_e32 v0, 0x80000000, v12
	s_delay_alu instid0(VALU_DEP_1) | instskip(NEXT) | instid1(VALU_DEP_1)
	v_lshl_add_u32 v0, v1, 23, v0
	v_lshl_or_b32 v0, v2, 21, v0
                                        ; implicit-def: $vgpr2
	s_delay_alu instid0(VALU_DEP_1)
	v_add_nc_u32_e32 v1, 0x38000000, v0
.LBB6_20467:                            ;   in Loop: Header=BB6_16763 Depth=2
	s_and_not1_saveexec_b32 s40, s10
; %bb.20468:                            ;   in Loop: Header=BB6_16763 Depth=2
	v_cmp_lt_i32_e64 s10, -1, v12
	v_cmp_eq_u32_e32 vcc_lo, 0, v2
	s_delay_alu instid0(VALU_DEP_2) | instskip(NEXT) | instid1(VALU_DEP_1)
	v_cndmask_b32_e64 v0, 0xff800000, v29, s10
	v_cndmask_b32_e32 v1, 0x7f800001, v0, vcc_lo
; %bb.20469:                            ;   in Loop: Header=BB6_16763 Depth=2
	s_or_b32 exec_lo, exec_lo, s40
.LBB6_20470:                            ;   in Loop: Header=BB6_16763 Depth=2
	s_delay_alu instid0(SALU_CYCLE_1)
	s_or_b32 exec_lo, exec_lo, s29
.LBB6_20471:                            ;   in Loop: Header=BB6_16763 Depth=2
	s_delay_alu instid0(SALU_CYCLE_1) | instskip(NEXT) | instid1(VALU_DEP_1)
	s_or_b32 exec_lo, exec_lo, s28
	v_dual_mul_f32 v0, s27, v1 :: v_dual_mov_b32 v3, v55
                                        ; implicit-def: $vgpr114
	s_mov_b32 s10, exec_lo
	s_delay_alu instid0(VALU_DEP_1) | instskip(SKIP_2) | instid1(VALU_DEP_3)
	v_and_b32_e32 v2, 0x7f800000, v0
	v_and_b32_e32 v54, 0x7fffff, v0
	v_lshrrev_b32_e32 v1, 24, v0
	v_cmpx_ne_u64_e32 0x7f800000, v[2:3]
	s_xor_b32 s28, exec_lo, s10
	s_cbranch_execz .LBB6_20485
; %bb.20472:                            ;   in Loop: Header=BB6_16763 Depth=2
	v_and_b32_e32 v2, 0x7fffffff, v0
	v_mov_b32_e32 v3, v55
	v_and_b32_e32 v10, 0x80, v1
                                        ; implicit-def: $vgpr114
	s_mov_b32 s10, exec_lo
	s_delay_alu instid0(VALU_DEP_2)
	v_cmpx_gt_u64_e32 0x47600001, v[2:3]
	s_xor_b32 s29, exec_lo, s10
	s_cbranch_execz .LBB6_20482
; %bb.20473:                            ;   in Loop: Header=BB6_16763 Depth=2
	v_mov_b32_e32 v114, 0
	s_mov_b32 s40, exec_lo
	v_cmpx_ne_u32_e32 0, v0
	s_cbranch_execz .LBB6_20481
; %bb.20474:                            ;   in Loop: Header=BB6_16763 Depth=2
	v_bfe_u32 v11, v0, 23, 8
	v_or_b32_e32 v1, 0x800000, v54
	s_delay_alu instid0(VALU_DEP_2) | instskip(SKIP_2) | instid1(VALU_DEP_2)
	v_cmp_gt_u32_e64 s10, 0x72, v11
	v_sub_nc_u32_e32 v0, 0x71, v11
	v_cmp_eq_u32_e32 vcc_lo, 0, v11
	v_cndmask_b32_e64 v0, 0, v0, s10
	s_delay_alu instid0(VALU_DEP_1) | instskip(SKIP_1) | instid1(VALU_DEP_2)
	v_cndmask_b32_e64 v14, v0, 0x70, vcc_lo
	v_dual_cndmask_b32 v0, v1, v54 :: v_dual_mov_b32 v1, v55
	v_dual_add_nc_u32 v2, 21, v14 :: v_dual_add_nc_u32 v15, 20, v14
	s_delay_alu instid0(VALU_DEP_1) | instskip(NEXT) | instid1(VALU_DEP_2)
	v_lshlrev_b64_e64 v[2:3], v2, -1
	v_lshlrev_b64_e64 v[114:115], v15, 1
	s_delay_alu instid0(VALU_DEP_2) | instskip(SKIP_1) | instid1(VALU_DEP_4)
	v_bfi_b32 v2, v2, 0, v0
	v_lshrrev_b64 v[0:1], v14, v[0:1]
	v_bfi_b32 v3, v3, 0, 0
	s_delay_alu instid0(VALU_DEP_1) | instskip(NEXT) | instid1(VALU_DEP_3)
	v_cmp_eq_u64_e64 s10, v[2:3], v[114:115]
	v_mov_b64_e32 v[2:3], v[0:1]
	s_and_saveexec_b32 s41, s10
; %bb.20475:                            ;   in Loop: Header=BB6_16763 Depth=2
	v_bfe_u32 v2, v0, 21, 1
	v_mov_b32_e32 v3, v55
	s_delay_alu instid0(VALU_DEP_1) | instskip(NEXT) | instid1(VALU_DEP_1)
	v_add_nc_u64_e32 v[2:3], v[0:1], v[2:3]
	v_add_nc_u64_e32 v[2:3], -1, v[2:3]
; %bb.20476:                            ;   in Loop: Header=BB6_16763 Depth=2
	s_or_b32 exec_lo, exec_lo, s41
	v_add_nc_u32_e32 v1, 0xffffff81, v11
	s_delay_alu instid0(VALU_DEP_2) | instskip(SKIP_2) | instid1(VALU_DEP_3)
	v_and_b32_e32 v2, 0x1fffff, v2
	v_lshrrev_b32_e32 v3, 23, v0
	s_mov_b32 s10, exec_lo
	v_cndmask_b32_e64 v1, v1, 0xffffff82, vcc_lo
	s_delay_alu instid0(VALU_DEP_3) | instskip(NEXT) | instid1(VALU_DEP_2)
	v_add_nc_u32_e32 v54, v2, v0
                                        ; implicit-def: $vgpr2
	v_add3_u32 v11, v14, v1, v3
                                        ; implicit-def: $vgpr0_vgpr1
	s_delay_alu instid0(VALU_DEP_1) | instskip(NEXT) | instid1(VALU_DEP_1)
	v_add_nc_u32_e32 v3, 14, v11
	v_cmpx_ne_u32_e32 0, v3
	s_xor_b32 s10, exec_lo, s10
; %bb.20477:                            ;   in Loop: Header=BB6_16763 Depth=2
	v_cmp_lt_u64_e32 vcc_lo, 0xffffff, v[54:55]
	v_add_nc_u32_e32 v0, 15, v11
	s_delay_alu instid0(VALU_DEP_1) | instskip(SKIP_1) | instid1(VALU_DEP_1)
	v_cndmask_b32_e32 v2, v3, v0, vcc_lo
	v_cndmask_b32_e64 v0, 0, 1, vcc_lo
	v_lshrrev_b64 v[0:1], v0, v[54:55]
; %bb.20478:                            ;   in Loop: Header=BB6_16763 Depth=2
	s_and_not1_saveexec_b32 s10, s10
; %bb.20479:                            ;   in Loop: Header=BB6_16763 Depth=2
	v_mov_b64_e32 v[0:1], v[54:55]
	v_bfe_u32 v2, v54, 23, 1
; %bb.20480:                            ;   in Loop: Header=BB6_16763 Depth=2
	s_or_b32 exec_lo, exec_lo, s10
	s_delay_alu instid0(VALU_DEP_2) | instskip(NEXT) | instid1(VALU_DEP_2)
	v_lshrrev_b64 v[0:1], 21, v[0:1]
	v_cmp_gt_i32_e32 vcc_lo, 32, v2
	v_min_i32_e32 v3, 31, v2
	v_cmp_eq_u32_e64 s10, 0, v2
	s_delay_alu instid0(VALU_DEP_2) | instskip(SKIP_1) | instid1(VALU_DEP_2)
	v_dual_cndmask_b32 v1, 0, v1, vcc_lo :: v_dual_lshlrev_b32 v3, 2, v3
	v_cndmask_b32_e32 v0, 3, v0, vcc_lo
	v_and_b32_e32 v3, 0xfc, v3
	s_delay_alu instid0(VALU_DEP_2) | instskip(NEXT) | instid1(VALU_DEP_2)
	v_cmp_eq_u64_e32 vcc_lo, 0, v[0:1]
	v_and_or_b32 v0, v0, 3, v3
	s_and_b32 s10, s10, vcc_lo
	s_delay_alu instid0(VALU_DEP_1) | instid1(SALU_CYCLE_1)
	v_cndmask_b32_e64 v0, v0, 0, s10
	s_delay_alu instid0(VALU_DEP_1)
	v_or_b32_e32 v114, v0, v10
.LBB6_20481:                            ;   in Loop: Header=BB6_16763 Depth=2
	s_or_b32 exec_lo, exec_lo, s40
                                        ; implicit-def: $vgpr10
.LBB6_20482:                            ;   in Loop: Header=BB6_16763 Depth=2
	s_and_not1_saveexec_b32 s10, s29
; %bb.20483:                            ;   in Loop: Header=BB6_16763 Depth=2
	v_or_b32_e32 v114, 0x7b, v10
; %bb.20484:                            ;   in Loop: Header=BB6_16763 Depth=2
	s_or_b32 exec_lo, exec_lo, s10
                                        ; implicit-def: $vgpr0
                                        ; implicit-def: $vgpr1
.LBB6_20485:                            ;   in Loop: Header=BB6_16763 Depth=2
	s_and_not1_saveexec_b32 s10, s28
	s_cbranch_execz .LBB6_20491
; %bb.20486:                            ;   in Loop: Header=BB6_16763 Depth=2
	s_mov_b32 s28, exec_lo
                                        ; implicit-def: $vgpr114
	v_cmpx_ne_u64_e32 0, v[54:55]
	s_xor_b32 s28, exec_lo, s28
; %bb.20487:                            ;   in Loop: Header=BB6_16763 Depth=2
	v_or_b32_e32 v114, 0x7f, v1
                                        ; implicit-def: $vgpr0
; %bb.20488:                            ;   in Loop: Header=BB6_16763 Depth=2
	s_and_not1_saveexec_b32 s28, s28
; %bb.20489:                            ;   in Loop: Header=BB6_16763 Depth=2
	v_cmp_lt_i32_e32 vcc_lo, -1, v0
	v_cndmask_b32_e32 v114, 0xfc, v30, vcc_lo
; %bb.20490:                            ;   in Loop: Header=BB6_16763 Depth=2
	s_or_b32 exec_lo, exec_lo, s28
.LBB6_20491:                            ;   in Loop: Header=BB6_16763 Depth=2
	s_delay_alu instid0(SALU_CYCLE_1) | instskip(SKIP_3) | instid1(VALU_DEP_2)
	s_or_b32 exec_lo, exec_lo, s10
	v_and_b32_e32 v1, 0xff, v13
	v_dual_mov_b32 v54, v13 :: v_dual_mov_b32 v0, 0
	s_mov_b32 s28, exec_lo
	v_cmpx_ne_u16_e32 0, v1
	s_cbranch_execz .LBB6_20501
; %bb.20492:                            ;   in Loop: Header=BB6_16763 Depth=2
	v_bfrev_b32_e32 v0, 1
	s_mov_b32 s29, exec_lo
	v_cmpx_ne_u16_e32 0x80, v1
	s_cbranch_execz .LBB6_20500
; %bb.20493:                            ;   in Loop: Header=BB6_16763 Depth=2
	v_and_b32_e32 v0, 0x7c, v13
	v_and_b32_e32 v1, 3, v13
	s_delay_alu instid0(VALU_DEP_2) | instskip(SKIP_1) | instid1(SALU_CYCLE_1)
	v_cmp_ne_u32_e32 vcc_lo, 0x7c, v0
                                        ; implicit-def: $vgpr0
	s_and_saveexec_b32 s10, vcc_lo
	s_xor_b32 s10, exec_lo, s10
	s_cbranch_execz .LBB6_20497
; %bb.20494:                            ;   in Loop: Header=BB6_16763 Depth=2
	v_bfe_u32 v0, v13, 2, 5
	s_mov_b32 s40, exec_lo
	s_delay_alu instid0(VALU_DEP_1)
	v_cmpx_eq_u32_e32 0, v0
; %bb.20495:                            ;   in Loop: Header=BB6_16763 Depth=2
	v_clz_i32_u32_e32 v0, v1
	s_delay_alu instid0(VALU_DEP_1) | instskip(NEXT) | instid1(VALU_DEP_1)
	v_min_u32_e32 v0, 32, v0
	v_subrev_nc_u32_e32 v1, 29, v0
	s_delay_alu instid0(VALU_DEP_1) | instskip(NEXT) | instid1(VALU_DEP_1)
	v_lshlrev_b64_e32 v[2:3], v1, v[54:55]
	v_dual_sub_nc_u32 v0, 30, v0 :: v_dual_bitop2_b32 v1, 3, v2 bitop3:0x40
; %bb.20496:                            ;   in Loop: Header=BB6_16763 Depth=2
	s_or_b32 exec_lo, exec_lo, s40
	v_lshlrev_b32_e32 v2, 24, v13
	s_delay_alu instid0(VALU_DEP_1) | instskip(NEXT) | instid1(VALU_DEP_1)
	v_and_b32_e32 v2, 0x80000000, v2
	v_lshl_add_u32 v0, v0, 23, v2
	s_delay_alu instid0(VALU_DEP_1) | instskip(NEXT) | instid1(VALU_DEP_1)
	v_lshl_or_b32 v0, v1, 21, v0
                                        ; implicit-def: $vgpr1
	v_add_nc_u32_e32 v0, 0x38000000, v0
.LBB6_20497:                            ;   in Loop: Header=BB6_16763 Depth=2
	s_and_not1_saveexec_b32 s40, s10
; %bb.20498:                            ;   in Loop: Header=BB6_16763 Depth=2
	v_bfe_i32 v0, v13, 0, 8
	v_cmp_eq_u32_e32 vcc_lo, 0, v1
	s_delay_alu instid0(VALU_DEP_2) | instskip(NEXT) | instid1(VALU_DEP_1)
	v_cmp_lt_i16_e64 s10, -1, v0
	v_cndmask_b32_e64 v0, 0xff800000, v29, s10
	s_delay_alu instid0(VALU_DEP_1)
	v_cndmask_b32_e32 v0, 0x7f800001, v0, vcc_lo
; %bb.20499:                            ;   in Loop: Header=BB6_16763 Depth=2
	s_or_b32 exec_lo, exec_lo, s40
.LBB6_20500:                            ;   in Loop: Header=BB6_16763 Depth=2
	s_delay_alu instid0(SALU_CYCLE_1)
	s_or_b32 exec_lo, exec_lo, s29
.LBB6_20501:                            ;   in Loop: Header=BB6_16763 Depth=2
	s_delay_alu instid0(SALU_CYCLE_1) | instskip(NEXT) | instid1(VALU_DEP_1)
	s_or_b32 exec_lo, exec_lo, s28
	v_dual_mul_f32 v2, s27, v0 :: v_dual_mov_b32 v11, v55
	v_mov_b32_e32 v1, v55
                                        ; implicit-def: $vgpr115
	s_mov_b32 s10, exec_lo
	s_delay_alu instid0(VALU_DEP_2) | instskip(SKIP_2) | instid1(VALU_DEP_3)
	v_and_b32_e32 v10, 0x7f800000, v2
	v_and_b32_e32 v0, 0x7fffff, v2
	v_lshrrev_b32_e32 v3, 24, v2
	v_cmpx_ne_u64_e32 0x7f800000, v[10:11]
	s_xor_b32 s28, exec_lo, s10
	s_cbranch_execz .LBB6_20515
; %bb.20502:                            ;   in Loop: Header=BB6_16763 Depth=2
	v_and_b32_e32 v10, 0x7fffffff, v2
	v_mov_b32_e32 v11, v55
                                        ; implicit-def: $vgpr115
	s_delay_alu instid0(VALU_DEP_1) | instskip(SKIP_2) | instid1(SALU_CYCLE_1)
	v_cmp_gt_u64_e32 vcc_lo, 0x47600001, v[10:11]
	v_and_b32_e32 v10, 0x80, v3
	s_and_saveexec_b32 s10, vcc_lo
	s_xor_b32 s29, exec_lo, s10
	s_cbranch_execz .LBB6_20512
; %bb.20503:                            ;   in Loop: Header=BB6_16763 Depth=2
	v_mov_b32_e32 v115, 0
	s_mov_b32 s40, exec_lo
	v_cmpx_ne_u32_e32 0, v2
	s_cbranch_execz .LBB6_20511
; %bb.20504:                            ;   in Loop: Header=BB6_16763 Depth=2
	v_bfe_u32 v11, v2, 23, 8
	v_or_b32_e32 v3, 0x800000, v0
	s_delay_alu instid0(VALU_DEP_2) | instskip(SKIP_2) | instid1(VALU_DEP_2)
	v_cmp_gt_u32_e64 s10, 0x72, v11
	v_sub_nc_u32_e32 v2, 0x71, v11
	v_cmp_eq_u32_e32 vcc_lo, 0, v11
	v_dual_cndmask_b32 v2, 0, v2, s10 :: v_dual_cndmask_b32 v0, v3, v0, vcc_lo
	s_delay_alu instid0(VALU_DEP_1) | instskip(NEXT) | instid1(VALU_DEP_1)
	v_cndmask_b32_e64 v14, v2, 0x70, vcc_lo
	v_dual_add_nc_u32 v2, 21, v14 :: v_dual_add_nc_u32 v15, 20, v14
	s_delay_alu instid0(VALU_DEP_1) | instskip(NEXT) | instid1(VALU_DEP_2)
	v_lshlrev_b64_e64 v[2:3], v2, -1
	v_lshlrev_b64_e64 v[116:117], v15, 1
	s_delay_alu instid0(VALU_DEP_2) | instskip(SKIP_1) | instid1(VALU_DEP_4)
	v_bfi_b32 v2, v2, 0, v0
	v_lshrrev_b64 v[0:1], v14, v[0:1]
	v_bfi_b32 v3, v3, 0, 0
	s_delay_alu instid0(VALU_DEP_1) | instskip(NEXT) | instid1(VALU_DEP_3)
	v_cmp_eq_u64_e64 s10, v[2:3], v[116:117]
	v_mov_b64_e32 v[2:3], v[0:1]
	s_and_saveexec_b32 s41, s10
; %bb.20505:                            ;   in Loop: Header=BB6_16763 Depth=2
	v_bfe_u32 v2, v0, 21, 1
	v_mov_b32_e32 v3, v55
	s_delay_alu instid0(VALU_DEP_1) | instskip(NEXT) | instid1(VALU_DEP_1)
	v_add_nc_u64_e32 v[2:3], v[0:1], v[2:3]
	v_add_nc_u64_e32 v[2:3], -1, v[2:3]
; %bb.20506:                            ;   in Loop: Header=BB6_16763 Depth=2
	s_or_b32 exec_lo, exec_lo, s41
	v_add_nc_u32_e32 v1, 0xffffff81, v11
	v_lshrrev_b32_e32 v3, 23, v0
	s_mov_b32 s10, exec_lo
	s_delay_alu instid0(VALU_DEP_2) | instskip(NEXT) | instid1(VALU_DEP_1)
	v_cndmask_b32_e64 v1, v1, 0xffffff82, vcc_lo
	v_add3_u32 v11, v14, v1, v3
	v_and_b32_e32 v1, 0x1fffff, v2
                                        ; implicit-def: $vgpr2
	s_delay_alu instid0(VALU_DEP_1) | instskip(SKIP_1) | instid1(VALU_DEP_2)
	v_dual_add_nc_u32 v3, 14, v11 :: v_dual_add_nc_u32 v0, v1, v0
	v_mov_b32_e32 v1, v55
	v_cmpx_ne_u32_e32 0, v3
	s_xor_b32 s10, exec_lo, s10
; %bb.20507:                            ;   in Loop: Header=BB6_16763 Depth=2
	s_delay_alu instid0(VALU_DEP_2) | instskip(SKIP_1) | instid1(VALU_DEP_1)
	v_cmp_lt_u64_e32 vcc_lo, 0xffffff, v[0:1]
	v_add_nc_u32_e32 v2, 15, v11
	v_cndmask_b32_e32 v2, v3, v2, vcc_lo
	v_cndmask_b32_e64 v3, 0, 1, vcc_lo
	s_delay_alu instid0(VALU_DEP_1)
	v_lshrrev_b64 v[0:1], v3, v[0:1]
; %bb.20508:                            ;   in Loop: Header=BB6_16763 Depth=2
	s_and_not1_saveexec_b32 s10, s10
; %bb.20509:                            ;   in Loop: Header=BB6_16763 Depth=2
	s_delay_alu instid0(VALU_DEP_1)
	v_bfe_u32 v2, v0, 23, 1
; %bb.20510:                            ;   in Loop: Header=BB6_16763 Depth=2
	s_or_b32 exec_lo, exec_lo, s10
	s_delay_alu instid0(VALU_DEP_2) | instskip(NEXT) | instid1(VALU_DEP_2)
	v_lshrrev_b64 v[0:1], 21, v[0:1]
	v_cmp_gt_i32_e32 vcc_lo, 32, v2
	v_min_i32_e32 v3, 31, v2
	v_cmp_eq_u32_e64 s10, 0, v2
	s_delay_alu instid0(VALU_DEP_2) | instskip(SKIP_1) | instid1(VALU_DEP_2)
	v_dual_cndmask_b32 v1, 0, v1, vcc_lo :: v_dual_lshlrev_b32 v3, 2, v3
	v_cndmask_b32_e32 v0, 3, v0, vcc_lo
	v_and_b32_e32 v3, 0xfc, v3
	s_delay_alu instid0(VALU_DEP_2) | instskip(NEXT) | instid1(VALU_DEP_2)
	v_cmp_eq_u64_e32 vcc_lo, 0, v[0:1]
	v_and_or_b32 v0, v0, 3, v3
	s_and_b32 s10, s10, vcc_lo
	s_delay_alu instid0(VALU_DEP_1) | instid1(SALU_CYCLE_1)
	v_cndmask_b32_e64 v0, v0, 0, s10
	s_delay_alu instid0(VALU_DEP_1)
	v_or_b32_e32 v115, v0, v10
.LBB6_20511:                            ;   in Loop: Header=BB6_16763 Depth=2
	s_or_b32 exec_lo, exec_lo, s40
                                        ; implicit-def: $vgpr10
.LBB6_20512:                            ;   in Loop: Header=BB6_16763 Depth=2
	s_and_not1_saveexec_b32 s10, s29
; %bb.20513:                            ;   in Loop: Header=BB6_16763 Depth=2
	v_or_b32_e32 v115, 0x7b, v10
; %bb.20514:                            ;   in Loop: Header=BB6_16763 Depth=2
	s_or_b32 exec_lo, exec_lo, s10
                                        ; implicit-def: $vgpr2
                                        ; implicit-def: $vgpr0_vgpr1
                                        ; implicit-def: $vgpr3
.LBB6_20515:                            ;   in Loop: Header=BB6_16763 Depth=2
	s_and_not1_saveexec_b32 s10, s28
	s_cbranch_execz .LBB6_20521
; %bb.20516:                            ;   in Loop: Header=BB6_16763 Depth=2
	s_mov_b32 s28, exec_lo
                                        ; implicit-def: $vgpr115
	v_cmpx_ne_u64_e32 0, v[0:1]
	s_xor_b32 s28, exec_lo, s28
; %bb.20517:                            ;   in Loop: Header=BB6_16763 Depth=2
	v_or_b32_e32 v115, 0x7f, v3
                                        ; implicit-def: $vgpr2
; %bb.20518:                            ;   in Loop: Header=BB6_16763 Depth=2
	s_and_not1_saveexec_b32 s28, s28
; %bb.20519:                            ;   in Loop: Header=BB6_16763 Depth=2
	v_cmp_lt_i32_e32 vcc_lo, -1, v2
	v_cndmask_b32_e32 v115, 0xfc, v30, vcc_lo
; %bb.20520:                            ;   in Loop: Header=BB6_16763 Depth=2
	s_or_b32 exec_lo, exec_lo, s28
.LBB6_20521:                            ;   in Loop: Header=BB6_16763 Depth=2
	s_delay_alu instid0(SALU_CYCLE_1) | instskip(SKIP_3) | instid1(VALU_DEP_2)
	s_or_b32 exec_lo, exec_lo, s10
	v_lshrrev_b16 v0, 8, v54
	v_mov_b32_e32 v1, 0
	s_mov_b32 s28, exec_lo
	v_cmpx_ne_u16_e32 0, v0
	s_cbranch_execz .LBB6_20531
; %bb.20522:                            ;   in Loop: Header=BB6_16763 Depth=2
	v_bfrev_b32_e32 v1, 1
	s_mov_b32 s29, exec_lo
	v_cmpx_ne_u16_e32 0x80, v0
	s_cbranch_execz .LBB6_20530
; %bb.20523:                            ;   in Loop: Header=BB6_16763 Depth=2
	v_and_b32_e32 v3, 0xffff, v0
	s_delay_alu instid0(VALU_DEP_1) | instskip(SKIP_1) | instid1(VALU_DEP_2)
	v_and_b32_e32 v1, 0x7c, v3
	v_and_b32_e32 v2, 3, v3
	v_cmp_ne_u32_e32 vcc_lo, 0x7c, v1
                                        ; implicit-def: $vgpr1
	s_and_saveexec_b32 s10, vcc_lo
	s_delay_alu instid0(SALU_CYCLE_1)
	s_xor_b32 s10, exec_lo, s10
	s_cbranch_execz .LBB6_20527
; %bb.20524:                            ;   in Loop: Header=BB6_16763 Depth=2
	v_bfe_u32 v1, v3, 2, 5
	s_mov_b32 s40, exec_lo
	s_delay_alu instid0(VALU_DEP_1)
	v_cmpx_eq_u32_e32 0, v1
; %bb.20525:                            ;   in Loop: Header=BB6_16763 Depth=2
	v_clz_i32_u32_e32 v1, v2
	s_delay_alu instid0(VALU_DEP_1) | instskip(SKIP_1) | instid1(VALU_DEP_2)
	v_min_u32_e32 v2, 32, v1
	v_mov_b32_e32 v1, v55
	v_subrev_nc_u32_e32 v3, 29, v2
	s_delay_alu instid0(VALU_DEP_1) | instskip(NEXT) | instid1(VALU_DEP_1)
	v_lshlrev_b64_e32 v[0:1], v3, v[0:1]
	v_dual_sub_nc_u32 v1, 30, v2 :: v_dual_bitop2_b32 v2, 3, v0 bitop3:0x40
; %bb.20526:                            ;   in Loop: Header=BB6_16763 Depth=2
	s_or_b32 exec_lo, exec_lo, s40
	v_lshlrev_b32_e32 v0, 16, v54
	s_delay_alu instid0(VALU_DEP_1) | instskip(NEXT) | instid1(VALU_DEP_1)
	v_and_b32_e32 v0, 0x80000000, v0
	v_lshl_add_u32 v0, v1, 23, v0
	s_delay_alu instid0(VALU_DEP_1) | instskip(NEXT) | instid1(VALU_DEP_1)
	v_lshl_or_b32 v0, v2, 21, v0
                                        ; implicit-def: $vgpr2
	v_add_nc_u32_e32 v1, 0x38000000, v0
.LBB6_20527:                            ;   in Loop: Header=BB6_16763 Depth=2
	s_and_not1_saveexec_b32 s40, s10
; %bb.20528:                            ;   in Loop: Header=BB6_16763 Depth=2
	v_cmp_lt_i16_e64 s10, -1, v54
	v_cmp_eq_u32_e32 vcc_lo, 0, v2
	s_delay_alu instid0(VALU_DEP_2) | instskip(NEXT) | instid1(VALU_DEP_1)
	v_cndmask_b32_e64 v0, 0xff800000, v29, s10
	v_cndmask_b32_e32 v1, 0x7f800001, v0, vcc_lo
; %bb.20529:                            ;   in Loop: Header=BB6_16763 Depth=2
	s_or_b32 exec_lo, exec_lo, s40
.LBB6_20530:                            ;   in Loop: Header=BB6_16763 Depth=2
	s_delay_alu instid0(SALU_CYCLE_1)
	s_or_b32 exec_lo, exec_lo, s29
.LBB6_20531:                            ;   in Loop: Header=BB6_16763 Depth=2
	s_delay_alu instid0(SALU_CYCLE_1) | instskip(NEXT) | instid1(VALU_DEP_1)
	s_or_b32 exec_lo, exec_lo, s28
	v_dual_mul_f32 v0, s27, v1 :: v_dual_mov_b32 v3, v55
                                        ; implicit-def: $vgpr116
	s_mov_b32 s10, exec_lo
	s_delay_alu instid0(VALU_DEP_1) | instskip(SKIP_2) | instid1(VALU_DEP_3)
	v_and_b32_e32 v2, 0x7f800000, v0
	v_and_b32_e32 v54, 0x7fffff, v0
	v_lshrrev_b32_e32 v1, 24, v0
	v_cmpx_ne_u64_e32 0x7f800000, v[2:3]
	s_xor_b32 s28, exec_lo, s10
	s_cbranch_execz .LBB6_20545
; %bb.20532:                            ;   in Loop: Header=BB6_16763 Depth=2
	v_and_b32_e32 v2, 0x7fffffff, v0
	v_mov_b32_e32 v3, v55
	v_and_b32_e32 v10, 0x80, v1
                                        ; implicit-def: $vgpr116
	s_mov_b32 s10, exec_lo
	s_delay_alu instid0(VALU_DEP_2)
	v_cmpx_gt_u64_e32 0x47600001, v[2:3]
	s_xor_b32 s29, exec_lo, s10
	s_cbranch_execz .LBB6_20542
; %bb.20533:                            ;   in Loop: Header=BB6_16763 Depth=2
	v_mov_b32_e32 v116, 0
	s_mov_b32 s40, exec_lo
	v_cmpx_ne_u32_e32 0, v0
	s_cbranch_execz .LBB6_20541
; %bb.20534:                            ;   in Loop: Header=BB6_16763 Depth=2
	v_bfe_u32 v11, v0, 23, 8
	v_or_b32_e32 v1, 0x800000, v54
	s_delay_alu instid0(VALU_DEP_2) | instskip(SKIP_2) | instid1(VALU_DEP_2)
	v_cmp_gt_u32_e64 s10, 0x72, v11
	v_sub_nc_u32_e32 v0, 0x71, v11
	v_cmp_eq_u32_e32 vcc_lo, 0, v11
	v_cndmask_b32_e64 v0, 0, v0, s10
	s_delay_alu instid0(VALU_DEP_1) | instskip(SKIP_1) | instid1(VALU_DEP_2)
	v_cndmask_b32_e64 v14, v0, 0x70, vcc_lo
	v_dual_cndmask_b32 v0, v1, v54 :: v_dual_mov_b32 v1, v55
	v_dual_add_nc_u32 v2, 21, v14 :: v_dual_add_nc_u32 v15, 20, v14
	s_delay_alu instid0(VALU_DEP_1) | instskip(NEXT) | instid1(VALU_DEP_2)
	v_lshlrev_b64_e64 v[2:3], v2, -1
	v_lshlrev_b64_e64 v[116:117], v15, 1
	s_delay_alu instid0(VALU_DEP_2) | instskip(SKIP_1) | instid1(VALU_DEP_4)
	v_bfi_b32 v2, v2, 0, v0
	v_lshrrev_b64 v[0:1], v14, v[0:1]
	v_bfi_b32 v3, v3, 0, 0
	s_delay_alu instid0(VALU_DEP_1) | instskip(NEXT) | instid1(VALU_DEP_3)
	v_cmp_eq_u64_e64 s10, v[2:3], v[116:117]
	v_mov_b64_e32 v[2:3], v[0:1]
	s_and_saveexec_b32 s41, s10
; %bb.20535:                            ;   in Loop: Header=BB6_16763 Depth=2
	v_bfe_u32 v2, v0, 21, 1
	v_mov_b32_e32 v3, v55
	s_delay_alu instid0(VALU_DEP_1) | instskip(NEXT) | instid1(VALU_DEP_1)
	v_add_nc_u64_e32 v[2:3], v[0:1], v[2:3]
	v_add_nc_u64_e32 v[2:3], -1, v[2:3]
; %bb.20536:                            ;   in Loop: Header=BB6_16763 Depth=2
	s_or_b32 exec_lo, exec_lo, s41
	v_add_nc_u32_e32 v1, 0xffffff81, v11
	s_delay_alu instid0(VALU_DEP_2) | instskip(SKIP_2) | instid1(VALU_DEP_3)
	v_and_b32_e32 v2, 0x1fffff, v2
	v_lshrrev_b32_e32 v3, 23, v0
	s_mov_b32 s10, exec_lo
	v_cndmask_b32_e64 v1, v1, 0xffffff82, vcc_lo
	s_delay_alu instid0(VALU_DEP_3) | instskip(NEXT) | instid1(VALU_DEP_2)
	v_add_nc_u32_e32 v54, v2, v0
                                        ; implicit-def: $vgpr2
	v_add3_u32 v11, v14, v1, v3
                                        ; implicit-def: $vgpr0_vgpr1
	s_delay_alu instid0(VALU_DEP_1) | instskip(NEXT) | instid1(VALU_DEP_1)
	v_add_nc_u32_e32 v3, 14, v11
	v_cmpx_ne_u32_e32 0, v3
	s_xor_b32 s10, exec_lo, s10
; %bb.20537:                            ;   in Loop: Header=BB6_16763 Depth=2
	v_cmp_lt_u64_e32 vcc_lo, 0xffffff, v[54:55]
	v_add_nc_u32_e32 v0, 15, v11
	s_delay_alu instid0(VALU_DEP_1) | instskip(SKIP_1) | instid1(VALU_DEP_1)
	v_cndmask_b32_e32 v2, v3, v0, vcc_lo
	v_cndmask_b32_e64 v0, 0, 1, vcc_lo
	v_lshrrev_b64 v[0:1], v0, v[54:55]
; %bb.20538:                            ;   in Loop: Header=BB6_16763 Depth=2
	s_and_not1_saveexec_b32 s10, s10
; %bb.20539:                            ;   in Loop: Header=BB6_16763 Depth=2
	v_mov_b64_e32 v[0:1], v[54:55]
	v_bfe_u32 v2, v54, 23, 1
; %bb.20540:                            ;   in Loop: Header=BB6_16763 Depth=2
	s_or_b32 exec_lo, exec_lo, s10
	s_delay_alu instid0(VALU_DEP_2) | instskip(NEXT) | instid1(VALU_DEP_2)
	v_lshrrev_b64 v[0:1], 21, v[0:1]
	v_cmp_gt_i32_e32 vcc_lo, 32, v2
	v_min_i32_e32 v3, 31, v2
	v_cmp_eq_u32_e64 s10, 0, v2
	s_delay_alu instid0(VALU_DEP_2) | instskip(SKIP_1) | instid1(VALU_DEP_2)
	v_dual_cndmask_b32 v1, 0, v1, vcc_lo :: v_dual_lshlrev_b32 v3, 2, v3
	v_cndmask_b32_e32 v0, 3, v0, vcc_lo
	v_and_b32_e32 v3, 0xfc, v3
	s_delay_alu instid0(VALU_DEP_2) | instskip(NEXT) | instid1(VALU_DEP_2)
	v_cmp_eq_u64_e32 vcc_lo, 0, v[0:1]
	v_and_or_b32 v0, v0, 3, v3
	s_and_b32 s10, s10, vcc_lo
	s_delay_alu instid0(VALU_DEP_1) | instid1(SALU_CYCLE_1)
	v_cndmask_b32_e64 v0, v0, 0, s10
	s_delay_alu instid0(VALU_DEP_1)
	v_or_b32_e32 v116, v0, v10
.LBB6_20541:                            ;   in Loop: Header=BB6_16763 Depth=2
	s_or_b32 exec_lo, exec_lo, s40
                                        ; implicit-def: $vgpr10
.LBB6_20542:                            ;   in Loop: Header=BB6_16763 Depth=2
	s_and_not1_saveexec_b32 s10, s29
; %bb.20543:                            ;   in Loop: Header=BB6_16763 Depth=2
	v_or_b32_e32 v116, 0x7b, v10
; %bb.20544:                            ;   in Loop: Header=BB6_16763 Depth=2
	s_or_b32 exec_lo, exec_lo, s10
                                        ; implicit-def: $vgpr0
                                        ; implicit-def: $vgpr1
.LBB6_20545:                            ;   in Loop: Header=BB6_16763 Depth=2
	s_and_not1_saveexec_b32 s10, s28
	s_cbranch_execz .LBB6_20551
; %bb.20546:                            ;   in Loop: Header=BB6_16763 Depth=2
	s_mov_b32 s28, exec_lo
                                        ; implicit-def: $vgpr116
	v_cmpx_ne_u64_e32 0, v[54:55]
	s_xor_b32 s28, exec_lo, s28
; %bb.20547:                            ;   in Loop: Header=BB6_16763 Depth=2
	v_or_b32_e32 v116, 0x7f, v1
                                        ; implicit-def: $vgpr0
; %bb.20548:                            ;   in Loop: Header=BB6_16763 Depth=2
	s_and_not1_saveexec_b32 s28, s28
; %bb.20549:                            ;   in Loop: Header=BB6_16763 Depth=2
	v_cmp_lt_i32_e32 vcc_lo, -1, v0
	v_cndmask_b32_e32 v116, 0xfc, v30, vcc_lo
; %bb.20550:                            ;   in Loop: Header=BB6_16763 Depth=2
	s_or_b32 exec_lo, exec_lo, s28
.LBB6_20551:                            ;   in Loop: Header=BB6_16763 Depth=2
	s_delay_alu instid0(SALU_CYCLE_1) | instskip(SKIP_2) | instid1(VALU_DEP_1)
	s_or_b32 exec_lo, exec_lo, s10
	v_dual_mov_b32 v1, 0 :: v_dual_lshrrev_b32 v0, 16, v13
	s_mov_b32 s28, exec_lo
	v_and_b32_e32 v2, 0xff, v0
	s_delay_alu instid0(VALU_DEP_1)
	v_cmpx_ne_u16_e32 0, v2
	s_cbranch_execz .LBB6_20561
; %bb.20552:                            ;   in Loop: Header=BB6_16763 Depth=2
	v_bfrev_b32_e32 v1, 1
	s_mov_b32 s29, exec_lo
	v_cmpx_ne_u16_e32 0x80, v2
	s_cbranch_execz .LBB6_20560
; %bb.20553:                            ;   in Loop: Header=BB6_16763 Depth=2
	v_and_b32_e32 v1, 0x7c0000, v13
	v_bfe_u32 v2, v13, 16, 2
	s_delay_alu instid0(VALU_DEP_2) | instskip(SKIP_1) | instid1(SALU_CYCLE_1)
	v_cmp_ne_u32_e32 vcc_lo, 0x7c0000, v1
                                        ; implicit-def: $vgpr1
	s_and_saveexec_b32 s10, vcc_lo
	s_xor_b32 s10, exec_lo, s10
	s_cbranch_execz .LBB6_20557
; %bb.20554:                            ;   in Loop: Header=BB6_16763 Depth=2
	v_bfe_u32 v1, v13, 18, 5
	s_mov_b32 s40, exec_lo
	s_delay_alu instid0(VALU_DEP_1)
	v_cmpx_eq_u32_e32 0, v1
; %bb.20555:                            ;   in Loop: Header=BB6_16763 Depth=2
	v_clz_i32_u32_e32 v1, v2
	s_delay_alu instid0(VALU_DEP_1) | instskip(NEXT) | instid1(VALU_DEP_1)
	v_min_u32_e32 v1, 32, v1
	v_subrev_nc_u32_e32 v2, 29, v1
	s_delay_alu instid0(VALU_DEP_1) | instskip(NEXT) | instid1(VALU_DEP_1)
	v_lshlrev_b64_e32 v[2:3], v2, v[0:1]
	v_dual_sub_nc_u32 v1, 30, v1 :: v_dual_bitop2_b32 v2, 3, v2 bitop3:0x40
; %bb.20556:                            ;   in Loop: Header=BB6_16763 Depth=2
	s_or_b32 exec_lo, exec_lo, s40
	v_lshlrev_b32_e32 v0, 24, v0
	s_delay_alu instid0(VALU_DEP_1) | instskip(NEXT) | instid1(VALU_DEP_1)
	v_and_b32_e32 v0, 0x80000000, v0
	v_lshl_add_u32 v0, v1, 23, v0
	s_delay_alu instid0(VALU_DEP_1) | instskip(NEXT) | instid1(VALU_DEP_1)
	v_lshl_or_b32 v0, v2, 21, v0
                                        ; implicit-def: $vgpr2
	v_add_nc_u32_e32 v1, 0x38000000, v0
                                        ; implicit-def: $vgpr0
.LBB6_20557:                            ;   in Loop: Header=BB6_16763 Depth=2
	s_and_not1_saveexec_b32 s40, s10
; %bb.20558:                            ;   in Loop: Header=BB6_16763 Depth=2
	v_bfe_i32 v0, v0, 0, 8
	v_cmp_eq_u32_e32 vcc_lo, 0, v2
	s_delay_alu instid0(VALU_DEP_2) | instskip(NEXT) | instid1(VALU_DEP_1)
	v_cmp_lt_i16_e64 s10, -1, v0
	v_cndmask_b32_e64 v0, 0xff800000, v29, s10
	s_delay_alu instid0(VALU_DEP_1)
	v_cndmask_b32_e32 v1, 0x7f800001, v0, vcc_lo
; %bb.20559:                            ;   in Loop: Header=BB6_16763 Depth=2
	s_or_b32 exec_lo, exec_lo, s40
.LBB6_20560:                            ;   in Loop: Header=BB6_16763 Depth=2
	s_delay_alu instid0(SALU_CYCLE_1)
	s_or_b32 exec_lo, exec_lo, s29
.LBB6_20561:                            ;   in Loop: Header=BB6_16763 Depth=2
	s_delay_alu instid0(SALU_CYCLE_1) | instskip(NEXT) | instid1(VALU_DEP_1)
	s_or_b32 exec_lo, exec_lo, s28
	v_dual_mul_f32 v0, s27, v1 :: v_dual_mov_b32 v3, v55
                                        ; implicit-def: $vgpr117
	s_mov_b32 s10, exec_lo
	s_delay_alu instid0(VALU_DEP_1) | instskip(SKIP_2) | instid1(VALU_DEP_3)
	v_and_b32_e32 v2, 0x7f800000, v0
	v_and_b32_e32 v54, 0x7fffff, v0
	v_lshrrev_b32_e32 v1, 24, v0
	v_cmpx_ne_u64_e32 0x7f800000, v[2:3]
	s_xor_b32 s28, exec_lo, s10
	s_cbranch_execz .LBB6_20575
; %bb.20562:                            ;   in Loop: Header=BB6_16763 Depth=2
	v_and_b32_e32 v2, 0x7fffffff, v0
	v_mov_b32_e32 v3, v55
	v_and_b32_e32 v10, 0x80, v1
                                        ; implicit-def: $vgpr117
	s_mov_b32 s10, exec_lo
	s_delay_alu instid0(VALU_DEP_2)
	v_cmpx_gt_u64_e32 0x47600001, v[2:3]
	s_xor_b32 s29, exec_lo, s10
	s_cbranch_execz .LBB6_20572
; %bb.20563:                            ;   in Loop: Header=BB6_16763 Depth=2
	v_mov_b32_e32 v117, 0
	s_mov_b32 s40, exec_lo
	v_cmpx_ne_u32_e32 0, v0
	s_cbranch_execz .LBB6_20571
; %bb.20564:                            ;   in Loop: Header=BB6_16763 Depth=2
	v_bfe_u32 v11, v0, 23, 8
	v_or_b32_e32 v1, 0x800000, v54
	s_delay_alu instid0(VALU_DEP_2) | instskip(SKIP_2) | instid1(VALU_DEP_2)
	v_cmp_gt_u32_e64 s10, 0x72, v11
	v_sub_nc_u32_e32 v0, 0x71, v11
	v_cmp_eq_u32_e32 vcc_lo, 0, v11
	v_cndmask_b32_e64 v0, 0, v0, s10
	s_delay_alu instid0(VALU_DEP_1) | instskip(SKIP_1) | instid1(VALU_DEP_2)
	v_cndmask_b32_e64 v14, v0, 0x70, vcc_lo
	v_dual_cndmask_b32 v0, v1, v54 :: v_dual_mov_b32 v1, v55
	v_dual_add_nc_u32 v2, 21, v14 :: v_dual_add_nc_u32 v15, 20, v14
	s_delay_alu instid0(VALU_DEP_1) | instskip(NEXT) | instid1(VALU_DEP_2)
	v_lshlrev_b64_e64 v[2:3], v2, -1
	v_lshlrev_b64_e64 v[118:119], v15, 1
	s_delay_alu instid0(VALU_DEP_2) | instskip(SKIP_1) | instid1(VALU_DEP_4)
	v_bfi_b32 v2, v2, 0, v0
	v_lshrrev_b64 v[0:1], v14, v[0:1]
	v_bfi_b32 v3, v3, 0, 0
	s_delay_alu instid0(VALU_DEP_1) | instskip(NEXT) | instid1(VALU_DEP_3)
	v_cmp_eq_u64_e64 s10, v[2:3], v[118:119]
	v_mov_b64_e32 v[2:3], v[0:1]
	s_and_saveexec_b32 s41, s10
; %bb.20565:                            ;   in Loop: Header=BB6_16763 Depth=2
	v_bfe_u32 v2, v0, 21, 1
	v_mov_b32_e32 v3, v55
	s_delay_alu instid0(VALU_DEP_1) | instskip(NEXT) | instid1(VALU_DEP_1)
	v_add_nc_u64_e32 v[2:3], v[0:1], v[2:3]
	v_add_nc_u64_e32 v[2:3], -1, v[2:3]
; %bb.20566:                            ;   in Loop: Header=BB6_16763 Depth=2
	s_or_b32 exec_lo, exec_lo, s41
	v_add_nc_u32_e32 v1, 0xffffff81, v11
	s_delay_alu instid0(VALU_DEP_2) | instskip(SKIP_2) | instid1(VALU_DEP_3)
	v_and_b32_e32 v2, 0x1fffff, v2
	v_lshrrev_b32_e32 v3, 23, v0
	s_mov_b32 s10, exec_lo
	v_cndmask_b32_e64 v1, v1, 0xffffff82, vcc_lo
	s_delay_alu instid0(VALU_DEP_3) | instskip(NEXT) | instid1(VALU_DEP_2)
	v_add_nc_u32_e32 v54, v2, v0
                                        ; implicit-def: $vgpr2
	v_add3_u32 v11, v14, v1, v3
                                        ; implicit-def: $vgpr0_vgpr1
	s_delay_alu instid0(VALU_DEP_1) | instskip(NEXT) | instid1(VALU_DEP_1)
	v_add_nc_u32_e32 v3, 14, v11
	v_cmpx_ne_u32_e32 0, v3
	s_xor_b32 s10, exec_lo, s10
; %bb.20567:                            ;   in Loop: Header=BB6_16763 Depth=2
	v_cmp_lt_u64_e32 vcc_lo, 0xffffff, v[54:55]
	v_add_nc_u32_e32 v0, 15, v11
	s_delay_alu instid0(VALU_DEP_1) | instskip(SKIP_1) | instid1(VALU_DEP_1)
	v_cndmask_b32_e32 v2, v3, v0, vcc_lo
	v_cndmask_b32_e64 v0, 0, 1, vcc_lo
	v_lshrrev_b64 v[0:1], v0, v[54:55]
; %bb.20568:                            ;   in Loop: Header=BB6_16763 Depth=2
	s_and_not1_saveexec_b32 s10, s10
; %bb.20569:                            ;   in Loop: Header=BB6_16763 Depth=2
	v_mov_b64_e32 v[0:1], v[54:55]
	v_bfe_u32 v2, v54, 23, 1
; %bb.20570:                            ;   in Loop: Header=BB6_16763 Depth=2
	s_or_b32 exec_lo, exec_lo, s10
	s_delay_alu instid0(VALU_DEP_2) | instskip(NEXT) | instid1(VALU_DEP_2)
	v_lshrrev_b64 v[0:1], 21, v[0:1]
	v_cmp_gt_i32_e32 vcc_lo, 32, v2
	v_min_i32_e32 v3, 31, v2
	v_cmp_eq_u32_e64 s10, 0, v2
	s_delay_alu instid0(VALU_DEP_2) | instskip(SKIP_1) | instid1(VALU_DEP_2)
	v_dual_cndmask_b32 v1, 0, v1, vcc_lo :: v_dual_lshlrev_b32 v3, 2, v3
	v_cndmask_b32_e32 v0, 3, v0, vcc_lo
	v_and_b32_e32 v3, 0xfc, v3
	s_delay_alu instid0(VALU_DEP_2) | instskip(NEXT) | instid1(VALU_DEP_2)
	v_cmp_eq_u64_e32 vcc_lo, 0, v[0:1]
	v_and_or_b32 v0, v0, 3, v3
	s_and_b32 s10, s10, vcc_lo
	s_delay_alu instid0(VALU_DEP_1) | instid1(SALU_CYCLE_1)
	v_cndmask_b32_e64 v0, v0, 0, s10
	s_delay_alu instid0(VALU_DEP_1)
	v_or_b32_e32 v117, v0, v10
.LBB6_20571:                            ;   in Loop: Header=BB6_16763 Depth=2
	s_or_b32 exec_lo, exec_lo, s40
                                        ; implicit-def: $vgpr10
.LBB6_20572:                            ;   in Loop: Header=BB6_16763 Depth=2
	s_and_not1_saveexec_b32 s10, s29
; %bb.20573:                            ;   in Loop: Header=BB6_16763 Depth=2
	v_or_b32_e32 v117, 0x7b, v10
; %bb.20574:                            ;   in Loop: Header=BB6_16763 Depth=2
	s_or_b32 exec_lo, exec_lo, s10
                                        ; implicit-def: $vgpr0
                                        ; implicit-def: $vgpr1
.LBB6_20575:                            ;   in Loop: Header=BB6_16763 Depth=2
	s_and_not1_saveexec_b32 s10, s28
	s_cbranch_execz .LBB6_20581
; %bb.20576:                            ;   in Loop: Header=BB6_16763 Depth=2
	s_mov_b32 s28, exec_lo
                                        ; implicit-def: $vgpr117
	v_cmpx_ne_u64_e32 0, v[54:55]
	s_xor_b32 s28, exec_lo, s28
; %bb.20577:                            ;   in Loop: Header=BB6_16763 Depth=2
	v_or_b32_e32 v117, 0x7f, v1
                                        ; implicit-def: $vgpr0
; %bb.20578:                            ;   in Loop: Header=BB6_16763 Depth=2
	s_and_not1_saveexec_b32 s28, s28
; %bb.20579:                            ;   in Loop: Header=BB6_16763 Depth=2
	v_cmp_lt_i32_e32 vcc_lo, -1, v0
	v_cndmask_b32_e32 v117, 0xfc, v30, vcc_lo
; %bb.20580:                            ;   in Loop: Header=BB6_16763 Depth=2
	s_or_b32 exec_lo, exec_lo, s28
.LBB6_20581:                            ;   in Loop: Header=BB6_16763 Depth=2
	s_delay_alu instid0(SALU_CYCLE_1)
	s_or_b32 exec_lo, exec_lo, s10
	v_mov_b32_e32 v1, 0
	s_mov_b32 s28, exec_lo
	v_cmpx_lt_u64_e64 s[12:13], v[12:13]
	s_cbranch_execz .LBB6_20591
; %bb.20582:                            ;   in Loop: Header=BB6_16763 Depth=2
	v_lshrrev_b32_e32 v0, 24, v13
	v_bfrev_b32_e32 v1, 1
	s_mov_b32 s29, exec_lo
	s_delay_alu instid0(VALU_DEP_2)
	v_cmpx_ne_u32_e32 0x80, v0
	s_cbranch_execz .LBB6_20590
; %bb.20583:                            ;   in Loop: Header=BB6_16763 Depth=2
	v_and_b32_e32 v1, 0x7c000000, v13
	v_bfe_u32 v2, v13, 24, 2
	s_delay_alu instid0(VALU_DEP_2) | instskip(SKIP_1) | instid1(SALU_CYCLE_1)
	v_cmp_ne_u32_e32 vcc_lo, 0x7c000000, v1
                                        ; implicit-def: $vgpr1
	s_and_saveexec_b32 s10, vcc_lo
	s_xor_b32 s10, exec_lo, s10
	s_cbranch_execz .LBB6_20587
; %bb.20584:                            ;   in Loop: Header=BB6_16763 Depth=2
	v_bfe_u32 v1, v13, 26, 5
	s_mov_b32 s40, exec_lo
	s_delay_alu instid0(VALU_DEP_1)
	v_cmpx_eq_u32_e32 0, v1
; %bb.20585:                            ;   in Loop: Header=BB6_16763 Depth=2
	v_clz_i32_u32_e32 v1, v2
	s_delay_alu instid0(VALU_DEP_1) | instskip(NEXT) | instid1(VALU_DEP_1)
	v_min_u32_e32 v2, 32, v1
	v_subrev_nc_u32_e32 v1, 29, v2
	s_delay_alu instid0(VALU_DEP_1) | instskip(NEXT) | instid1(VALU_DEP_1)
	v_lshlrev_b64_e32 v[0:1], v1, v[0:1]
	v_dual_sub_nc_u32 v1, 30, v2 :: v_dual_bitop2_b32 v2, 3, v0 bitop3:0x40
; %bb.20586:                            ;   in Loop: Header=BB6_16763 Depth=2
	s_or_b32 exec_lo, exec_lo, s40
	v_and_b32_e32 v0, 0x80000000, v13
                                        ; implicit-def: $vgpr12_vgpr13
	s_delay_alu instid0(VALU_DEP_1) | instskip(NEXT) | instid1(VALU_DEP_1)
	v_lshl_add_u32 v0, v1, 23, v0
	v_lshl_or_b32 v0, v2, 21, v0
                                        ; implicit-def: $vgpr2
	s_delay_alu instid0(VALU_DEP_1)
	v_add_nc_u32_e32 v1, 0x38000000, v0
.LBB6_20587:                            ;   in Loop: Header=BB6_16763 Depth=2
	s_and_not1_saveexec_b32 s40, s10
; %bb.20588:                            ;   in Loop: Header=BB6_16763 Depth=2
	v_cmp_lt_i64_e64 s10, -1, v[12:13]
	v_cmp_eq_u32_e32 vcc_lo, 0, v2
	s_delay_alu instid0(VALU_DEP_2) | instskip(NEXT) | instid1(VALU_DEP_1)
	v_cndmask_b32_e64 v0, 0xff800000, v29, s10
	v_cndmask_b32_e32 v1, 0x7f800001, v0, vcc_lo
; %bb.20589:                            ;   in Loop: Header=BB6_16763 Depth=2
	s_or_b32 exec_lo, exec_lo, s40
.LBB6_20590:                            ;   in Loop: Header=BB6_16763 Depth=2
	s_delay_alu instid0(SALU_CYCLE_1)
	s_or_b32 exec_lo, exec_lo, s29
.LBB6_20591:                            ;   in Loop: Header=BB6_16763 Depth=2
	s_delay_alu instid0(SALU_CYCLE_1) | instskip(NEXT) | instid1(VALU_DEP_1)
	s_or_b32 exec_lo, exec_lo, s28
	v_dual_mul_f32 v1, s27, v1 :: v_dual_mov_b32 v3, v55
                                        ; implicit-def: $vgpr0
	s_delay_alu instid0(VALU_DEP_1) | instskip(SKIP_1) | instid1(VALU_DEP_2)
	v_and_b32_e32 v2, 0x7f800000, v1
	v_and_b32_e32 v54, 0x7fffff, v1
	v_cmp_ne_u64_e32 vcc_lo, 0x7f800000, v[2:3]
	v_lshrrev_b32_e32 v2, 24, v1
	s_and_saveexec_b32 s10, vcc_lo
	s_delay_alu instid0(SALU_CYCLE_1)
	s_xor_b32 s27, exec_lo, s10
	s_cbranch_execz .LBB6_20605
; %bb.20592:                            ;   in Loop: Header=BB6_16763 Depth=2
	v_and_b32_e32 v10, 0x7fffffff, v1
	v_mov_b32_e32 v11, v55
                                        ; implicit-def: $vgpr0
	s_delay_alu instid0(VALU_DEP_1) | instskip(SKIP_2) | instid1(SALU_CYCLE_1)
	v_cmp_gt_u64_e32 vcc_lo, 0x47600001, v[10:11]
	v_and_b32_e32 v10, 0x80, v2
	s_and_saveexec_b32 s10, vcc_lo
	s_xor_b32 s28, exec_lo, s10
	s_cbranch_execz .LBB6_20602
; %bb.20593:                            ;   in Loop: Header=BB6_16763 Depth=2
	v_mov_b32_e32 v0, 0
	s_mov_b32 s29, exec_lo
	v_cmpx_ne_u32_e32 0, v1
	s_cbranch_execz .LBB6_20601
; %bb.20594:                            ;   in Loop: Header=BB6_16763 Depth=2
	v_bfe_u32 v11, v1, 23, 8
	v_or_b32_e32 v1, 0x800000, v54
	s_delay_alu instid0(VALU_DEP_2) | instskip(SKIP_2) | instid1(VALU_DEP_2)
	v_cmp_gt_u32_e64 s10, 0x72, v11
	v_sub_nc_u32_e32 v0, 0x71, v11
	v_cmp_eq_u32_e32 vcc_lo, 0, v11
	v_cndmask_b32_e64 v0, 0, v0, s10
	s_delay_alu instid0(VALU_DEP_1) | instskip(SKIP_1) | instid1(VALU_DEP_2)
	v_cndmask_b32_e64 v12, v0, 0x70, vcc_lo
	v_dual_cndmask_b32 v0, v1, v54 :: v_dual_mov_b32 v1, v55
	v_dual_add_nc_u32 v2, 21, v12 :: v_dual_add_nc_u32 v13, 20, v12
	s_delay_alu instid0(VALU_DEP_1) | instskip(NEXT) | instid1(VALU_DEP_2)
	v_lshlrev_b64_e64 v[2:3], v2, -1
	v_lshlrev_b64_e64 v[14:15], v13, 1
	s_delay_alu instid0(VALU_DEP_2) | instskip(SKIP_1) | instid1(VALU_DEP_4)
	v_bfi_b32 v2, v2, 0, v0
	v_lshrrev_b64 v[0:1], v12, v[0:1]
	v_bfi_b32 v3, v3, 0, 0
	s_delay_alu instid0(VALU_DEP_1) | instskip(NEXT) | instid1(VALU_DEP_3)
	v_cmp_eq_u64_e64 s10, v[2:3], v[14:15]
	v_mov_b64_e32 v[2:3], v[0:1]
	s_and_saveexec_b32 s40, s10
; %bb.20595:                            ;   in Loop: Header=BB6_16763 Depth=2
	v_bfe_u32 v2, v0, 21, 1
	v_mov_b32_e32 v3, v55
	s_delay_alu instid0(VALU_DEP_1) | instskip(NEXT) | instid1(VALU_DEP_1)
	v_add_nc_u64_e32 v[2:3], v[0:1], v[2:3]
	v_add_nc_u64_e32 v[2:3], -1, v[2:3]
; %bb.20596:                            ;   in Loop: Header=BB6_16763 Depth=2
	s_or_b32 exec_lo, exec_lo, s40
	v_add_nc_u32_e32 v1, 0xffffff81, v11
	s_delay_alu instid0(VALU_DEP_2) | instskip(SKIP_2) | instid1(VALU_DEP_3)
	v_and_b32_e32 v2, 0x1fffff, v2
	v_lshrrev_b32_e32 v3, 23, v0
	s_mov_b32 s10, exec_lo
	v_cndmask_b32_e64 v1, v1, 0xffffff82, vcc_lo
	s_delay_alu instid0(VALU_DEP_3) | instskip(NEXT) | instid1(VALU_DEP_2)
	v_add_nc_u32_e32 v54, v2, v0
                                        ; implicit-def: $vgpr2
	v_add3_u32 v11, v12, v1, v3
                                        ; implicit-def: $vgpr0_vgpr1
	s_delay_alu instid0(VALU_DEP_1) | instskip(NEXT) | instid1(VALU_DEP_1)
	v_add_nc_u32_e32 v3, 14, v11
	v_cmpx_ne_u32_e32 0, v3
	s_xor_b32 s10, exec_lo, s10
; %bb.20597:                            ;   in Loop: Header=BB6_16763 Depth=2
	v_cmp_lt_u64_e32 vcc_lo, 0xffffff, v[54:55]
	v_add_nc_u32_e32 v0, 15, v11
	s_delay_alu instid0(VALU_DEP_1) | instskip(SKIP_1) | instid1(VALU_DEP_1)
	v_cndmask_b32_e32 v2, v3, v0, vcc_lo
	v_cndmask_b32_e64 v0, 0, 1, vcc_lo
	v_lshrrev_b64 v[0:1], v0, v[54:55]
; %bb.20598:                            ;   in Loop: Header=BB6_16763 Depth=2
	s_and_not1_saveexec_b32 s10, s10
; %bb.20599:                            ;   in Loop: Header=BB6_16763 Depth=2
	v_mov_b64_e32 v[0:1], v[54:55]
	v_bfe_u32 v2, v54, 23, 1
; %bb.20600:                            ;   in Loop: Header=BB6_16763 Depth=2
	s_or_b32 exec_lo, exec_lo, s10
	s_delay_alu instid0(VALU_DEP_2) | instskip(NEXT) | instid1(VALU_DEP_2)
	v_lshrrev_b64 v[0:1], 21, v[0:1]
	v_cmp_gt_i32_e32 vcc_lo, 32, v2
	v_min_i32_e32 v3, 31, v2
	v_cmp_eq_u32_e64 s10, 0, v2
	s_delay_alu instid0(VALU_DEP_2) | instskip(SKIP_1) | instid1(VALU_DEP_2)
	v_dual_cndmask_b32 v1, 0, v1, vcc_lo :: v_dual_lshlrev_b32 v3, 2, v3
	v_cndmask_b32_e32 v0, 3, v0, vcc_lo
	v_and_b32_e32 v3, 0xfc, v3
	s_delay_alu instid0(VALU_DEP_2) | instskip(NEXT) | instid1(VALU_DEP_2)
	v_cmp_eq_u64_e32 vcc_lo, 0, v[0:1]
	v_and_or_b32 v0, v0, 3, v3
	s_and_b32 s10, s10, vcc_lo
	s_delay_alu instid0(VALU_DEP_1) | instid1(SALU_CYCLE_1)
	v_cndmask_b32_e64 v0, v0, 0, s10
	s_delay_alu instid0(VALU_DEP_1)
	v_or_b32_e32 v0, v0, v10
.LBB6_20601:                            ;   in Loop: Header=BB6_16763 Depth=2
	s_or_b32 exec_lo, exec_lo, s29
                                        ; implicit-def: $vgpr10
.LBB6_20602:                            ;   in Loop: Header=BB6_16763 Depth=2
	s_and_not1_saveexec_b32 s10, s28
; %bb.20603:                            ;   in Loop: Header=BB6_16763 Depth=2
	v_or_b32_e32 v0, 0x7b, v10
; %bb.20604:                            ;   in Loop: Header=BB6_16763 Depth=2
	s_or_b32 exec_lo, exec_lo, s10
                                        ; implicit-def: $vgpr1
                                        ; implicit-def: $vgpr2
.LBB6_20605:                            ;   in Loop: Header=BB6_16763 Depth=2
	s_and_not1_saveexec_b32 s10, s27
	s_cbranch_execz .LBB6_16762
; %bb.20606:                            ;   in Loop: Header=BB6_16763 Depth=2
	s_mov_b32 s27, exec_lo
                                        ; implicit-def: $vgpr0
	v_cmpx_ne_u64_e32 0, v[54:55]
	s_xor_b32 s27, exec_lo, s27
; %bb.20607:                            ;   in Loop: Header=BB6_16763 Depth=2
	v_or_b32_e32 v0, 0x7f, v2
                                        ; implicit-def: $vgpr1
; %bb.20608:                            ;   in Loop: Header=BB6_16763 Depth=2
	s_and_not1_saveexec_b32 s27, s27
	s_cbranch_execz .LBB6_16761
; %bb.20609:                            ;   in Loop: Header=BB6_16763 Depth=2
	v_cmp_lt_i32_e32 vcc_lo, -1, v1
	v_cndmask_b32_e32 v0, 0xfc, v30, vcc_lo
	s_branch .LBB6_16761
.LBB6_20610:                            ;   in Loop: Header=BB6_16686 Depth=1
	s_or_b32 exec_lo, exec_lo, s24
	s_clause 0x5
	scratch_load_b32 v70, off, s33 offset:532
	scratch_load_b64 v[80:81], off, s33 offset:536
	scratch_load_b64 v[82:83], off, s33 offset:544
	;; [unrolled: 1-line block ×5, first 2 shown]
	s_wait_loadcnt 0x1
	scratch_load_b32 v97, off, s33 offset:524 ; 4-byte Folded Reload
	v_mov_b32_e32 v71, 1
.LBB6_20611:                            ;   in Loop: Header=BB6_16686 Depth=1
	s_wait_xcnt 0x0
	s_or_b32 exec_lo, exec_lo, s11
	s_wait_loadcnt 0x0
	v_and_b32_e32 v0, 0x3ffff000, v97
	v_mov_b32_e32 v6, 0
	s_mov_b32 s10, 0
	s_mov_b32 s23, exec_lo
                                        ; implicit-def: $vgpr7
                                        ; implicit-def: $vgpr8
	s_delay_alu instid0(VALU_DEP_2)
	v_cmpx_ne_u32_e64 v97, v0
	s_cbranch_execz .LBB6_21105
; %bb.20612:                            ;   in Loop: Header=BB6_16686 Depth=1
	scratch_load_b32 v2, off, s33 offset:528 ; 4-byte Folded Reload
	v_lshlrev_b32_e32 v1, 5, v4
	v_and_b32_e32 v6, 0x1ff, v97
	v_bfe_u32 v4, v97, 9, 3
	s_mov_b32 s24, exec_lo
	s_delay_alu instid0(VALU_DEP_2) | instskip(NEXT) | instid1(VALU_DEP_1)
	v_cmp_lt_u32_e64 s10, 15, v6
	v_add_co_ci_u32_e64 v4, null, 0, v4, s10
	s_wait_loadcnt 0x0
	v_sub_nc_u32_e32 v1, v2, v1
	s_delay_alu instid0(VALU_DEP_1) | instskip(NEXT) | instid1(VALU_DEP_1)
	v_ashrrev_i32_e32 v2, 31, v1
	v_lshrrev_b32_e32 v2, 27, v2
	s_delay_alu instid0(VALU_DEP_1) | instskip(NEXT) | instid1(VALU_DEP_1)
	v_add_nc_u32_e32 v2, v1, v2
	v_and_b32_e32 v3, 0xffffffe0, v2
	s_delay_alu instid0(VALU_DEP_1) | instskip(SKIP_1) | instid1(VALU_DEP_2)
	v_dual_ashrrev_i32 v2, 5, v2 :: v_dual_sub_nc_u32 v8, v1, v3
	v_and_b32_e32 v3, 0xfff, v97
	v_dual_sub_nc_u32 v9, v4, v2 :: v_dual_lshlrev_b32 v1, 4, v8
	s_delay_alu instid0(VALU_DEP_1) | instskip(NEXT) | instid1(VALU_DEP_1)
	v_lshl_add_u32 v1, v2, 9, v1
	v_sub_nc_u32_e32 v7, v3, v1
	s_wait_xcnt 0x0
	s_delay_alu instid0(VALU_DEP_1)
	v_cmpx_lt_i32_e32 15, v7
	s_cbranch_execz .LBB6_21104
; %bb.20613:                            ;   in Loop: Header=BB6_16686 Depth=1
	s_trap 2
	ds_load_b64 v[2:3], v0
	v_add_nc_u32_e32 v0, v1, v0
	s_delay_alu instid0(VALU_DEP_1)
	v_ashrrev_i32_e32 v1, 31, v0
	s_wait_dscnt 0x0
	v_readfirstlane_b32 s26, v2
	v_readfirstlane_b32 s27, v3
	s_and_b32 s25, s26, 3
	s_bfe_i32 s11, s26, 0x80000
	s_clz_i32_u32 s40, s25
	s_bfe_u32 s28, s26, 0x50002
	s_min_u32 s40, s40, 32
	s_and_b32 s29, s26, 0x7c
	s_sub_co_i32 s43, s40, 29
	s_lshl_b32 s41, s26, 24
	s_sext_i32_i8 s42, s26
	s_lshl_b64 s[26:27], s[26:27], s43
	s_and_b32 s41, s41, 0x80000000
	s_sub_co_i32 s27, 30, s40
	s_and_b32 s26, s26, 3
	s_cmp_gt_i32 s42, -1
	s_cselect_b32 s40, s20, 0xff800000
	s_cmp_eq_u32 s25, 0
	s_cselect_b32 s40, s40, 0x7f800001
	s_cmp_eq_u32 s28, 0
	s_cselect_b32 s27, s27, s28
	s_cselect_b32 s25, s26, s25
	s_lshl_b32 s26, s27, 23
	s_lshl_b32 s25, s25, 21
	s_add_co_i32 s26, s26, s41
	s_delay_alu instid0(SALU_CYCLE_1) | instskip(NEXT) | instid1(SALU_CYCLE_1)
	s_or_b32 s25, s26, s25
	s_add_co_i32 s26, s25, 0x38000000
	s_cmp_eq_u32 s29, 0x7c
	s_mov_b32 s25, 0
	s_cselect_b32 s26, s40, s26
	s_and_b32 s27, s11, 0xff
	s_branch .LBB6_20616
.LBB6_20614:                            ;   in Loop: Header=BB6_20616 Depth=2
	s_or_b32 exec_lo, exec_lo, s28
.LBB6_20615:                            ;   in Loop: Header=BB6_20616 Depth=2
	s_delay_alu instid0(SALU_CYCLE_1)
	s_or_b32 exec_lo, exec_lo, s11
	v_lshl_or_b32 v3, v19, 8, v18
	v_dual_lshlrev_b32 v4, 16, v20 :: v_dual_lshlrev_b32 v5, 24, v10
	v_lshl_or_b32 v10, v15, 8, v14
	v_lshl_or_b32 v11, v21, 8, v11
	v_dual_sub_nc_u32 v7, v7, v80 :: v_dual_lshlrev_b32 v14, 16, v22
	v_lshlrev_b32_e32 v15, 24, v23
	v_or3_b32 v3, v3, v4, v5
	v_dual_lshlrev_b32 v4, 16, v16 :: v_dual_lshlrev_b32 v5, 24, v17
	v_lshlrev_b32_e32 v16, 24, v2
	v_dual_lshlrev_b32 v17, 16, v26 :: v_dual_sub_nc_u32 v9, v9, v40
	v_lshl_or_b32 v18, v25, 8, v24
	v_add_nc_u64_e32 v[12:13], v[100:101], v[0:1]
	v_cmp_gt_i32_e32 vcc_lo, 16, v7
	v_add_nc_u64_e32 v[0:1], v[0:1], v[80:81]
	v_or3_b32 v2, v10, v4, v5
	v_or3_b32 v4, v11, v14, v15
	;; [unrolled: 1-line block ×3, first 2 shown]
	s_or_b32 s25, vcc_lo, s25
	global_store_b128 v[12:13], v[2:5], off th:TH_STORE_NT
	s_wait_xcnt 0x0
	s_and_not1_b32 exec_lo, exec_lo, s25
	s_cbranch_execz .LBB6_21103
.LBB6_20616:                            ;   Parent Loop BB6_16686 Depth=1
                                        ; =>  This Inner Loop Header: Depth=2
	s_cmp_lt_i32 s27, 0x80
	s_cbranch_scc1 .LBB6_20620
; %bb.20617:                            ;   in Loop: Header=BB6_20616 Depth=2
	s_and_b32 s11, 0xffff, s27
	s_delay_alu instid0(SALU_CYCLE_1)
	s_cmp_eq_u32 s11, 0x80
	s_mov_b32 s11, -1
	s_cbranch_scc0 .LBB6_20619
; %bb.20618:                            ;   in Loop: Header=BB6_20616 Depth=2
	s_mov_b32 s11, 0
.LBB6_20619:                            ;   in Loop: Header=BB6_20616 Depth=2
	s_brev_b32 s28, 1
	s_branch .LBB6_20622
.LBB6_20620:                            ;   in Loop: Header=BB6_20616 Depth=2
	s_mov_b32 s11, 0
	s_brev_b32 s28, 1
	s_cbranch_execz .LBB6_20622
; %bb.20621:                            ;   in Loop: Header=BB6_20616 Depth=2
	s_and_b32 s11, 0xffff, s27
	s_mov_b32 s28, 0
	s_cmp_lg_u32 s11, 0
	s_cselect_b32 s11, -1, 0
.LBB6_20622:                            ;   in Loop: Header=BB6_20616 Depth=2
	s_delay_alu instid0(SALU_CYCLE_1)
	s_and_not1_b32 vcc_lo, exec_lo, s11
	s_cbranch_vccnz .LBB6_20624
; %bb.20623:                            ;   in Loop: Header=BB6_20616 Depth=2
	s_mov_b32 s28, s26
.LBB6_20624:                            ;   in Loop: Header=BB6_20616 Depth=2
	v_add_nc_u64_e32 v[2:3], v[98:99], v[0:1]
	global_load_b128 v[10:13], v[2:3], off th:TH_LOAD_NT
	s_wait_loadcnt 0x0
	v_and_b32_e32 v2, 0xff, v10
	s_delay_alu instid0(VALU_DEP_1)
	v_cmp_ne_u16_e32 vcc_lo, 0, v2
	v_mov_b32_e32 v2, 0
	s_and_saveexec_b32 s11, vcc_lo
	s_cbranch_execz .LBB6_20634
; %bb.20625:                            ;   in Loop: Header=BB6_20616 Depth=2
	v_bfe_i32 v4, v10, 0, 8
	v_bfrev_b32_e32 v2, 1
	s_mov_b32 s29, exec_lo
	s_delay_alu instid0(VALU_DEP_2)
	v_cmpx_ne_u16_e32 0xff80, v4
	s_cbranch_execz .LBB6_20633
; %bb.20626:                            ;   in Loop: Header=BB6_20616 Depth=2
	v_and_b32_e32 v2, 0x7c, v10
	v_and_b32_e32 v3, 3, v10
	s_delay_alu instid0(VALU_DEP_2) | instskip(SKIP_1) | instid1(SALU_CYCLE_1)
	v_cmp_ne_u32_e32 vcc_lo, 0x7c, v2
                                        ; implicit-def: $vgpr2
	s_and_saveexec_b32 s40, vcc_lo
	s_xor_b32 s40, exec_lo, s40
	s_cbranch_execz .LBB6_20630
; %bb.20627:                            ;   in Loop: Header=BB6_20616 Depth=2
	v_bfe_u32 v2, v10, 2, 5
	s_mov_b32 s41, exec_lo
	s_delay_alu instid0(VALU_DEP_1)
	v_cmpx_eq_u32_e32 0, v2
; %bb.20628:                            ;   in Loop: Header=BB6_20616 Depth=2
	v_clz_i32_u32_e32 v2, v3
	s_delay_alu instid0(VALU_DEP_1) | instskip(NEXT) | instid1(VALU_DEP_1)
	v_min_u32_e32 v2, 32, v2
	v_subrev_nc_u32_e32 v3, 29, v2
	s_delay_alu instid0(VALU_DEP_1) | instskip(NEXT) | instid1(VALU_DEP_1)
	v_lshlrev_b64_e32 v[4:5], v3, v[10:11]
	v_dual_sub_nc_u32 v2, 30, v2 :: v_dual_bitop2_b32 v3, 3, v4 bitop3:0x40
; %bb.20629:                            ;   in Loop: Header=BB6_20616 Depth=2
	s_or_b32 exec_lo, exec_lo, s41
	v_lshlrev_b32_e32 v4, 24, v10
	s_delay_alu instid0(VALU_DEP_1) | instskip(NEXT) | instid1(VALU_DEP_1)
	v_and_b32_e32 v4, 0x80000000, v4
	v_lshl_add_u32 v2, v2, 23, v4
                                        ; implicit-def: $vgpr4
	s_delay_alu instid0(VALU_DEP_1) | instskip(NEXT) | instid1(VALU_DEP_1)
	v_lshl_or_b32 v2, v3, 21, v2
                                        ; implicit-def: $vgpr3
	v_add_nc_u32_e32 v2, 0x38000000, v2
.LBB6_20630:                            ;   in Loop: Header=BB6_20616 Depth=2
	s_and_not1_saveexec_b32 s40, s40
; %bb.20631:                            ;   in Loop: Header=BB6_20616 Depth=2
	v_cmp_lt_i16_e32 vcc_lo, -1, v4
	v_cndmask_b32_e32 v2, 0xff800000, v29, vcc_lo
	v_cmp_eq_u32_e32 vcc_lo, 0, v3
	s_delay_alu instid0(VALU_DEP_2)
	v_cndmask_b32_e32 v2, 0x7f800001, v2, vcc_lo
; %bb.20632:                            ;   in Loop: Header=BB6_20616 Depth=2
	s_or_b32 exec_lo, exec_lo, s40
.LBB6_20633:                            ;   in Loop: Header=BB6_20616 Depth=2
	s_delay_alu instid0(SALU_CYCLE_1)
	s_or_b32 exec_lo, exec_lo, s29
.LBB6_20634:                            ;   in Loop: Header=BB6_20616 Depth=2
	s_delay_alu instid0(SALU_CYCLE_1) | instskip(NEXT) | instid1(VALU_DEP_1)
	s_or_b32 exec_lo, exec_lo, s11
	v_dual_mul_f32 v2, s28, v2 :: v_dual_mov_b32 v5, v55
                                        ; implicit-def: $vgpr14
	s_mov_b32 s11, exec_lo
	s_delay_alu instid0(VALU_DEP_1) | instskip(SKIP_2) | instid1(VALU_DEP_3)
	v_and_b32_e32 v4, 0x7f800000, v2
	v_and_b32_e32 v54, 0x7fffff, v2
	v_lshrrev_b32_e32 v3, 24, v2
	v_cmpx_ne_u64_e32 0x7f800000, v[4:5]
	s_xor_b32 s29, exec_lo, s11
	s_cbranch_execz .LBB6_20648
; %bb.20635:                            ;   in Loop: Header=BB6_20616 Depth=2
	v_and_b32_e32 v4, 0x7fffffff, v2
	v_mov_b32_e32 v5, v55
	v_and_b32_e32 v15, 0x80, v3
                                        ; implicit-def: $vgpr14
	s_mov_b32 s11, exec_lo
	s_delay_alu instid0(VALU_DEP_2)
	v_cmpx_gt_u64_e32 0x47600001, v[4:5]
	s_xor_b32 s40, exec_lo, s11
	s_cbranch_execz .LBB6_20645
; %bb.20636:                            ;   in Loop: Header=BB6_20616 Depth=2
	v_mov_b32_e32 v14, 0
	s_mov_b32 s41, exec_lo
	v_cmpx_ne_u32_e32 0, v2
	s_cbranch_execz .LBB6_20644
; %bb.20637:                            ;   in Loop: Header=BB6_20616 Depth=2
	v_bfe_u32 v14, v2, 23, 8
	v_or_b32_e32 v4, 0x800000, v54
	s_mov_b32 s42, exec_lo
	s_delay_alu instid0(VALU_DEP_2) | instskip(SKIP_1) | instid1(VALU_DEP_2)
	v_dual_mov_b32 v5, v55 :: v_dual_sub_nc_u32 v2, 0x71, v14
	v_cmp_gt_u32_e32 vcc_lo, 0x72, v14
	v_cndmask_b32_e32 v2, 0, v2, vcc_lo
	v_cmp_eq_u32_e32 vcc_lo, 0, v14
	s_delay_alu instid0(VALU_DEP_2) | instskip(NEXT) | instid1(VALU_DEP_1)
	v_cndmask_b32_e64 v16, v2, 0x70, vcc_lo
	v_dual_cndmask_b32 v4, v4, v54, vcc_lo :: v_dual_add_nc_u32 v2, 21, v16
	v_add_nc_u32_e32 v17, 20, v16
	s_delay_alu instid0(VALU_DEP_2) | instskip(NEXT) | instid1(VALU_DEP_2)
	v_lshlrev_b64_e64 v[2:3], v2, -1
	v_lshlrev_b64_e64 v[18:19], v17, 1
	s_delay_alu instid0(VALU_DEP_2) | instskip(NEXT) | instid1(VALU_DEP_3)
	v_bfi_b32 v21, v3, 0, 0
	v_bfi_b32 v20, v2, 0, v4
	v_lshrrev_b64 v[2:3], v16, v[4:5]
	s_delay_alu instid0(VALU_DEP_1) | instskip(NEXT) | instid1(VALU_DEP_3)
	v_mov_b64_e32 v[4:5], v[2:3]
	v_cmpx_eq_u64_e64 v[20:21], v[18:19]
; %bb.20638:                            ;   in Loop: Header=BB6_20616 Depth=2
	v_bfe_u32 v4, v2, 21, 1
	v_mov_b32_e32 v5, v55
	s_delay_alu instid0(VALU_DEP_1) | instskip(NEXT) | instid1(VALU_DEP_1)
	v_add_nc_u64_e32 v[4:5], v[2:3], v[4:5]
	v_add_nc_u64_e32 v[4:5], -1, v[4:5]
; %bb.20639:                            ;   in Loop: Header=BB6_20616 Depth=2
	s_or_b32 exec_lo, exec_lo, s42
	v_add_nc_u32_e32 v3, 0xffffff81, v14
	s_delay_alu instid0(VALU_DEP_2) | instskip(SKIP_2) | instid1(VALU_DEP_3)
	v_and_b32_e32 v4, 0x1fffff, v4
	v_lshrrev_b32_e32 v5, 23, v2
	s_mov_b32 s11, exec_lo
	v_cndmask_b32_e64 v3, v3, 0xffffff82, vcc_lo
	s_delay_alu instid0(VALU_DEP_3) | instskip(NEXT) | instid1(VALU_DEP_2)
	v_add_nc_u32_e32 v54, v4, v2
                                        ; implicit-def: $vgpr4
	v_add3_u32 v5, v16, v3, v5
                                        ; implicit-def: $vgpr2_vgpr3
	s_delay_alu instid0(VALU_DEP_1) | instskip(NEXT) | instid1(VALU_DEP_1)
	v_add_nc_u32_e32 v14, 14, v5
	v_cmpx_ne_u32_e32 0, v14
	s_xor_b32 s11, exec_lo, s11
; %bb.20640:                            ;   in Loop: Header=BB6_20616 Depth=2
	v_cmp_lt_u64_e32 vcc_lo, 0xffffff, v[54:55]
	v_add_nc_u32_e32 v2, 15, v5
	s_delay_alu instid0(VALU_DEP_1) | instskip(SKIP_1) | instid1(VALU_DEP_1)
	v_cndmask_b32_e32 v4, v14, v2, vcc_lo
	v_cndmask_b32_e64 v2, 0, 1, vcc_lo
	v_lshrrev_b64 v[2:3], v2, v[54:55]
; %bb.20641:                            ;   in Loop: Header=BB6_20616 Depth=2
	s_and_not1_saveexec_b32 s11, s11
; %bb.20642:                            ;   in Loop: Header=BB6_20616 Depth=2
	v_mov_b64_e32 v[2:3], v[54:55]
	v_bfe_u32 v4, v54, 23, 1
; %bb.20643:                            ;   in Loop: Header=BB6_20616 Depth=2
	s_or_b32 exec_lo, exec_lo, s11
	s_delay_alu instid0(VALU_DEP_2) | instskip(NEXT) | instid1(VALU_DEP_2)
	v_lshrrev_b64 v[2:3], 21, v[2:3]
	v_cmp_gt_i32_e32 vcc_lo, 32, v4
	v_min_i32_e32 v5, 31, v4
	v_cmp_eq_u32_e64 s11, 0, v4
	s_delay_alu instid0(VALU_DEP_2) | instskip(SKIP_1) | instid1(VALU_DEP_2)
	v_dual_cndmask_b32 v3, 0, v3, vcc_lo :: v_dual_lshlrev_b32 v5, 2, v5
	v_cndmask_b32_e32 v2, 3, v2, vcc_lo
	v_and_b32_e32 v5, 0xfc, v5
	s_delay_alu instid0(VALU_DEP_2) | instskip(NEXT) | instid1(VALU_DEP_2)
	v_cmp_eq_u64_e32 vcc_lo, 0, v[2:3]
	v_and_or_b32 v2, v2, 3, v5
	s_and_b32 s11, s11, vcc_lo
	s_delay_alu instid0(VALU_DEP_1) | instid1(SALU_CYCLE_1)
	v_cndmask_b32_e64 v2, v2, 0, s11
	s_delay_alu instid0(VALU_DEP_1)
	v_or_b32_e32 v14, v2, v15
.LBB6_20644:                            ;   in Loop: Header=BB6_20616 Depth=2
	s_or_b32 exec_lo, exec_lo, s41
                                        ; implicit-def: $vgpr15
.LBB6_20645:                            ;   in Loop: Header=BB6_20616 Depth=2
	s_and_not1_saveexec_b32 s11, s40
; %bb.20646:                            ;   in Loop: Header=BB6_20616 Depth=2
	v_or_b32_e32 v14, 0x7b, v15
; %bb.20647:                            ;   in Loop: Header=BB6_20616 Depth=2
	s_or_b32 exec_lo, exec_lo, s11
                                        ; implicit-def: $vgpr2
                                        ; implicit-def: $vgpr3
.LBB6_20648:                            ;   in Loop: Header=BB6_20616 Depth=2
	s_and_not1_saveexec_b32 s11, s29
	s_cbranch_execz .LBB6_20654
; %bb.20649:                            ;   in Loop: Header=BB6_20616 Depth=2
	s_mov_b32 s29, exec_lo
                                        ; implicit-def: $vgpr14
	v_cmpx_ne_u64_e32 0, v[54:55]
	s_xor_b32 s29, exec_lo, s29
; %bb.20650:                            ;   in Loop: Header=BB6_20616 Depth=2
	v_or_b32_e32 v14, 0x7f, v3
                                        ; implicit-def: $vgpr2
; %bb.20651:                            ;   in Loop: Header=BB6_20616 Depth=2
	s_and_not1_saveexec_b32 s29, s29
; %bb.20652:                            ;   in Loop: Header=BB6_20616 Depth=2
	v_cmp_lt_i32_e32 vcc_lo, -1, v2
	v_cndmask_b32_e32 v14, 0xfc, v30, vcc_lo
; %bb.20653:                            ;   in Loop: Header=BB6_20616 Depth=2
	s_or_b32 exec_lo, exec_lo, s29
.LBB6_20654:                            ;   in Loop: Header=BB6_20616 Depth=2
	s_delay_alu instid0(SALU_CYCLE_1) | instskip(SKIP_3) | instid1(VALU_DEP_2)
	s_or_b32 exec_lo, exec_lo, s11
	v_lshrrev_b16 v2, 8, v10
	v_mov_b32_e32 v4, 0
	s_mov_b32 s11, exec_lo
	v_cmpx_ne_u16_e32 0, v2
	s_cbranch_execz .LBB6_20664
; %bb.20655:                            ;   in Loop: Header=BB6_20616 Depth=2
	v_bfrev_b32_e32 v4, 1
	s_mov_b32 s29, exec_lo
	v_cmpx_ne_u16_e32 0x80, v2
	s_cbranch_execz .LBB6_20663
; %bb.20656:                            ;   in Loop: Header=BB6_20616 Depth=2
	v_and_b32_e32 v5, 0xffff, v2
	s_delay_alu instid0(VALU_DEP_1) | instskip(SKIP_1) | instid1(VALU_DEP_2)
	v_and_b32_e32 v4, 0x7c, v5
	v_and_b32_e32 v3, 3, v5
	v_cmp_ne_u32_e32 vcc_lo, 0x7c, v4
                                        ; implicit-def: $vgpr4
	s_and_saveexec_b32 s40, vcc_lo
	s_delay_alu instid0(SALU_CYCLE_1)
	s_xor_b32 s40, exec_lo, s40
	s_cbranch_execz .LBB6_20660
; %bb.20657:                            ;   in Loop: Header=BB6_20616 Depth=2
	v_bfe_u32 v4, v5, 2, 5
	s_mov_b32 s41, exec_lo
	s_delay_alu instid0(VALU_DEP_1)
	v_cmpx_eq_u32_e32 0, v4
	s_cbranch_execz .LBB6_20659
; %bb.20658:                            ;   in Loop: Header=BB6_20616 Depth=2
	v_clz_i32_u32_e32 v3, v3
	s_delay_alu instid0(VALU_DEP_1) | instskip(SKIP_1) | instid1(VALU_DEP_2)
	v_min_u32_e32 v4, 32, v3
	v_mov_b32_e32 v3, v55
	v_subrev_nc_u32_e32 v5, 29, v4
	v_sub_nc_u32_e32 v4, 30, v4
	s_delay_alu instid0(VALU_DEP_2) | instskip(NEXT) | instid1(VALU_DEP_1)
	v_lshlrev_b64_e32 v[2:3], v5, v[2:3]
	v_and_b32_e32 v3, 3, v2
.LBB6_20659:                            ;   in Loop: Header=BB6_20616 Depth=2
	s_or_b32 exec_lo, exec_lo, s41
	v_lshlrev_b32_e32 v2, 16, v10
	s_delay_alu instid0(VALU_DEP_1) | instskip(NEXT) | instid1(VALU_DEP_1)
	v_and_b32_e32 v2, 0x80000000, v2
	v_lshl_add_u32 v2, v4, 23, v2
	s_delay_alu instid0(VALU_DEP_1) | instskip(NEXT) | instid1(VALU_DEP_1)
	v_lshl_or_b32 v2, v3, 21, v2
                                        ; implicit-def: $vgpr3
	v_add_nc_u32_e32 v4, 0x38000000, v2
.LBB6_20660:                            ;   in Loop: Header=BB6_20616 Depth=2
	s_and_not1_saveexec_b32 s40, s40
; %bb.20661:                            ;   in Loop: Header=BB6_20616 Depth=2
	v_cmp_lt_i16_e32 vcc_lo, -1, v10
	v_cndmask_b32_e32 v2, 0xff800000, v29, vcc_lo
	v_cmp_eq_u32_e32 vcc_lo, 0, v3
	s_delay_alu instid0(VALU_DEP_2)
	v_cndmask_b32_e32 v4, 0x7f800001, v2, vcc_lo
; %bb.20662:                            ;   in Loop: Header=BB6_20616 Depth=2
	s_or_b32 exec_lo, exec_lo, s40
.LBB6_20663:                            ;   in Loop: Header=BB6_20616 Depth=2
	s_delay_alu instid0(SALU_CYCLE_1)
	s_or_b32 exec_lo, exec_lo, s29
.LBB6_20664:                            ;   in Loop: Header=BB6_20616 Depth=2
	s_delay_alu instid0(SALU_CYCLE_1) | instskip(NEXT) | instid1(VALU_DEP_1)
	s_or_b32 exec_lo, exec_lo, s11
	v_dual_mul_f32 v2, s28, v4 :: v_dual_mov_b32 v5, v55
                                        ; implicit-def: $vgpr15
	s_mov_b32 s11, exec_lo
	s_delay_alu instid0(VALU_DEP_1) | instskip(SKIP_2) | instid1(VALU_DEP_3)
	v_and_b32_e32 v4, 0x7f800000, v2
	v_and_b32_e32 v54, 0x7fffff, v2
	v_lshrrev_b32_e32 v3, 24, v2
	v_cmpx_ne_u64_e32 0x7f800000, v[4:5]
	s_xor_b32 s29, exec_lo, s11
	s_cbranch_execz .LBB6_20678
; %bb.20665:                            ;   in Loop: Header=BB6_20616 Depth=2
	v_and_b32_e32 v4, 0x7fffffff, v2
	v_mov_b32_e32 v5, v55
	v_and_b32_e32 v16, 0x80, v3
                                        ; implicit-def: $vgpr15
	s_mov_b32 s11, exec_lo
	s_delay_alu instid0(VALU_DEP_2)
	v_cmpx_gt_u64_e32 0x47600001, v[4:5]
	s_xor_b32 s40, exec_lo, s11
	s_cbranch_execz .LBB6_20675
; %bb.20666:                            ;   in Loop: Header=BB6_20616 Depth=2
	v_mov_b32_e32 v15, 0
	s_mov_b32 s41, exec_lo
	v_cmpx_ne_u32_e32 0, v2
	s_cbranch_execz .LBB6_20674
; %bb.20667:                            ;   in Loop: Header=BB6_20616 Depth=2
	v_bfe_u32 v15, v2, 23, 8
	v_or_b32_e32 v4, 0x800000, v54
	s_mov_b32 s42, exec_lo
	s_delay_alu instid0(VALU_DEP_2) | instskip(SKIP_1) | instid1(VALU_DEP_2)
	v_dual_mov_b32 v5, v55 :: v_dual_sub_nc_u32 v2, 0x71, v15
	v_cmp_gt_u32_e32 vcc_lo, 0x72, v15
	v_cndmask_b32_e32 v2, 0, v2, vcc_lo
	v_cmp_eq_u32_e32 vcc_lo, 0, v15
	s_delay_alu instid0(VALU_DEP_2) | instskip(NEXT) | instid1(VALU_DEP_1)
	v_cndmask_b32_e64 v17, v2, 0x70, vcc_lo
	v_dual_cndmask_b32 v4, v4, v54, vcc_lo :: v_dual_add_nc_u32 v2, 21, v17
	v_add_nc_u32_e32 v18, 20, v17
	s_delay_alu instid0(VALU_DEP_2) | instskip(NEXT) | instid1(VALU_DEP_2)
	v_lshlrev_b64_e64 v[2:3], v2, -1
	v_lshlrev_b64_e64 v[18:19], v18, 1
	s_delay_alu instid0(VALU_DEP_2) | instskip(NEXT) | instid1(VALU_DEP_3)
	v_bfi_b32 v21, v3, 0, 0
	v_bfi_b32 v20, v2, 0, v4
	v_lshrrev_b64 v[2:3], v17, v[4:5]
	s_delay_alu instid0(VALU_DEP_1) | instskip(NEXT) | instid1(VALU_DEP_3)
	v_mov_b64_e32 v[4:5], v[2:3]
	v_cmpx_eq_u64_e64 v[20:21], v[18:19]
; %bb.20668:                            ;   in Loop: Header=BB6_20616 Depth=2
	v_bfe_u32 v4, v2, 21, 1
	v_mov_b32_e32 v5, v55
	s_delay_alu instid0(VALU_DEP_1) | instskip(NEXT) | instid1(VALU_DEP_1)
	v_add_nc_u64_e32 v[4:5], v[2:3], v[4:5]
	v_add_nc_u64_e32 v[4:5], -1, v[4:5]
; %bb.20669:                            ;   in Loop: Header=BB6_20616 Depth=2
	s_or_b32 exec_lo, exec_lo, s42
	v_add_nc_u32_e32 v3, 0xffffff81, v15
	s_delay_alu instid0(VALU_DEP_2) | instskip(SKIP_2) | instid1(VALU_DEP_3)
	v_and_b32_e32 v4, 0x1fffff, v4
	v_lshrrev_b32_e32 v5, 23, v2
	s_mov_b32 s11, exec_lo
	v_cndmask_b32_e64 v3, v3, 0xffffff82, vcc_lo
	s_delay_alu instid0(VALU_DEP_3) | instskip(NEXT) | instid1(VALU_DEP_2)
	v_add_nc_u32_e32 v54, v4, v2
                                        ; implicit-def: $vgpr4
	v_add3_u32 v5, v17, v3, v5
                                        ; implicit-def: $vgpr2_vgpr3
	s_delay_alu instid0(VALU_DEP_1) | instskip(NEXT) | instid1(VALU_DEP_1)
	v_add_nc_u32_e32 v15, 14, v5
	v_cmpx_ne_u32_e32 0, v15
	s_xor_b32 s11, exec_lo, s11
; %bb.20670:                            ;   in Loop: Header=BB6_20616 Depth=2
	v_cmp_lt_u64_e32 vcc_lo, 0xffffff, v[54:55]
	v_add_nc_u32_e32 v2, 15, v5
	s_delay_alu instid0(VALU_DEP_1) | instskip(SKIP_1) | instid1(VALU_DEP_1)
	v_cndmask_b32_e32 v4, v15, v2, vcc_lo
	v_cndmask_b32_e64 v2, 0, 1, vcc_lo
	v_lshrrev_b64 v[2:3], v2, v[54:55]
; %bb.20671:                            ;   in Loop: Header=BB6_20616 Depth=2
	s_and_not1_saveexec_b32 s11, s11
; %bb.20672:                            ;   in Loop: Header=BB6_20616 Depth=2
	v_mov_b64_e32 v[2:3], v[54:55]
	v_bfe_u32 v4, v54, 23, 1
; %bb.20673:                            ;   in Loop: Header=BB6_20616 Depth=2
	s_or_b32 exec_lo, exec_lo, s11
	s_delay_alu instid0(VALU_DEP_2) | instskip(NEXT) | instid1(VALU_DEP_2)
	v_lshrrev_b64 v[2:3], 21, v[2:3]
	v_cmp_gt_i32_e32 vcc_lo, 32, v4
	v_min_i32_e32 v5, 31, v4
	v_cmp_eq_u32_e64 s11, 0, v4
	s_delay_alu instid0(VALU_DEP_2) | instskip(SKIP_1) | instid1(VALU_DEP_2)
	v_dual_cndmask_b32 v3, 0, v3, vcc_lo :: v_dual_lshlrev_b32 v5, 2, v5
	v_cndmask_b32_e32 v2, 3, v2, vcc_lo
	v_and_b32_e32 v5, 0xfc, v5
	s_delay_alu instid0(VALU_DEP_2) | instskip(NEXT) | instid1(VALU_DEP_2)
	v_cmp_eq_u64_e32 vcc_lo, 0, v[2:3]
	v_and_or_b32 v2, v2, 3, v5
	s_and_b32 s11, s11, vcc_lo
	s_delay_alu instid0(VALU_DEP_1) | instid1(SALU_CYCLE_1)
	v_cndmask_b32_e64 v2, v2, 0, s11
	s_delay_alu instid0(VALU_DEP_1)
	v_or_b32_e32 v15, v2, v16
.LBB6_20674:                            ;   in Loop: Header=BB6_20616 Depth=2
	s_or_b32 exec_lo, exec_lo, s41
                                        ; implicit-def: $vgpr16
.LBB6_20675:                            ;   in Loop: Header=BB6_20616 Depth=2
	s_and_not1_saveexec_b32 s11, s40
; %bb.20676:                            ;   in Loop: Header=BB6_20616 Depth=2
	v_or_b32_e32 v15, 0x7b, v16
; %bb.20677:                            ;   in Loop: Header=BB6_20616 Depth=2
	s_or_b32 exec_lo, exec_lo, s11
                                        ; implicit-def: $vgpr2
                                        ; implicit-def: $vgpr3
.LBB6_20678:                            ;   in Loop: Header=BB6_20616 Depth=2
	s_and_not1_saveexec_b32 s11, s29
	s_cbranch_execz .LBB6_20684
; %bb.20679:                            ;   in Loop: Header=BB6_20616 Depth=2
	s_mov_b32 s29, exec_lo
                                        ; implicit-def: $vgpr15
	v_cmpx_ne_u64_e32 0, v[54:55]
	s_xor_b32 s29, exec_lo, s29
; %bb.20680:                            ;   in Loop: Header=BB6_20616 Depth=2
	v_or_b32_e32 v15, 0x7f, v3
                                        ; implicit-def: $vgpr2
; %bb.20681:                            ;   in Loop: Header=BB6_20616 Depth=2
	s_and_not1_saveexec_b32 s29, s29
; %bb.20682:                            ;   in Loop: Header=BB6_20616 Depth=2
	v_cmp_lt_i32_e32 vcc_lo, -1, v2
	v_cndmask_b32_e32 v15, 0xfc, v30, vcc_lo
; %bb.20683:                            ;   in Loop: Header=BB6_20616 Depth=2
	s_or_b32 exec_lo, exec_lo, s29
.LBB6_20684:                            ;   in Loop: Header=BB6_20616 Depth=2
	s_delay_alu instid0(SALU_CYCLE_1) | instskip(SKIP_2) | instid1(VALU_DEP_1)
	s_or_b32 exec_lo, exec_lo, s11
	v_dual_mov_b32 v3, 0 :: v_dual_lshrrev_b32 v2, 16, v10
	s_mov_b32 s11, exec_lo
	v_and_b32_e32 v4, 0xff, v2
	s_delay_alu instid0(VALU_DEP_1)
	v_cmpx_ne_u16_e32 0, v4
	s_cbranch_execz .LBB6_20694
; %bb.20685:                            ;   in Loop: Header=BB6_20616 Depth=2
	v_bfrev_b32_e32 v3, 1
	s_mov_b32 s29, exec_lo
	v_cmpx_ne_u16_e32 0x80, v4
	s_cbranch_execz .LBB6_20693
; %bb.20686:                            ;   in Loop: Header=BB6_20616 Depth=2
	v_and_b32_e32 v3, 0x7c0000, v10
	v_bfe_u32 v4, v10, 16, 2
	s_delay_alu instid0(VALU_DEP_2) | instskip(SKIP_1) | instid1(SALU_CYCLE_1)
	v_cmp_ne_u32_e32 vcc_lo, 0x7c0000, v3
                                        ; implicit-def: $vgpr3
	s_and_saveexec_b32 s40, vcc_lo
	s_xor_b32 s40, exec_lo, s40
	s_cbranch_execz .LBB6_20690
; %bb.20687:                            ;   in Loop: Header=BB6_20616 Depth=2
	v_bfe_u32 v3, v10, 18, 5
	s_mov_b32 s41, exec_lo
	s_delay_alu instid0(VALU_DEP_1)
	v_cmpx_eq_u32_e32 0, v3
; %bb.20688:                            ;   in Loop: Header=BB6_20616 Depth=2
	v_clz_i32_u32_e32 v3, v4
	s_delay_alu instid0(VALU_DEP_1) | instskip(NEXT) | instid1(VALU_DEP_1)
	v_min_u32_e32 v3, 32, v3
	v_subrev_nc_u32_e32 v4, 29, v3
	s_delay_alu instid0(VALU_DEP_1) | instskip(NEXT) | instid1(VALU_DEP_1)
	v_lshlrev_b64_e32 v[4:5], v4, v[2:3]
	v_dual_sub_nc_u32 v3, 30, v3 :: v_dual_bitop2_b32 v4, 3, v4 bitop3:0x40
; %bb.20689:                            ;   in Loop: Header=BB6_20616 Depth=2
	s_or_b32 exec_lo, exec_lo, s41
	v_lshlrev_b32_e32 v2, 24, v2
	s_delay_alu instid0(VALU_DEP_1) | instskip(NEXT) | instid1(VALU_DEP_1)
	v_and_b32_e32 v2, 0x80000000, v2
	v_lshl_add_u32 v2, v3, 23, v2
	s_delay_alu instid0(VALU_DEP_1) | instskip(NEXT) | instid1(VALU_DEP_1)
	v_lshl_or_b32 v2, v4, 21, v2
                                        ; implicit-def: $vgpr4
	v_add_nc_u32_e32 v3, 0x38000000, v2
                                        ; implicit-def: $vgpr2
.LBB6_20690:                            ;   in Loop: Header=BB6_20616 Depth=2
	s_and_not1_saveexec_b32 s40, s40
; %bb.20691:                            ;   in Loop: Header=BB6_20616 Depth=2
	v_bfe_i32 v2, v2, 0, 8
	s_delay_alu instid0(VALU_DEP_1) | instskip(SKIP_2) | instid1(VALU_DEP_2)
	v_cmp_lt_i16_e32 vcc_lo, -1, v2
	v_cndmask_b32_e32 v2, 0xff800000, v29, vcc_lo
	v_cmp_eq_u32_e32 vcc_lo, 0, v4
	v_cndmask_b32_e32 v3, 0x7f800001, v2, vcc_lo
; %bb.20692:                            ;   in Loop: Header=BB6_20616 Depth=2
	s_or_b32 exec_lo, exec_lo, s40
.LBB6_20693:                            ;   in Loop: Header=BB6_20616 Depth=2
	s_delay_alu instid0(SALU_CYCLE_1)
	s_or_b32 exec_lo, exec_lo, s29
.LBB6_20694:                            ;   in Loop: Header=BB6_20616 Depth=2
	s_delay_alu instid0(SALU_CYCLE_1) | instskip(NEXT) | instid1(VALU_DEP_1)
	s_or_b32 exec_lo, exec_lo, s11
	v_dual_mul_f32 v2, s28, v3 :: v_dual_mov_b32 v5, v55
                                        ; implicit-def: $vgpr16
	s_mov_b32 s11, exec_lo
	s_delay_alu instid0(VALU_DEP_1) | instskip(SKIP_2) | instid1(VALU_DEP_3)
	v_and_b32_e32 v4, 0x7f800000, v2
	v_and_b32_e32 v54, 0x7fffff, v2
	v_lshrrev_b32_e32 v3, 24, v2
	v_cmpx_ne_u64_e32 0x7f800000, v[4:5]
	s_xor_b32 s29, exec_lo, s11
	s_cbranch_execz .LBB6_20708
; %bb.20695:                            ;   in Loop: Header=BB6_20616 Depth=2
	v_and_b32_e32 v4, 0x7fffffff, v2
	v_mov_b32_e32 v5, v55
	v_and_b32_e32 v17, 0x80, v3
                                        ; implicit-def: $vgpr16
	s_mov_b32 s11, exec_lo
	s_delay_alu instid0(VALU_DEP_2)
	v_cmpx_gt_u64_e32 0x47600001, v[4:5]
	s_xor_b32 s40, exec_lo, s11
	s_cbranch_execz .LBB6_20705
; %bb.20696:                            ;   in Loop: Header=BB6_20616 Depth=2
	v_mov_b32_e32 v16, 0
	s_mov_b32 s41, exec_lo
	v_cmpx_ne_u32_e32 0, v2
	s_cbranch_execz .LBB6_20704
; %bb.20697:                            ;   in Loop: Header=BB6_20616 Depth=2
	v_bfe_u32 v16, v2, 23, 8
	v_or_b32_e32 v4, 0x800000, v54
	s_mov_b32 s42, exec_lo
	s_delay_alu instid0(VALU_DEP_2) | instskip(SKIP_1) | instid1(VALU_DEP_2)
	v_dual_mov_b32 v5, v55 :: v_dual_sub_nc_u32 v2, 0x71, v16
	v_cmp_gt_u32_e32 vcc_lo, 0x72, v16
	v_cndmask_b32_e32 v2, 0, v2, vcc_lo
	v_cmp_eq_u32_e32 vcc_lo, 0, v16
	s_delay_alu instid0(VALU_DEP_2) | instskip(SKIP_1) | instid1(VALU_DEP_2)
	v_cndmask_b32_e64 v18, v2, 0x70, vcc_lo
	v_cndmask_b32_e32 v4, v4, v54, vcc_lo
	v_dual_add_nc_u32 v2, 21, v18 :: v_dual_add_nc_u32 v19, 20, v18
	s_delay_alu instid0(VALU_DEP_1) | instskip(NEXT) | instid1(VALU_DEP_2)
	v_lshlrev_b64_e64 v[2:3], v2, -1
	v_lshlrev_b64_e64 v[20:21], v19, 1
	s_delay_alu instid0(VALU_DEP_2) | instskip(NEXT) | instid1(VALU_DEP_3)
	v_bfi_b32 v23, v3, 0, 0
	v_bfi_b32 v22, v2, 0, v4
	v_lshrrev_b64 v[2:3], v18, v[4:5]
	s_delay_alu instid0(VALU_DEP_1) | instskip(NEXT) | instid1(VALU_DEP_3)
	v_mov_b64_e32 v[4:5], v[2:3]
	v_cmpx_eq_u64_e64 v[22:23], v[20:21]
; %bb.20698:                            ;   in Loop: Header=BB6_20616 Depth=2
	v_bfe_u32 v4, v2, 21, 1
	v_mov_b32_e32 v5, v55
	s_delay_alu instid0(VALU_DEP_1) | instskip(NEXT) | instid1(VALU_DEP_1)
	v_add_nc_u64_e32 v[4:5], v[2:3], v[4:5]
	v_add_nc_u64_e32 v[4:5], -1, v[4:5]
; %bb.20699:                            ;   in Loop: Header=BB6_20616 Depth=2
	s_or_b32 exec_lo, exec_lo, s42
	v_add_nc_u32_e32 v3, 0xffffff81, v16
	s_delay_alu instid0(VALU_DEP_2) | instskip(SKIP_2) | instid1(VALU_DEP_3)
	v_and_b32_e32 v4, 0x1fffff, v4
	v_lshrrev_b32_e32 v5, 23, v2
	s_mov_b32 s11, exec_lo
	v_cndmask_b32_e64 v3, v3, 0xffffff82, vcc_lo
	s_delay_alu instid0(VALU_DEP_3) | instskip(NEXT) | instid1(VALU_DEP_2)
	v_add_nc_u32_e32 v54, v4, v2
                                        ; implicit-def: $vgpr4
	v_add3_u32 v5, v18, v3, v5
                                        ; implicit-def: $vgpr2_vgpr3
	s_delay_alu instid0(VALU_DEP_1) | instskip(NEXT) | instid1(VALU_DEP_1)
	v_add_nc_u32_e32 v16, 14, v5
	v_cmpx_ne_u32_e32 0, v16
	s_xor_b32 s11, exec_lo, s11
; %bb.20700:                            ;   in Loop: Header=BB6_20616 Depth=2
	v_cmp_lt_u64_e32 vcc_lo, 0xffffff, v[54:55]
	v_add_nc_u32_e32 v2, 15, v5
	s_delay_alu instid0(VALU_DEP_1) | instskip(SKIP_1) | instid1(VALU_DEP_1)
	v_cndmask_b32_e32 v4, v16, v2, vcc_lo
	v_cndmask_b32_e64 v2, 0, 1, vcc_lo
	v_lshrrev_b64 v[2:3], v2, v[54:55]
; %bb.20701:                            ;   in Loop: Header=BB6_20616 Depth=2
	s_and_not1_saveexec_b32 s11, s11
; %bb.20702:                            ;   in Loop: Header=BB6_20616 Depth=2
	v_mov_b64_e32 v[2:3], v[54:55]
	v_bfe_u32 v4, v54, 23, 1
; %bb.20703:                            ;   in Loop: Header=BB6_20616 Depth=2
	s_or_b32 exec_lo, exec_lo, s11
	s_delay_alu instid0(VALU_DEP_2) | instskip(NEXT) | instid1(VALU_DEP_2)
	v_lshrrev_b64 v[2:3], 21, v[2:3]
	v_cmp_gt_i32_e32 vcc_lo, 32, v4
	v_min_i32_e32 v5, 31, v4
	v_cmp_eq_u32_e64 s11, 0, v4
	s_delay_alu instid0(VALU_DEP_2) | instskip(SKIP_1) | instid1(VALU_DEP_2)
	v_dual_cndmask_b32 v3, 0, v3, vcc_lo :: v_dual_lshlrev_b32 v5, 2, v5
	v_cndmask_b32_e32 v2, 3, v2, vcc_lo
	v_and_b32_e32 v5, 0xfc, v5
	s_delay_alu instid0(VALU_DEP_2) | instskip(NEXT) | instid1(VALU_DEP_2)
	v_cmp_eq_u64_e32 vcc_lo, 0, v[2:3]
	v_and_or_b32 v2, v2, 3, v5
	s_and_b32 s11, s11, vcc_lo
	s_delay_alu instid0(VALU_DEP_1) | instid1(SALU_CYCLE_1)
	v_cndmask_b32_e64 v2, v2, 0, s11
	s_delay_alu instid0(VALU_DEP_1)
	v_or_b32_e32 v16, v2, v17
.LBB6_20704:                            ;   in Loop: Header=BB6_20616 Depth=2
	s_or_b32 exec_lo, exec_lo, s41
                                        ; implicit-def: $vgpr17
.LBB6_20705:                            ;   in Loop: Header=BB6_20616 Depth=2
	s_and_not1_saveexec_b32 s11, s40
; %bb.20706:                            ;   in Loop: Header=BB6_20616 Depth=2
	v_or_b32_e32 v16, 0x7b, v17
; %bb.20707:                            ;   in Loop: Header=BB6_20616 Depth=2
	s_or_b32 exec_lo, exec_lo, s11
                                        ; implicit-def: $vgpr2
                                        ; implicit-def: $vgpr3
.LBB6_20708:                            ;   in Loop: Header=BB6_20616 Depth=2
	s_and_not1_saveexec_b32 s11, s29
	s_cbranch_execz .LBB6_20714
; %bb.20709:                            ;   in Loop: Header=BB6_20616 Depth=2
	s_mov_b32 s29, exec_lo
                                        ; implicit-def: $vgpr16
	v_cmpx_ne_u64_e32 0, v[54:55]
	s_xor_b32 s29, exec_lo, s29
; %bb.20710:                            ;   in Loop: Header=BB6_20616 Depth=2
	v_or_b32_e32 v16, 0x7f, v3
                                        ; implicit-def: $vgpr2
; %bb.20711:                            ;   in Loop: Header=BB6_20616 Depth=2
	s_and_not1_saveexec_b32 s29, s29
; %bb.20712:                            ;   in Loop: Header=BB6_20616 Depth=2
	v_cmp_lt_i32_e32 vcc_lo, -1, v2
	v_cndmask_b32_e32 v16, 0xfc, v30, vcc_lo
; %bb.20713:                            ;   in Loop: Header=BB6_20616 Depth=2
	s_or_b32 exec_lo, exec_lo, s29
.LBB6_20714:                            ;   in Loop: Header=BB6_20616 Depth=2
	s_delay_alu instid0(SALU_CYCLE_1)
	s_or_b32 exec_lo, exec_lo, s11
	v_mov_b32_e32 v3, 0
	s_mov_b32 s11, exec_lo
	v_cmpx_lt_u32_e32 0xffffff, v10
	s_cbranch_execz .LBB6_20724
; %bb.20715:                            ;   in Loop: Header=BB6_20616 Depth=2
	v_lshrrev_b32_e32 v2, 24, v10
	v_bfrev_b32_e32 v3, 1
	s_mov_b32 s29, exec_lo
	s_delay_alu instid0(VALU_DEP_2)
	v_cmpx_ne_u32_e32 0x80, v2
	s_cbranch_execz .LBB6_20723
; %bb.20716:                            ;   in Loop: Header=BB6_20616 Depth=2
	v_and_b32_e32 v3, 0x7c000000, v10
	v_bfe_u32 v4, v10, 24, 2
	s_delay_alu instid0(VALU_DEP_2) | instskip(SKIP_1) | instid1(SALU_CYCLE_1)
	v_cmp_ne_u32_e32 vcc_lo, 0x7c000000, v3
                                        ; implicit-def: $vgpr3
	s_and_saveexec_b32 s40, vcc_lo
	s_xor_b32 s40, exec_lo, s40
	s_cbranch_execz .LBB6_20720
; %bb.20717:                            ;   in Loop: Header=BB6_20616 Depth=2
	v_bfe_u32 v3, v10, 26, 5
	s_mov_b32 s41, exec_lo
	s_delay_alu instid0(VALU_DEP_1)
	v_cmpx_eq_u32_e32 0, v3
; %bb.20718:                            ;   in Loop: Header=BB6_20616 Depth=2
	v_clz_i32_u32_e32 v3, v4
	s_delay_alu instid0(VALU_DEP_1) | instskip(NEXT) | instid1(VALU_DEP_1)
	v_min_u32_e32 v4, 32, v3
	v_subrev_nc_u32_e32 v3, 29, v4
	s_delay_alu instid0(VALU_DEP_1) | instskip(NEXT) | instid1(VALU_DEP_1)
	v_lshlrev_b64_e32 v[2:3], v3, v[2:3]
	v_dual_sub_nc_u32 v3, 30, v4 :: v_dual_bitop2_b32 v4, 3, v2 bitop3:0x40
; %bb.20719:                            ;   in Loop: Header=BB6_20616 Depth=2
	s_or_b32 exec_lo, exec_lo, s41
	v_and_b32_e32 v2, 0x80000000, v10
	s_delay_alu instid0(VALU_DEP_1) | instskip(NEXT) | instid1(VALU_DEP_1)
	v_lshl_add_u32 v2, v3, 23, v2
	v_lshl_or_b32 v2, v4, 21, v2
                                        ; implicit-def: $vgpr4
	s_delay_alu instid0(VALU_DEP_1)
	v_add_nc_u32_e32 v3, 0x38000000, v2
.LBB6_20720:                            ;   in Loop: Header=BB6_20616 Depth=2
	s_and_not1_saveexec_b32 s40, s40
; %bb.20721:                            ;   in Loop: Header=BB6_20616 Depth=2
	v_cmp_lt_i32_e32 vcc_lo, -1, v10
	v_cndmask_b32_e32 v2, 0xff800000, v29, vcc_lo
	v_cmp_eq_u32_e32 vcc_lo, 0, v4
	s_delay_alu instid0(VALU_DEP_2)
	v_cndmask_b32_e32 v3, 0x7f800001, v2, vcc_lo
; %bb.20722:                            ;   in Loop: Header=BB6_20616 Depth=2
	s_or_b32 exec_lo, exec_lo, s40
.LBB6_20723:                            ;   in Loop: Header=BB6_20616 Depth=2
	s_delay_alu instid0(SALU_CYCLE_1)
	s_or_b32 exec_lo, exec_lo, s29
.LBB6_20724:                            ;   in Loop: Header=BB6_20616 Depth=2
	s_delay_alu instid0(SALU_CYCLE_1) | instskip(NEXT) | instid1(VALU_DEP_1)
	s_or_b32 exec_lo, exec_lo, s11
	v_dual_mul_f32 v2, s28, v3 :: v_dual_mov_b32 v5, v55
                                        ; implicit-def: $vgpr17
	s_mov_b32 s11, exec_lo
	s_delay_alu instid0(VALU_DEP_1) | instskip(SKIP_2) | instid1(VALU_DEP_3)
	v_and_b32_e32 v4, 0x7f800000, v2
	v_and_b32_e32 v54, 0x7fffff, v2
	v_lshrrev_b32_e32 v3, 24, v2
	v_cmpx_ne_u64_e32 0x7f800000, v[4:5]
	s_xor_b32 s29, exec_lo, s11
	s_cbranch_execz .LBB6_20738
; %bb.20725:                            ;   in Loop: Header=BB6_20616 Depth=2
	v_and_b32_e32 v4, 0x7fffffff, v2
	v_mov_b32_e32 v5, v55
	v_and_b32_e32 v18, 0x80, v3
                                        ; implicit-def: $vgpr17
	s_mov_b32 s11, exec_lo
	s_delay_alu instid0(VALU_DEP_2)
	v_cmpx_gt_u64_e32 0x47600001, v[4:5]
	s_xor_b32 s40, exec_lo, s11
	s_cbranch_execz .LBB6_20735
; %bb.20726:                            ;   in Loop: Header=BB6_20616 Depth=2
	v_mov_b32_e32 v17, 0
	s_mov_b32 s41, exec_lo
	v_cmpx_ne_u32_e32 0, v2
	s_cbranch_execz .LBB6_20734
; %bb.20727:                            ;   in Loop: Header=BB6_20616 Depth=2
	v_bfe_u32 v17, v2, 23, 8
	v_or_b32_e32 v4, 0x800000, v54
	s_mov_b32 s42, exec_lo
	s_delay_alu instid0(VALU_DEP_2) | instskip(SKIP_1) | instid1(VALU_DEP_2)
	v_dual_mov_b32 v5, v55 :: v_dual_sub_nc_u32 v2, 0x71, v17
	v_cmp_gt_u32_e32 vcc_lo, 0x72, v17
	v_cndmask_b32_e32 v2, 0, v2, vcc_lo
	v_cmp_eq_u32_e32 vcc_lo, 0, v17
	s_delay_alu instid0(VALU_DEP_2) | instskip(NEXT) | instid1(VALU_DEP_1)
	v_cndmask_b32_e64 v19, v2, 0x70, vcc_lo
	v_dual_cndmask_b32 v4, v4, v54, vcc_lo :: v_dual_add_nc_u32 v2, 21, v19
	v_add_nc_u32_e32 v20, 20, v19
	s_delay_alu instid0(VALU_DEP_2) | instskip(NEXT) | instid1(VALU_DEP_2)
	v_lshlrev_b64_e64 v[2:3], v2, -1
	v_lshlrev_b64_e64 v[20:21], v20, 1
	s_delay_alu instid0(VALU_DEP_2) | instskip(NEXT) | instid1(VALU_DEP_3)
	v_bfi_b32 v23, v3, 0, 0
	v_bfi_b32 v22, v2, 0, v4
	v_lshrrev_b64 v[2:3], v19, v[4:5]
	s_delay_alu instid0(VALU_DEP_1) | instskip(NEXT) | instid1(VALU_DEP_3)
	v_mov_b64_e32 v[4:5], v[2:3]
	v_cmpx_eq_u64_e64 v[22:23], v[20:21]
; %bb.20728:                            ;   in Loop: Header=BB6_20616 Depth=2
	v_bfe_u32 v4, v2, 21, 1
	v_mov_b32_e32 v5, v55
	s_delay_alu instid0(VALU_DEP_1) | instskip(NEXT) | instid1(VALU_DEP_1)
	v_add_nc_u64_e32 v[4:5], v[2:3], v[4:5]
	v_add_nc_u64_e32 v[4:5], -1, v[4:5]
; %bb.20729:                            ;   in Loop: Header=BB6_20616 Depth=2
	s_or_b32 exec_lo, exec_lo, s42
	v_add_nc_u32_e32 v3, 0xffffff81, v17
	s_delay_alu instid0(VALU_DEP_2) | instskip(SKIP_2) | instid1(VALU_DEP_3)
	v_and_b32_e32 v4, 0x1fffff, v4
	v_lshrrev_b32_e32 v5, 23, v2
	s_mov_b32 s11, exec_lo
	v_cndmask_b32_e64 v3, v3, 0xffffff82, vcc_lo
	s_delay_alu instid0(VALU_DEP_3) | instskip(NEXT) | instid1(VALU_DEP_2)
	v_add_nc_u32_e32 v54, v4, v2
                                        ; implicit-def: $vgpr4
	v_add3_u32 v5, v19, v3, v5
                                        ; implicit-def: $vgpr2_vgpr3
	s_delay_alu instid0(VALU_DEP_1) | instskip(NEXT) | instid1(VALU_DEP_1)
	v_add_nc_u32_e32 v17, 14, v5
	v_cmpx_ne_u32_e32 0, v17
	s_xor_b32 s11, exec_lo, s11
; %bb.20730:                            ;   in Loop: Header=BB6_20616 Depth=2
	v_cmp_lt_u64_e32 vcc_lo, 0xffffff, v[54:55]
	v_add_nc_u32_e32 v2, 15, v5
	s_delay_alu instid0(VALU_DEP_1) | instskip(SKIP_1) | instid1(VALU_DEP_1)
	v_cndmask_b32_e32 v4, v17, v2, vcc_lo
	v_cndmask_b32_e64 v2, 0, 1, vcc_lo
	v_lshrrev_b64 v[2:3], v2, v[54:55]
; %bb.20731:                            ;   in Loop: Header=BB6_20616 Depth=2
	s_and_not1_saveexec_b32 s11, s11
; %bb.20732:                            ;   in Loop: Header=BB6_20616 Depth=2
	v_mov_b64_e32 v[2:3], v[54:55]
	v_bfe_u32 v4, v54, 23, 1
; %bb.20733:                            ;   in Loop: Header=BB6_20616 Depth=2
	s_or_b32 exec_lo, exec_lo, s11
	s_delay_alu instid0(VALU_DEP_2) | instskip(NEXT) | instid1(VALU_DEP_2)
	v_lshrrev_b64 v[2:3], 21, v[2:3]
	v_cmp_gt_i32_e32 vcc_lo, 32, v4
	v_min_i32_e32 v5, 31, v4
	v_cmp_eq_u32_e64 s11, 0, v4
	s_delay_alu instid0(VALU_DEP_2) | instskip(SKIP_1) | instid1(VALU_DEP_2)
	v_dual_cndmask_b32 v3, 0, v3, vcc_lo :: v_dual_lshlrev_b32 v5, 2, v5
	v_cndmask_b32_e32 v2, 3, v2, vcc_lo
	v_and_b32_e32 v5, 0xfc, v5
	s_delay_alu instid0(VALU_DEP_2) | instskip(NEXT) | instid1(VALU_DEP_2)
	v_cmp_eq_u64_e32 vcc_lo, 0, v[2:3]
	v_and_or_b32 v2, v2, 3, v5
	s_and_b32 s11, s11, vcc_lo
	s_delay_alu instid0(VALU_DEP_1) | instid1(SALU_CYCLE_1)
	v_cndmask_b32_e64 v2, v2, 0, s11
	s_delay_alu instid0(VALU_DEP_1)
	v_or_b32_e32 v17, v2, v18
.LBB6_20734:                            ;   in Loop: Header=BB6_20616 Depth=2
	s_or_b32 exec_lo, exec_lo, s41
                                        ; implicit-def: $vgpr18
.LBB6_20735:                            ;   in Loop: Header=BB6_20616 Depth=2
	s_and_not1_saveexec_b32 s11, s40
; %bb.20736:                            ;   in Loop: Header=BB6_20616 Depth=2
	v_or_b32_e32 v17, 0x7b, v18
; %bb.20737:                            ;   in Loop: Header=BB6_20616 Depth=2
	s_or_b32 exec_lo, exec_lo, s11
                                        ; implicit-def: $vgpr2
                                        ; implicit-def: $vgpr3
.LBB6_20738:                            ;   in Loop: Header=BB6_20616 Depth=2
	s_and_not1_saveexec_b32 s11, s29
	s_cbranch_execz .LBB6_20744
; %bb.20739:                            ;   in Loop: Header=BB6_20616 Depth=2
	s_mov_b32 s29, exec_lo
                                        ; implicit-def: $vgpr17
	v_cmpx_ne_u64_e32 0, v[54:55]
	s_xor_b32 s29, exec_lo, s29
; %bb.20740:                            ;   in Loop: Header=BB6_20616 Depth=2
	v_or_b32_e32 v17, 0x7f, v3
                                        ; implicit-def: $vgpr2
; %bb.20741:                            ;   in Loop: Header=BB6_20616 Depth=2
	s_and_not1_saveexec_b32 s29, s29
; %bb.20742:                            ;   in Loop: Header=BB6_20616 Depth=2
	v_cmp_lt_i32_e32 vcc_lo, -1, v2
	v_cndmask_b32_e32 v17, 0xfc, v30, vcc_lo
; %bb.20743:                            ;   in Loop: Header=BB6_20616 Depth=2
	s_or_b32 exec_lo, exec_lo, s29
.LBB6_20744:                            ;   in Loop: Header=BB6_20616 Depth=2
	s_delay_alu instid0(SALU_CYCLE_1) | instskip(SKIP_3) | instid1(VALU_DEP_2)
	s_or_b32 exec_lo, exec_lo, s11
	v_and_b32_e32 v3, 0xff, v11
	v_dual_mov_b32 v54, v11 :: v_dual_mov_b32 v2, 0
	s_mov_b32 s11, exec_lo
	v_cmpx_ne_u16_e32 0, v3
	s_cbranch_execz .LBB6_20754
; %bb.20745:                            ;   in Loop: Header=BB6_20616 Depth=2
	v_bfrev_b32_e32 v2, 1
	s_mov_b32 s29, exec_lo
	v_cmpx_ne_u16_e32 0x80, v3
	s_cbranch_execz .LBB6_20753
; %bb.20746:                            ;   in Loop: Header=BB6_20616 Depth=2
	v_and_b32_e32 v2, 0x7c, v11
	v_and_b32_e32 v3, 3, v11
	s_delay_alu instid0(VALU_DEP_2) | instskip(SKIP_1) | instid1(SALU_CYCLE_1)
	v_cmp_ne_u32_e32 vcc_lo, 0x7c, v2
                                        ; implicit-def: $vgpr2
	s_and_saveexec_b32 s40, vcc_lo
	s_xor_b32 s40, exec_lo, s40
	s_cbranch_execz .LBB6_20750
; %bb.20747:                            ;   in Loop: Header=BB6_20616 Depth=2
	v_bfe_u32 v2, v11, 2, 5
	s_mov_b32 s41, exec_lo
	s_delay_alu instid0(VALU_DEP_1)
	v_cmpx_eq_u32_e32 0, v2
; %bb.20748:                            ;   in Loop: Header=BB6_20616 Depth=2
	v_clz_i32_u32_e32 v2, v3
	s_delay_alu instid0(VALU_DEP_1) | instskip(NEXT) | instid1(VALU_DEP_1)
	v_min_u32_e32 v2, 32, v2
	v_subrev_nc_u32_e32 v3, 29, v2
	s_delay_alu instid0(VALU_DEP_1) | instskip(NEXT) | instid1(VALU_DEP_1)
	v_lshlrev_b64_e32 v[4:5], v3, v[54:55]
	v_dual_sub_nc_u32 v2, 30, v2 :: v_dual_bitop2_b32 v3, 3, v4 bitop3:0x40
; %bb.20749:                            ;   in Loop: Header=BB6_20616 Depth=2
	s_or_b32 exec_lo, exec_lo, s41
	v_lshlrev_b32_e32 v4, 24, v11
	s_delay_alu instid0(VALU_DEP_1) | instskip(NEXT) | instid1(VALU_DEP_1)
	v_and_b32_e32 v4, 0x80000000, v4
	v_lshl_add_u32 v2, v2, 23, v4
	s_delay_alu instid0(VALU_DEP_1) | instskip(NEXT) | instid1(VALU_DEP_1)
	v_lshl_or_b32 v2, v3, 21, v2
                                        ; implicit-def: $vgpr3
	v_add_nc_u32_e32 v2, 0x38000000, v2
.LBB6_20750:                            ;   in Loop: Header=BB6_20616 Depth=2
	s_and_not1_saveexec_b32 s40, s40
; %bb.20751:                            ;   in Loop: Header=BB6_20616 Depth=2
	v_bfe_i32 v2, v11, 0, 8
	s_delay_alu instid0(VALU_DEP_1) | instskip(SKIP_2) | instid1(VALU_DEP_2)
	v_cmp_lt_i16_e32 vcc_lo, -1, v2
	v_cndmask_b32_e32 v2, 0xff800000, v29, vcc_lo
	v_cmp_eq_u32_e32 vcc_lo, 0, v3
	v_cndmask_b32_e32 v2, 0x7f800001, v2, vcc_lo
; %bb.20752:                            ;   in Loop: Header=BB6_20616 Depth=2
	s_or_b32 exec_lo, exec_lo, s40
.LBB6_20753:                            ;   in Loop: Header=BB6_20616 Depth=2
	s_delay_alu instid0(SALU_CYCLE_1)
	s_or_b32 exec_lo, exec_lo, s29
.LBB6_20754:                            ;   in Loop: Header=BB6_20616 Depth=2
	s_delay_alu instid0(SALU_CYCLE_1) | instskip(NEXT) | instid1(VALU_DEP_1)
	s_or_b32 exec_lo, exec_lo, s11
	v_dual_mul_f32 v4, s28, v2 :: v_dual_mov_b32 v19, v55
	s_delay_alu instid0(VALU_DEP_1) | instskip(SKIP_2) | instid1(VALU_DEP_2)
	v_dual_mov_b32 v3, v55 :: v_dual_lshrrev_b32 v5, 24, v4
	v_and_b32_e32 v18, 0x7f800000, v4
	v_and_b32_e32 v2, 0x7fffff, v4
	v_cmp_ne_u64_e32 vcc_lo, 0x7f800000, v[18:19]
                                        ; implicit-def: $vgpr18
	s_and_saveexec_b32 s11, vcc_lo
	s_delay_alu instid0(SALU_CYCLE_1)
	s_xor_b32 s29, exec_lo, s11
	s_cbranch_execz .LBB6_20768
; %bb.20755:                            ;   in Loop: Header=BB6_20616 Depth=2
	v_and_b32_e32 v18, 0x7fffffff, v4
	v_mov_b32_e32 v19, v55
	s_delay_alu instid0(VALU_DEP_1) | instskip(SKIP_2) | instid1(SALU_CYCLE_1)
	v_cmp_gt_u64_e32 vcc_lo, 0x47600001, v[18:19]
	v_and_b32_e32 v19, 0x80, v5
                                        ; implicit-def: $vgpr18
	s_and_saveexec_b32 s11, vcc_lo
	s_xor_b32 s40, exec_lo, s11
	s_cbranch_execz .LBB6_20765
; %bb.20756:                            ;   in Loop: Header=BB6_20616 Depth=2
	v_mov_b32_e32 v18, 0
	s_mov_b32 s41, exec_lo
	v_cmpx_ne_u32_e32 0, v4
	s_cbranch_execz .LBB6_20764
; %bb.20757:                            ;   in Loop: Header=BB6_20616 Depth=2
	v_bfe_u32 v18, v4, 23, 8
	v_or_b32_e32 v21, 0x800000, v2
	s_delay_alu instid0(VALU_DEP_2) | instskip(SKIP_1) | instid1(VALU_DEP_2)
	v_sub_nc_u32_e32 v4, 0x71, v18
	v_cmp_gt_u32_e32 vcc_lo, 0x72, v18
	v_cndmask_b32_e32 v4, 0, v4, vcc_lo
	v_cmp_eq_u32_e32 vcc_lo, 0, v18
	v_cndmask_b32_e32 v2, v21, v2, vcc_lo
	s_delay_alu instid0(VALU_DEP_3) | instskip(NEXT) | instid1(VALU_DEP_1)
	v_cndmask_b32_e64 v20, v4, 0x70, vcc_lo
	v_dual_add_nc_u32 v4, 21, v20 :: v_dual_add_nc_u32 v22, 20, v20
	s_delay_alu instid0(VALU_DEP_1) | instskip(NEXT) | instid1(VALU_DEP_2)
	v_lshlrev_b64_e64 v[4:5], v4, -1
	v_lshlrev_b64_e64 v[22:23], v22, 1
	s_delay_alu instid0(VALU_DEP_2) | instskip(SKIP_1) | instid1(VALU_DEP_4)
	v_bfi_b32 v4, v4, 0, v2
	v_lshrrev_b64 v[2:3], v20, v[2:3]
	v_bfi_b32 v5, v5, 0, 0
	s_delay_alu instid0(VALU_DEP_1) | instskip(NEXT) | instid1(VALU_DEP_3)
	v_cmp_eq_u64_e64 s11, v[4:5], v[22:23]
	v_mov_b64_e32 v[4:5], v[2:3]
	s_and_saveexec_b32 s42, s11
; %bb.20758:                            ;   in Loop: Header=BB6_20616 Depth=2
	v_bfe_u32 v4, v2, 21, 1
	v_mov_b32_e32 v5, v55
	s_delay_alu instid0(VALU_DEP_1) | instskip(NEXT) | instid1(VALU_DEP_1)
	v_add_nc_u64_e32 v[4:5], v[2:3], v[4:5]
	v_add_nc_u64_e32 v[4:5], -1, v[4:5]
; %bb.20759:                            ;   in Loop: Header=BB6_20616 Depth=2
	s_or_b32 exec_lo, exec_lo, s42
	v_add_nc_u32_e32 v3, 0xffffff81, v18
	v_lshrrev_b32_e32 v5, 23, v2
	s_mov_b32 s11, exec_lo
	s_delay_alu instid0(VALU_DEP_2) | instskip(NEXT) | instid1(VALU_DEP_1)
	v_cndmask_b32_e64 v3, v3, 0xffffff82, vcc_lo
	v_add3_u32 v5, v20, v3, v5
	v_and_b32_e32 v3, 0x1fffff, v4
                                        ; implicit-def: $vgpr4
	s_delay_alu instid0(VALU_DEP_1) | instskip(SKIP_1) | instid1(VALU_DEP_2)
	v_dual_add_nc_u32 v18, 14, v5 :: v_dual_add_nc_u32 v2, v3, v2
	v_mov_b32_e32 v3, v55
	v_cmpx_ne_u32_e32 0, v18
	s_xor_b32 s11, exec_lo, s11
; %bb.20760:                            ;   in Loop: Header=BB6_20616 Depth=2
	s_delay_alu instid0(VALU_DEP_2) | instskip(SKIP_2) | instid1(VALU_DEP_2)
	v_cmp_lt_u64_e32 vcc_lo, 0xffffff, v[2:3]
	v_add_nc_u32_e32 v4, 15, v5
	v_cndmask_b32_e64 v5, 0, 1, vcc_lo
	v_cndmask_b32_e32 v4, v18, v4, vcc_lo
	s_delay_alu instid0(VALU_DEP_2)
	v_lshrrev_b64 v[2:3], v5, v[2:3]
; %bb.20761:                            ;   in Loop: Header=BB6_20616 Depth=2
	s_and_not1_saveexec_b32 s11, s11
; %bb.20762:                            ;   in Loop: Header=BB6_20616 Depth=2
	s_delay_alu instid0(VALU_DEP_1)
	v_bfe_u32 v4, v2, 23, 1
; %bb.20763:                            ;   in Loop: Header=BB6_20616 Depth=2
	s_or_b32 exec_lo, exec_lo, s11
	s_delay_alu instid0(VALU_DEP_2) | instskip(NEXT) | instid1(VALU_DEP_2)
	v_lshrrev_b64 v[2:3], 21, v[2:3]
	v_cmp_gt_i32_e32 vcc_lo, 32, v4
	v_min_i32_e32 v5, 31, v4
	v_cmp_eq_u32_e64 s11, 0, v4
	s_delay_alu instid0(VALU_DEP_2) | instskip(SKIP_1) | instid1(VALU_DEP_2)
	v_dual_cndmask_b32 v3, 0, v3, vcc_lo :: v_dual_lshlrev_b32 v5, 2, v5
	v_cndmask_b32_e32 v2, 3, v2, vcc_lo
	v_and_b32_e32 v5, 0xfc, v5
	s_delay_alu instid0(VALU_DEP_2) | instskip(NEXT) | instid1(VALU_DEP_2)
	v_cmp_eq_u64_e32 vcc_lo, 0, v[2:3]
	v_and_or_b32 v2, v2, 3, v5
	s_and_b32 s11, s11, vcc_lo
	s_delay_alu instid0(VALU_DEP_1) | instid1(SALU_CYCLE_1)
	v_cndmask_b32_e64 v2, v2, 0, s11
	s_delay_alu instid0(VALU_DEP_1)
	v_or_b32_e32 v18, v2, v19
.LBB6_20764:                            ;   in Loop: Header=BB6_20616 Depth=2
	s_or_b32 exec_lo, exec_lo, s41
                                        ; implicit-def: $vgpr19
.LBB6_20765:                            ;   in Loop: Header=BB6_20616 Depth=2
	s_and_not1_saveexec_b32 s11, s40
; %bb.20766:                            ;   in Loop: Header=BB6_20616 Depth=2
	v_or_b32_e32 v18, 0x7b, v19
; %bb.20767:                            ;   in Loop: Header=BB6_20616 Depth=2
	s_or_b32 exec_lo, exec_lo, s11
                                        ; implicit-def: $vgpr4
                                        ; implicit-def: $vgpr2_vgpr3
                                        ; implicit-def: $vgpr5
.LBB6_20768:                            ;   in Loop: Header=BB6_20616 Depth=2
	s_and_not1_saveexec_b32 s11, s29
	s_cbranch_execz .LBB6_20774
; %bb.20769:                            ;   in Loop: Header=BB6_20616 Depth=2
	s_mov_b32 s29, exec_lo
                                        ; implicit-def: $vgpr18
	v_cmpx_ne_u64_e32 0, v[2:3]
	s_xor_b32 s29, exec_lo, s29
; %bb.20770:                            ;   in Loop: Header=BB6_20616 Depth=2
	v_or_b32_e32 v18, 0x7f, v5
                                        ; implicit-def: $vgpr4
; %bb.20771:                            ;   in Loop: Header=BB6_20616 Depth=2
	s_and_not1_saveexec_b32 s29, s29
; %bb.20772:                            ;   in Loop: Header=BB6_20616 Depth=2
	v_cmp_lt_i32_e32 vcc_lo, -1, v4
	v_cndmask_b32_e32 v18, 0xfc, v30, vcc_lo
; %bb.20773:                            ;   in Loop: Header=BB6_20616 Depth=2
	s_or_b32 exec_lo, exec_lo, s29
.LBB6_20774:                            ;   in Loop: Header=BB6_20616 Depth=2
	s_delay_alu instid0(SALU_CYCLE_1) | instskip(SKIP_3) | instid1(VALU_DEP_2)
	s_or_b32 exec_lo, exec_lo, s11
	v_lshrrev_b16 v2, 8, v54
	v_mov_b32_e32 v4, 0
	s_mov_b32 s11, exec_lo
	v_cmpx_ne_u16_e32 0, v2
	s_cbranch_execz .LBB6_20784
; %bb.20775:                            ;   in Loop: Header=BB6_20616 Depth=2
	v_bfrev_b32_e32 v4, 1
	s_mov_b32 s29, exec_lo
	v_cmpx_ne_u16_e32 0x80, v2
	s_cbranch_execz .LBB6_20783
; %bb.20776:                            ;   in Loop: Header=BB6_20616 Depth=2
	v_and_b32_e32 v5, 0xffff, v2
	s_delay_alu instid0(VALU_DEP_1) | instskip(SKIP_1) | instid1(VALU_DEP_2)
	v_and_b32_e32 v4, 0x7c, v5
	v_and_b32_e32 v3, 3, v5
	v_cmp_ne_u32_e32 vcc_lo, 0x7c, v4
                                        ; implicit-def: $vgpr4
	s_and_saveexec_b32 s40, vcc_lo
	s_delay_alu instid0(SALU_CYCLE_1)
	s_xor_b32 s40, exec_lo, s40
	s_cbranch_execz .LBB6_20780
; %bb.20777:                            ;   in Loop: Header=BB6_20616 Depth=2
	v_bfe_u32 v4, v5, 2, 5
	s_mov_b32 s41, exec_lo
	s_delay_alu instid0(VALU_DEP_1)
	v_cmpx_eq_u32_e32 0, v4
	s_cbranch_execz .LBB6_20779
; %bb.20778:                            ;   in Loop: Header=BB6_20616 Depth=2
	v_clz_i32_u32_e32 v3, v3
	s_delay_alu instid0(VALU_DEP_1) | instskip(SKIP_1) | instid1(VALU_DEP_2)
	v_min_u32_e32 v4, 32, v3
	v_mov_b32_e32 v3, v55
	v_subrev_nc_u32_e32 v5, 29, v4
	v_sub_nc_u32_e32 v4, 30, v4
	s_delay_alu instid0(VALU_DEP_2) | instskip(NEXT) | instid1(VALU_DEP_1)
	v_lshlrev_b64_e32 v[2:3], v5, v[2:3]
	v_and_b32_e32 v3, 3, v2
.LBB6_20779:                            ;   in Loop: Header=BB6_20616 Depth=2
	s_or_b32 exec_lo, exec_lo, s41
	v_lshlrev_b32_e32 v2, 16, v54
	s_delay_alu instid0(VALU_DEP_1) | instskip(NEXT) | instid1(VALU_DEP_1)
	v_and_b32_e32 v2, 0x80000000, v2
	v_lshl_add_u32 v2, v4, 23, v2
	s_delay_alu instid0(VALU_DEP_1) | instskip(NEXT) | instid1(VALU_DEP_1)
	v_lshl_or_b32 v2, v3, 21, v2
                                        ; implicit-def: $vgpr3
	v_add_nc_u32_e32 v4, 0x38000000, v2
.LBB6_20780:                            ;   in Loop: Header=BB6_20616 Depth=2
	s_and_not1_saveexec_b32 s40, s40
; %bb.20781:                            ;   in Loop: Header=BB6_20616 Depth=2
	v_cmp_lt_i16_e32 vcc_lo, -1, v54
	v_cndmask_b32_e32 v2, 0xff800000, v29, vcc_lo
	v_cmp_eq_u32_e32 vcc_lo, 0, v3
	s_delay_alu instid0(VALU_DEP_2)
	v_cndmask_b32_e32 v4, 0x7f800001, v2, vcc_lo
; %bb.20782:                            ;   in Loop: Header=BB6_20616 Depth=2
	s_or_b32 exec_lo, exec_lo, s40
.LBB6_20783:                            ;   in Loop: Header=BB6_20616 Depth=2
	s_delay_alu instid0(SALU_CYCLE_1)
	s_or_b32 exec_lo, exec_lo, s29
.LBB6_20784:                            ;   in Loop: Header=BB6_20616 Depth=2
	s_delay_alu instid0(SALU_CYCLE_1) | instskip(NEXT) | instid1(VALU_DEP_1)
	s_or_b32 exec_lo, exec_lo, s11
	v_dual_mul_f32 v2, s28, v4 :: v_dual_mov_b32 v5, v55
                                        ; implicit-def: $vgpr19
	s_mov_b32 s11, exec_lo
	s_delay_alu instid0(VALU_DEP_1) | instskip(SKIP_2) | instid1(VALU_DEP_3)
	v_and_b32_e32 v4, 0x7f800000, v2
	v_and_b32_e32 v54, 0x7fffff, v2
	v_lshrrev_b32_e32 v3, 24, v2
	v_cmpx_ne_u64_e32 0x7f800000, v[4:5]
	s_xor_b32 s29, exec_lo, s11
	s_cbranch_execz .LBB6_20798
; %bb.20785:                            ;   in Loop: Header=BB6_20616 Depth=2
	v_and_b32_e32 v4, 0x7fffffff, v2
	v_mov_b32_e32 v5, v55
	v_and_b32_e32 v20, 0x80, v3
                                        ; implicit-def: $vgpr19
	s_mov_b32 s11, exec_lo
	s_delay_alu instid0(VALU_DEP_2)
	v_cmpx_gt_u64_e32 0x47600001, v[4:5]
	s_xor_b32 s40, exec_lo, s11
	s_cbranch_execz .LBB6_20795
; %bb.20786:                            ;   in Loop: Header=BB6_20616 Depth=2
	v_mov_b32_e32 v19, 0
	s_mov_b32 s41, exec_lo
	v_cmpx_ne_u32_e32 0, v2
	s_cbranch_execz .LBB6_20794
; %bb.20787:                            ;   in Loop: Header=BB6_20616 Depth=2
	v_bfe_u32 v19, v2, 23, 8
	v_or_b32_e32 v4, 0x800000, v54
	s_mov_b32 s42, exec_lo
	s_delay_alu instid0(VALU_DEP_2) | instskip(SKIP_1) | instid1(VALU_DEP_2)
	v_dual_mov_b32 v5, v55 :: v_dual_sub_nc_u32 v2, 0x71, v19
	v_cmp_gt_u32_e32 vcc_lo, 0x72, v19
	v_cndmask_b32_e32 v2, 0, v2, vcc_lo
	v_cmp_eq_u32_e32 vcc_lo, 0, v19
	s_delay_alu instid0(VALU_DEP_2) | instskip(NEXT) | instid1(VALU_DEP_1)
	v_cndmask_b32_e64 v21, v2, 0x70, vcc_lo
	v_dual_cndmask_b32 v4, v4, v54, vcc_lo :: v_dual_add_nc_u32 v2, 21, v21
	v_add_nc_u32_e32 v22, 20, v21
	s_delay_alu instid0(VALU_DEP_2) | instskip(NEXT) | instid1(VALU_DEP_2)
	v_lshlrev_b64_e64 v[2:3], v2, -1
	v_lshlrev_b64_e64 v[22:23], v22, 1
	s_delay_alu instid0(VALU_DEP_2) | instskip(NEXT) | instid1(VALU_DEP_3)
	v_bfi_b32 v25, v3, 0, 0
	v_bfi_b32 v24, v2, 0, v4
	v_lshrrev_b64 v[2:3], v21, v[4:5]
	s_delay_alu instid0(VALU_DEP_1) | instskip(NEXT) | instid1(VALU_DEP_3)
	v_mov_b64_e32 v[4:5], v[2:3]
	v_cmpx_eq_u64_e64 v[24:25], v[22:23]
; %bb.20788:                            ;   in Loop: Header=BB6_20616 Depth=2
	v_bfe_u32 v4, v2, 21, 1
	v_mov_b32_e32 v5, v55
	s_delay_alu instid0(VALU_DEP_1) | instskip(NEXT) | instid1(VALU_DEP_1)
	v_add_nc_u64_e32 v[4:5], v[2:3], v[4:5]
	v_add_nc_u64_e32 v[4:5], -1, v[4:5]
; %bb.20789:                            ;   in Loop: Header=BB6_20616 Depth=2
	s_or_b32 exec_lo, exec_lo, s42
	v_add_nc_u32_e32 v3, 0xffffff81, v19
	s_delay_alu instid0(VALU_DEP_2) | instskip(SKIP_2) | instid1(VALU_DEP_3)
	v_and_b32_e32 v4, 0x1fffff, v4
	v_lshrrev_b32_e32 v5, 23, v2
	s_mov_b32 s11, exec_lo
	v_cndmask_b32_e64 v3, v3, 0xffffff82, vcc_lo
	s_delay_alu instid0(VALU_DEP_3) | instskip(NEXT) | instid1(VALU_DEP_2)
	v_add_nc_u32_e32 v54, v4, v2
                                        ; implicit-def: $vgpr4
	v_add3_u32 v5, v21, v3, v5
                                        ; implicit-def: $vgpr2_vgpr3
	s_delay_alu instid0(VALU_DEP_1) | instskip(NEXT) | instid1(VALU_DEP_1)
	v_add_nc_u32_e32 v19, 14, v5
	v_cmpx_ne_u32_e32 0, v19
	s_xor_b32 s11, exec_lo, s11
; %bb.20790:                            ;   in Loop: Header=BB6_20616 Depth=2
	v_cmp_lt_u64_e32 vcc_lo, 0xffffff, v[54:55]
	v_add_nc_u32_e32 v2, 15, v5
	s_delay_alu instid0(VALU_DEP_1) | instskip(SKIP_1) | instid1(VALU_DEP_1)
	v_cndmask_b32_e32 v4, v19, v2, vcc_lo
	v_cndmask_b32_e64 v2, 0, 1, vcc_lo
	v_lshrrev_b64 v[2:3], v2, v[54:55]
; %bb.20791:                            ;   in Loop: Header=BB6_20616 Depth=2
	s_and_not1_saveexec_b32 s11, s11
; %bb.20792:                            ;   in Loop: Header=BB6_20616 Depth=2
	v_mov_b64_e32 v[2:3], v[54:55]
	v_bfe_u32 v4, v54, 23, 1
; %bb.20793:                            ;   in Loop: Header=BB6_20616 Depth=2
	s_or_b32 exec_lo, exec_lo, s11
	s_delay_alu instid0(VALU_DEP_2) | instskip(NEXT) | instid1(VALU_DEP_2)
	v_lshrrev_b64 v[2:3], 21, v[2:3]
	v_cmp_gt_i32_e32 vcc_lo, 32, v4
	v_min_i32_e32 v5, 31, v4
	v_cmp_eq_u32_e64 s11, 0, v4
	s_delay_alu instid0(VALU_DEP_2) | instskip(SKIP_1) | instid1(VALU_DEP_2)
	v_dual_cndmask_b32 v3, 0, v3, vcc_lo :: v_dual_lshlrev_b32 v5, 2, v5
	v_cndmask_b32_e32 v2, 3, v2, vcc_lo
	v_and_b32_e32 v5, 0xfc, v5
	s_delay_alu instid0(VALU_DEP_2) | instskip(NEXT) | instid1(VALU_DEP_2)
	v_cmp_eq_u64_e32 vcc_lo, 0, v[2:3]
	v_and_or_b32 v2, v2, 3, v5
	s_and_b32 s11, s11, vcc_lo
	s_delay_alu instid0(VALU_DEP_1) | instid1(SALU_CYCLE_1)
	v_cndmask_b32_e64 v2, v2, 0, s11
	s_delay_alu instid0(VALU_DEP_1)
	v_or_b32_e32 v19, v2, v20
.LBB6_20794:                            ;   in Loop: Header=BB6_20616 Depth=2
	s_or_b32 exec_lo, exec_lo, s41
                                        ; implicit-def: $vgpr20
.LBB6_20795:                            ;   in Loop: Header=BB6_20616 Depth=2
	s_and_not1_saveexec_b32 s11, s40
; %bb.20796:                            ;   in Loop: Header=BB6_20616 Depth=2
	v_or_b32_e32 v19, 0x7b, v20
; %bb.20797:                            ;   in Loop: Header=BB6_20616 Depth=2
	s_or_b32 exec_lo, exec_lo, s11
                                        ; implicit-def: $vgpr2
                                        ; implicit-def: $vgpr3
.LBB6_20798:                            ;   in Loop: Header=BB6_20616 Depth=2
	s_and_not1_saveexec_b32 s11, s29
	s_cbranch_execz .LBB6_20804
; %bb.20799:                            ;   in Loop: Header=BB6_20616 Depth=2
	s_mov_b32 s29, exec_lo
                                        ; implicit-def: $vgpr19
	v_cmpx_ne_u64_e32 0, v[54:55]
	s_xor_b32 s29, exec_lo, s29
; %bb.20800:                            ;   in Loop: Header=BB6_20616 Depth=2
	v_or_b32_e32 v19, 0x7f, v3
                                        ; implicit-def: $vgpr2
; %bb.20801:                            ;   in Loop: Header=BB6_20616 Depth=2
	s_and_not1_saveexec_b32 s29, s29
; %bb.20802:                            ;   in Loop: Header=BB6_20616 Depth=2
	v_cmp_lt_i32_e32 vcc_lo, -1, v2
	v_cndmask_b32_e32 v19, 0xfc, v30, vcc_lo
; %bb.20803:                            ;   in Loop: Header=BB6_20616 Depth=2
	s_or_b32 exec_lo, exec_lo, s29
.LBB6_20804:                            ;   in Loop: Header=BB6_20616 Depth=2
	s_delay_alu instid0(SALU_CYCLE_1) | instskip(SKIP_2) | instid1(VALU_DEP_1)
	s_or_b32 exec_lo, exec_lo, s11
	v_dual_mov_b32 v3, 0 :: v_dual_lshrrev_b32 v2, 16, v11
	s_mov_b32 s11, exec_lo
	v_and_b32_e32 v4, 0xff, v2
	s_delay_alu instid0(VALU_DEP_1)
	v_cmpx_ne_u16_e32 0, v4
	s_cbranch_execz .LBB6_20814
; %bb.20805:                            ;   in Loop: Header=BB6_20616 Depth=2
	v_bfrev_b32_e32 v3, 1
	s_mov_b32 s29, exec_lo
	v_cmpx_ne_u16_e32 0x80, v4
	s_cbranch_execz .LBB6_20813
; %bb.20806:                            ;   in Loop: Header=BB6_20616 Depth=2
	v_and_b32_e32 v3, 0x7c0000, v11
	v_bfe_u32 v4, v11, 16, 2
	s_delay_alu instid0(VALU_DEP_2) | instskip(SKIP_1) | instid1(SALU_CYCLE_1)
	v_cmp_ne_u32_e32 vcc_lo, 0x7c0000, v3
                                        ; implicit-def: $vgpr3
	s_and_saveexec_b32 s40, vcc_lo
	s_xor_b32 s40, exec_lo, s40
	s_cbranch_execz .LBB6_20810
; %bb.20807:                            ;   in Loop: Header=BB6_20616 Depth=2
	v_bfe_u32 v3, v11, 18, 5
	s_mov_b32 s41, exec_lo
	s_delay_alu instid0(VALU_DEP_1)
	v_cmpx_eq_u32_e32 0, v3
; %bb.20808:                            ;   in Loop: Header=BB6_20616 Depth=2
	v_clz_i32_u32_e32 v3, v4
	s_delay_alu instid0(VALU_DEP_1) | instskip(NEXT) | instid1(VALU_DEP_1)
	v_min_u32_e32 v3, 32, v3
	v_subrev_nc_u32_e32 v4, 29, v3
	s_delay_alu instid0(VALU_DEP_1) | instskip(NEXT) | instid1(VALU_DEP_1)
	v_lshlrev_b64_e32 v[4:5], v4, v[2:3]
	v_dual_sub_nc_u32 v3, 30, v3 :: v_dual_bitop2_b32 v4, 3, v4 bitop3:0x40
; %bb.20809:                            ;   in Loop: Header=BB6_20616 Depth=2
	s_or_b32 exec_lo, exec_lo, s41
	v_lshlrev_b32_e32 v2, 24, v2
	s_delay_alu instid0(VALU_DEP_1) | instskip(NEXT) | instid1(VALU_DEP_1)
	v_and_b32_e32 v2, 0x80000000, v2
	v_lshl_add_u32 v2, v3, 23, v2
	s_delay_alu instid0(VALU_DEP_1) | instskip(NEXT) | instid1(VALU_DEP_1)
	v_lshl_or_b32 v2, v4, 21, v2
                                        ; implicit-def: $vgpr4
	v_add_nc_u32_e32 v3, 0x38000000, v2
                                        ; implicit-def: $vgpr2
.LBB6_20810:                            ;   in Loop: Header=BB6_20616 Depth=2
	s_and_not1_saveexec_b32 s40, s40
; %bb.20811:                            ;   in Loop: Header=BB6_20616 Depth=2
	v_bfe_i32 v2, v2, 0, 8
	s_delay_alu instid0(VALU_DEP_1) | instskip(SKIP_2) | instid1(VALU_DEP_2)
	v_cmp_lt_i16_e32 vcc_lo, -1, v2
	v_cndmask_b32_e32 v2, 0xff800000, v29, vcc_lo
	v_cmp_eq_u32_e32 vcc_lo, 0, v4
	v_cndmask_b32_e32 v3, 0x7f800001, v2, vcc_lo
; %bb.20812:                            ;   in Loop: Header=BB6_20616 Depth=2
	s_or_b32 exec_lo, exec_lo, s40
.LBB6_20813:                            ;   in Loop: Header=BB6_20616 Depth=2
	s_delay_alu instid0(SALU_CYCLE_1)
	s_or_b32 exec_lo, exec_lo, s29
.LBB6_20814:                            ;   in Loop: Header=BB6_20616 Depth=2
	s_delay_alu instid0(SALU_CYCLE_1) | instskip(NEXT) | instid1(VALU_DEP_1)
	s_or_b32 exec_lo, exec_lo, s11
	v_dual_mul_f32 v2, s28, v3 :: v_dual_mov_b32 v5, v55
                                        ; implicit-def: $vgpr20
	s_mov_b32 s11, exec_lo
	s_delay_alu instid0(VALU_DEP_1) | instskip(SKIP_2) | instid1(VALU_DEP_3)
	v_and_b32_e32 v4, 0x7f800000, v2
	v_and_b32_e32 v54, 0x7fffff, v2
	v_lshrrev_b32_e32 v3, 24, v2
	v_cmpx_ne_u64_e32 0x7f800000, v[4:5]
	s_xor_b32 s29, exec_lo, s11
	s_cbranch_execz .LBB6_20828
; %bb.20815:                            ;   in Loop: Header=BB6_20616 Depth=2
	v_and_b32_e32 v4, 0x7fffffff, v2
	v_mov_b32_e32 v5, v55
	v_and_b32_e32 v21, 0x80, v3
                                        ; implicit-def: $vgpr20
	s_mov_b32 s11, exec_lo
	s_delay_alu instid0(VALU_DEP_2)
	v_cmpx_gt_u64_e32 0x47600001, v[4:5]
	s_xor_b32 s40, exec_lo, s11
	s_cbranch_execz .LBB6_20825
; %bb.20816:                            ;   in Loop: Header=BB6_20616 Depth=2
	v_mov_b32_e32 v20, 0
	s_mov_b32 s41, exec_lo
	v_cmpx_ne_u32_e32 0, v2
	s_cbranch_execz .LBB6_20824
; %bb.20817:                            ;   in Loop: Header=BB6_20616 Depth=2
	v_bfe_u32 v20, v2, 23, 8
	v_or_b32_e32 v4, 0x800000, v54
	s_mov_b32 s42, exec_lo
	s_delay_alu instid0(VALU_DEP_2) | instskip(SKIP_1) | instid1(VALU_DEP_2)
	v_dual_mov_b32 v5, v55 :: v_dual_sub_nc_u32 v2, 0x71, v20
	v_cmp_gt_u32_e32 vcc_lo, 0x72, v20
	v_cndmask_b32_e32 v2, 0, v2, vcc_lo
	v_cmp_eq_u32_e32 vcc_lo, 0, v20
	s_delay_alu instid0(VALU_DEP_2) | instskip(SKIP_1) | instid1(VALU_DEP_2)
	v_cndmask_b32_e64 v22, v2, 0x70, vcc_lo
	v_cndmask_b32_e32 v4, v4, v54, vcc_lo
	v_dual_add_nc_u32 v2, 21, v22 :: v_dual_add_nc_u32 v23, 20, v22
	s_delay_alu instid0(VALU_DEP_1) | instskip(NEXT) | instid1(VALU_DEP_2)
	v_lshlrev_b64_e64 v[2:3], v2, -1
	v_lshlrev_b64_e64 v[24:25], v23, 1
	s_delay_alu instid0(VALU_DEP_2) | instskip(NEXT) | instid1(VALU_DEP_3)
	v_bfi_b32 v27, v3, 0, 0
	v_bfi_b32 v26, v2, 0, v4
	v_lshrrev_b64 v[2:3], v22, v[4:5]
	s_delay_alu instid0(VALU_DEP_1) | instskip(NEXT) | instid1(VALU_DEP_3)
	v_mov_b64_e32 v[4:5], v[2:3]
	v_cmpx_eq_u64_e64 v[26:27], v[24:25]
; %bb.20818:                            ;   in Loop: Header=BB6_20616 Depth=2
	v_bfe_u32 v4, v2, 21, 1
	v_mov_b32_e32 v5, v55
	s_delay_alu instid0(VALU_DEP_1) | instskip(NEXT) | instid1(VALU_DEP_1)
	v_add_nc_u64_e32 v[4:5], v[2:3], v[4:5]
	v_add_nc_u64_e32 v[4:5], -1, v[4:5]
; %bb.20819:                            ;   in Loop: Header=BB6_20616 Depth=2
	s_or_b32 exec_lo, exec_lo, s42
	v_add_nc_u32_e32 v3, 0xffffff81, v20
	s_delay_alu instid0(VALU_DEP_2) | instskip(SKIP_2) | instid1(VALU_DEP_3)
	v_and_b32_e32 v4, 0x1fffff, v4
	v_lshrrev_b32_e32 v5, 23, v2
	s_mov_b32 s11, exec_lo
	v_cndmask_b32_e64 v3, v3, 0xffffff82, vcc_lo
	s_delay_alu instid0(VALU_DEP_3) | instskip(NEXT) | instid1(VALU_DEP_2)
	v_add_nc_u32_e32 v54, v4, v2
                                        ; implicit-def: $vgpr4
	v_add3_u32 v5, v22, v3, v5
                                        ; implicit-def: $vgpr2_vgpr3
	s_delay_alu instid0(VALU_DEP_1) | instskip(NEXT) | instid1(VALU_DEP_1)
	v_add_nc_u32_e32 v20, 14, v5
	v_cmpx_ne_u32_e32 0, v20
	s_xor_b32 s11, exec_lo, s11
; %bb.20820:                            ;   in Loop: Header=BB6_20616 Depth=2
	v_cmp_lt_u64_e32 vcc_lo, 0xffffff, v[54:55]
	v_add_nc_u32_e32 v2, 15, v5
	s_delay_alu instid0(VALU_DEP_1) | instskip(SKIP_1) | instid1(VALU_DEP_1)
	v_cndmask_b32_e32 v4, v20, v2, vcc_lo
	v_cndmask_b32_e64 v2, 0, 1, vcc_lo
	v_lshrrev_b64 v[2:3], v2, v[54:55]
; %bb.20821:                            ;   in Loop: Header=BB6_20616 Depth=2
	s_and_not1_saveexec_b32 s11, s11
; %bb.20822:                            ;   in Loop: Header=BB6_20616 Depth=2
	v_mov_b64_e32 v[2:3], v[54:55]
	v_bfe_u32 v4, v54, 23, 1
; %bb.20823:                            ;   in Loop: Header=BB6_20616 Depth=2
	s_or_b32 exec_lo, exec_lo, s11
	s_delay_alu instid0(VALU_DEP_2) | instskip(NEXT) | instid1(VALU_DEP_2)
	v_lshrrev_b64 v[2:3], 21, v[2:3]
	v_cmp_gt_i32_e32 vcc_lo, 32, v4
	v_min_i32_e32 v5, 31, v4
	v_cmp_eq_u32_e64 s11, 0, v4
	s_delay_alu instid0(VALU_DEP_2) | instskip(SKIP_1) | instid1(VALU_DEP_2)
	v_dual_cndmask_b32 v3, 0, v3, vcc_lo :: v_dual_lshlrev_b32 v5, 2, v5
	v_cndmask_b32_e32 v2, 3, v2, vcc_lo
	v_and_b32_e32 v5, 0xfc, v5
	s_delay_alu instid0(VALU_DEP_2) | instskip(NEXT) | instid1(VALU_DEP_2)
	v_cmp_eq_u64_e32 vcc_lo, 0, v[2:3]
	v_and_or_b32 v2, v2, 3, v5
	s_and_b32 s11, s11, vcc_lo
	s_delay_alu instid0(VALU_DEP_1) | instid1(SALU_CYCLE_1)
	v_cndmask_b32_e64 v2, v2, 0, s11
	s_delay_alu instid0(VALU_DEP_1)
	v_or_b32_e32 v20, v2, v21
.LBB6_20824:                            ;   in Loop: Header=BB6_20616 Depth=2
	s_or_b32 exec_lo, exec_lo, s41
                                        ; implicit-def: $vgpr21
.LBB6_20825:                            ;   in Loop: Header=BB6_20616 Depth=2
	s_and_not1_saveexec_b32 s11, s40
; %bb.20826:                            ;   in Loop: Header=BB6_20616 Depth=2
	v_or_b32_e32 v20, 0x7b, v21
; %bb.20827:                            ;   in Loop: Header=BB6_20616 Depth=2
	s_or_b32 exec_lo, exec_lo, s11
                                        ; implicit-def: $vgpr2
                                        ; implicit-def: $vgpr3
.LBB6_20828:                            ;   in Loop: Header=BB6_20616 Depth=2
	s_and_not1_saveexec_b32 s11, s29
	s_cbranch_execz .LBB6_20834
; %bb.20829:                            ;   in Loop: Header=BB6_20616 Depth=2
	s_mov_b32 s29, exec_lo
                                        ; implicit-def: $vgpr20
	v_cmpx_ne_u64_e32 0, v[54:55]
	s_xor_b32 s29, exec_lo, s29
; %bb.20830:                            ;   in Loop: Header=BB6_20616 Depth=2
	v_or_b32_e32 v20, 0x7f, v3
                                        ; implicit-def: $vgpr2
; %bb.20831:                            ;   in Loop: Header=BB6_20616 Depth=2
	s_and_not1_saveexec_b32 s29, s29
; %bb.20832:                            ;   in Loop: Header=BB6_20616 Depth=2
	v_cmp_lt_i32_e32 vcc_lo, -1, v2
	v_cndmask_b32_e32 v20, 0xfc, v30, vcc_lo
; %bb.20833:                            ;   in Loop: Header=BB6_20616 Depth=2
	s_or_b32 exec_lo, exec_lo, s29
.LBB6_20834:                            ;   in Loop: Header=BB6_20616 Depth=2
	s_delay_alu instid0(SALU_CYCLE_1)
	s_or_b32 exec_lo, exec_lo, s11
	v_mov_b32_e32 v3, 0
	s_mov_b32 s11, exec_lo
	v_cmpx_lt_u64_e64 s[12:13], v[10:11]
	s_cbranch_execz .LBB6_20844
; %bb.20835:                            ;   in Loop: Header=BB6_20616 Depth=2
	v_lshrrev_b32_e32 v2, 24, v11
	v_bfrev_b32_e32 v3, 1
	s_mov_b32 s29, exec_lo
	s_delay_alu instid0(VALU_DEP_2)
	v_cmpx_ne_u32_e32 0x80, v2
	s_cbranch_execz .LBB6_20843
; %bb.20836:                            ;   in Loop: Header=BB6_20616 Depth=2
	v_and_b32_e32 v3, 0x7c000000, v11
	v_bfe_u32 v4, v11, 24, 2
	s_delay_alu instid0(VALU_DEP_2) | instskip(SKIP_1) | instid1(SALU_CYCLE_1)
	v_cmp_ne_u32_e32 vcc_lo, 0x7c000000, v3
                                        ; implicit-def: $vgpr3
	s_and_saveexec_b32 s40, vcc_lo
	s_xor_b32 s40, exec_lo, s40
	s_cbranch_execz .LBB6_20840
; %bb.20837:                            ;   in Loop: Header=BB6_20616 Depth=2
	v_bfe_u32 v3, v11, 26, 5
	s_mov_b32 s41, exec_lo
	s_delay_alu instid0(VALU_DEP_1)
	v_cmpx_eq_u32_e32 0, v3
; %bb.20838:                            ;   in Loop: Header=BB6_20616 Depth=2
	v_clz_i32_u32_e32 v3, v4
	s_delay_alu instid0(VALU_DEP_1) | instskip(NEXT) | instid1(VALU_DEP_1)
	v_min_u32_e32 v4, 32, v3
	v_subrev_nc_u32_e32 v3, 29, v4
	s_delay_alu instid0(VALU_DEP_1) | instskip(NEXT) | instid1(VALU_DEP_1)
	v_lshlrev_b64_e32 v[2:3], v3, v[2:3]
	v_dual_sub_nc_u32 v3, 30, v4 :: v_dual_bitop2_b32 v4, 3, v2 bitop3:0x40
; %bb.20839:                            ;   in Loop: Header=BB6_20616 Depth=2
	s_or_b32 exec_lo, exec_lo, s41
	v_and_b32_e32 v2, 0x80000000, v11
	s_delay_alu instid0(VALU_DEP_1) | instskip(NEXT) | instid1(VALU_DEP_1)
	v_lshl_add_u32 v2, v3, 23, v2
	v_lshl_or_b32 v2, v4, 21, v2
                                        ; implicit-def: $vgpr4
	s_delay_alu instid0(VALU_DEP_1)
	v_add_nc_u32_e32 v3, 0x38000000, v2
.LBB6_20840:                            ;   in Loop: Header=BB6_20616 Depth=2
	s_and_not1_saveexec_b32 s40, s40
; %bb.20841:                            ;   in Loop: Header=BB6_20616 Depth=2
	v_cmp_lt_i64_e32 vcc_lo, -1, v[10:11]
	v_cndmask_b32_e32 v2, 0xff800000, v29, vcc_lo
	v_cmp_eq_u32_e32 vcc_lo, 0, v4
	s_delay_alu instid0(VALU_DEP_2)
	v_cndmask_b32_e32 v3, 0x7f800001, v2, vcc_lo
; %bb.20842:                            ;   in Loop: Header=BB6_20616 Depth=2
	s_or_b32 exec_lo, exec_lo, s40
.LBB6_20843:                            ;   in Loop: Header=BB6_20616 Depth=2
	s_delay_alu instid0(SALU_CYCLE_1)
	s_or_b32 exec_lo, exec_lo, s29
.LBB6_20844:                            ;   in Loop: Header=BB6_20616 Depth=2
	s_delay_alu instid0(SALU_CYCLE_1) | instskip(NEXT) | instid1(VALU_DEP_1)
	s_or_b32 exec_lo, exec_lo, s11
	v_dual_mul_f32 v2, s28, v3 :: v_dual_mov_b32 v5, v55
                                        ; implicit-def: $vgpr10
	s_mov_b32 s11, exec_lo
	s_delay_alu instid0(VALU_DEP_1) | instskip(SKIP_2) | instid1(VALU_DEP_3)
	v_and_b32_e32 v4, 0x7f800000, v2
	v_and_b32_e32 v54, 0x7fffff, v2
	v_lshrrev_b32_e32 v3, 24, v2
	v_cmpx_ne_u64_e32 0x7f800000, v[4:5]
	s_xor_b32 s29, exec_lo, s11
	s_cbranch_execz .LBB6_20858
; %bb.20845:                            ;   in Loop: Header=BB6_20616 Depth=2
	v_and_b32_e32 v4, 0x7fffffff, v2
	v_mov_b32_e32 v5, v55
	v_and_b32_e32 v11, 0x80, v3
                                        ; implicit-def: $vgpr10
	s_mov_b32 s11, exec_lo
	s_delay_alu instid0(VALU_DEP_2)
	v_cmpx_gt_u64_e32 0x47600001, v[4:5]
	s_xor_b32 s40, exec_lo, s11
	s_cbranch_execz .LBB6_20855
; %bb.20846:                            ;   in Loop: Header=BB6_20616 Depth=2
	v_mov_b32_e32 v10, 0
	s_mov_b32 s41, exec_lo
	v_cmpx_ne_u32_e32 0, v2
	s_cbranch_execz .LBB6_20854
; %bb.20847:                            ;   in Loop: Header=BB6_20616 Depth=2
	v_bfe_u32 v10, v2, 23, 8
	v_or_b32_e32 v4, 0x800000, v54
	s_mov_b32 s42, exec_lo
	s_delay_alu instid0(VALU_DEP_2) | instskip(SKIP_1) | instid1(VALU_DEP_2)
	v_dual_mov_b32 v5, v55 :: v_dual_sub_nc_u32 v2, 0x71, v10
	v_cmp_gt_u32_e32 vcc_lo, 0x72, v10
	v_cndmask_b32_e32 v2, 0, v2, vcc_lo
	v_cmp_eq_u32_e32 vcc_lo, 0, v10
	s_delay_alu instid0(VALU_DEP_2) | instskip(NEXT) | instid1(VALU_DEP_1)
	v_cndmask_b32_e64 v21, v2, 0x70, vcc_lo
	v_dual_cndmask_b32 v4, v4, v54, vcc_lo :: v_dual_add_nc_u32 v2, 21, v21
	v_add_nc_u32_e32 v22, 20, v21
	s_delay_alu instid0(VALU_DEP_2) | instskip(NEXT) | instid1(VALU_DEP_2)
	v_lshlrev_b64_e64 v[2:3], v2, -1
	v_lshlrev_b64_e64 v[22:23], v22, 1
	s_delay_alu instid0(VALU_DEP_2) | instskip(NEXT) | instid1(VALU_DEP_3)
	v_bfi_b32 v25, v3, 0, 0
	v_bfi_b32 v24, v2, 0, v4
	v_lshrrev_b64 v[2:3], v21, v[4:5]
	s_delay_alu instid0(VALU_DEP_1) | instskip(NEXT) | instid1(VALU_DEP_3)
	v_mov_b64_e32 v[4:5], v[2:3]
	v_cmpx_eq_u64_e64 v[24:25], v[22:23]
; %bb.20848:                            ;   in Loop: Header=BB6_20616 Depth=2
	v_bfe_u32 v4, v2, 21, 1
	v_mov_b32_e32 v5, v55
	s_delay_alu instid0(VALU_DEP_1) | instskip(NEXT) | instid1(VALU_DEP_1)
	v_add_nc_u64_e32 v[4:5], v[2:3], v[4:5]
	v_add_nc_u64_e32 v[4:5], -1, v[4:5]
; %bb.20849:                            ;   in Loop: Header=BB6_20616 Depth=2
	s_or_b32 exec_lo, exec_lo, s42
	v_add_nc_u32_e32 v3, 0xffffff81, v10
	s_delay_alu instid0(VALU_DEP_2) | instskip(SKIP_2) | instid1(VALU_DEP_3)
	v_and_b32_e32 v4, 0x1fffff, v4
	v_lshrrev_b32_e32 v5, 23, v2
	s_mov_b32 s11, exec_lo
	v_cndmask_b32_e64 v3, v3, 0xffffff82, vcc_lo
	s_delay_alu instid0(VALU_DEP_3) | instskip(NEXT) | instid1(VALU_DEP_2)
	v_add_nc_u32_e32 v54, v4, v2
                                        ; implicit-def: $vgpr4
	v_add3_u32 v5, v21, v3, v5
                                        ; implicit-def: $vgpr2_vgpr3
	s_delay_alu instid0(VALU_DEP_1) | instskip(NEXT) | instid1(VALU_DEP_1)
	v_add_nc_u32_e32 v10, 14, v5
	v_cmpx_ne_u32_e32 0, v10
	s_xor_b32 s11, exec_lo, s11
; %bb.20850:                            ;   in Loop: Header=BB6_20616 Depth=2
	v_cmp_lt_u64_e32 vcc_lo, 0xffffff, v[54:55]
	v_add_nc_u32_e32 v2, 15, v5
	s_delay_alu instid0(VALU_DEP_1) | instskip(SKIP_1) | instid1(VALU_DEP_1)
	v_cndmask_b32_e32 v4, v10, v2, vcc_lo
	v_cndmask_b32_e64 v2, 0, 1, vcc_lo
	v_lshrrev_b64 v[2:3], v2, v[54:55]
; %bb.20851:                            ;   in Loop: Header=BB6_20616 Depth=2
	s_and_not1_saveexec_b32 s11, s11
; %bb.20852:                            ;   in Loop: Header=BB6_20616 Depth=2
	v_mov_b64_e32 v[2:3], v[54:55]
	v_bfe_u32 v4, v54, 23, 1
; %bb.20853:                            ;   in Loop: Header=BB6_20616 Depth=2
	s_or_b32 exec_lo, exec_lo, s11
	s_delay_alu instid0(VALU_DEP_2) | instskip(NEXT) | instid1(VALU_DEP_2)
	v_lshrrev_b64 v[2:3], 21, v[2:3]
	v_cmp_gt_i32_e32 vcc_lo, 32, v4
	v_min_i32_e32 v5, 31, v4
	v_cmp_eq_u32_e64 s11, 0, v4
	s_delay_alu instid0(VALU_DEP_2) | instskip(SKIP_1) | instid1(VALU_DEP_2)
	v_dual_cndmask_b32 v3, 0, v3, vcc_lo :: v_dual_lshlrev_b32 v5, 2, v5
	v_cndmask_b32_e32 v2, 3, v2, vcc_lo
	v_and_b32_e32 v5, 0xfc, v5
	s_delay_alu instid0(VALU_DEP_2) | instskip(NEXT) | instid1(VALU_DEP_2)
	v_cmp_eq_u64_e32 vcc_lo, 0, v[2:3]
	v_and_or_b32 v2, v2, 3, v5
	s_and_b32 s11, s11, vcc_lo
	s_delay_alu instid0(VALU_DEP_1) | instid1(SALU_CYCLE_1)
	v_cndmask_b32_e64 v2, v2, 0, s11
	s_delay_alu instid0(VALU_DEP_1)
	v_or_b32_e32 v10, v2, v11
.LBB6_20854:                            ;   in Loop: Header=BB6_20616 Depth=2
	s_or_b32 exec_lo, exec_lo, s41
                                        ; implicit-def: $vgpr11
.LBB6_20855:                            ;   in Loop: Header=BB6_20616 Depth=2
	s_and_not1_saveexec_b32 s11, s40
; %bb.20856:                            ;   in Loop: Header=BB6_20616 Depth=2
	v_or_b32_e32 v10, 0x7b, v11
; %bb.20857:                            ;   in Loop: Header=BB6_20616 Depth=2
	s_or_b32 exec_lo, exec_lo, s11
                                        ; implicit-def: $vgpr2
                                        ; implicit-def: $vgpr3
.LBB6_20858:                            ;   in Loop: Header=BB6_20616 Depth=2
	s_and_not1_saveexec_b32 s11, s29
	s_cbranch_execz .LBB6_20864
; %bb.20859:                            ;   in Loop: Header=BB6_20616 Depth=2
	s_mov_b32 s29, exec_lo
                                        ; implicit-def: $vgpr10
	v_cmpx_ne_u64_e32 0, v[54:55]
	s_xor_b32 s29, exec_lo, s29
; %bb.20860:                            ;   in Loop: Header=BB6_20616 Depth=2
	v_or_b32_e32 v10, 0x7f, v3
                                        ; implicit-def: $vgpr2
; %bb.20861:                            ;   in Loop: Header=BB6_20616 Depth=2
	s_and_not1_saveexec_b32 s29, s29
; %bb.20862:                            ;   in Loop: Header=BB6_20616 Depth=2
	v_cmp_lt_i32_e32 vcc_lo, -1, v2
	v_cndmask_b32_e32 v10, 0xfc, v30, vcc_lo
; %bb.20863:                            ;   in Loop: Header=BB6_20616 Depth=2
	s_or_b32 exec_lo, exec_lo, s29
.LBB6_20864:                            ;   in Loop: Header=BB6_20616 Depth=2
	s_delay_alu instid0(SALU_CYCLE_1) | instskip(SKIP_1) | instid1(VALU_DEP_1)
	s_or_b32 exec_lo, exec_lo, s11
	v_and_b32_e32 v2, 0xff, v12
	v_cmp_ne_u16_e32 vcc_lo, 0, v2
	v_mov_b32_e32 v2, 0
	s_and_saveexec_b32 s11, vcc_lo
	s_cbranch_execz .LBB6_20874
; %bb.20865:                            ;   in Loop: Header=BB6_20616 Depth=2
	v_bfe_i32 v4, v12, 0, 8
	v_bfrev_b32_e32 v2, 1
	s_mov_b32 s29, exec_lo
	s_delay_alu instid0(VALU_DEP_2)
	v_cmpx_ne_u16_e32 0xff80, v4
	s_cbranch_execz .LBB6_20873
; %bb.20866:                            ;   in Loop: Header=BB6_20616 Depth=2
	v_and_b32_e32 v2, 0x7c, v12
	v_and_b32_e32 v3, 3, v12
	s_delay_alu instid0(VALU_DEP_2) | instskip(SKIP_1) | instid1(SALU_CYCLE_1)
	v_cmp_ne_u32_e32 vcc_lo, 0x7c, v2
                                        ; implicit-def: $vgpr2
	s_and_saveexec_b32 s40, vcc_lo
	s_xor_b32 s40, exec_lo, s40
	s_cbranch_execz .LBB6_20870
; %bb.20867:                            ;   in Loop: Header=BB6_20616 Depth=2
	v_bfe_u32 v2, v12, 2, 5
	s_mov_b32 s41, exec_lo
	s_delay_alu instid0(VALU_DEP_1)
	v_cmpx_eq_u32_e32 0, v2
; %bb.20868:                            ;   in Loop: Header=BB6_20616 Depth=2
	v_clz_i32_u32_e32 v2, v3
	s_delay_alu instid0(VALU_DEP_1) | instskip(NEXT) | instid1(VALU_DEP_1)
	v_min_u32_e32 v2, 32, v2
	v_subrev_nc_u32_e32 v3, 29, v2
	s_delay_alu instid0(VALU_DEP_1) | instskip(NEXT) | instid1(VALU_DEP_1)
	v_lshlrev_b64_e32 v[4:5], v3, v[12:13]
	v_dual_sub_nc_u32 v2, 30, v2 :: v_dual_bitop2_b32 v3, 3, v4 bitop3:0x40
; %bb.20869:                            ;   in Loop: Header=BB6_20616 Depth=2
	s_or_b32 exec_lo, exec_lo, s41
	v_lshlrev_b32_e32 v4, 24, v12
	s_delay_alu instid0(VALU_DEP_1) | instskip(NEXT) | instid1(VALU_DEP_1)
	v_and_b32_e32 v4, 0x80000000, v4
	v_lshl_add_u32 v2, v2, 23, v4
                                        ; implicit-def: $vgpr4
	s_delay_alu instid0(VALU_DEP_1) | instskip(NEXT) | instid1(VALU_DEP_1)
	v_lshl_or_b32 v2, v3, 21, v2
                                        ; implicit-def: $vgpr3
	v_add_nc_u32_e32 v2, 0x38000000, v2
.LBB6_20870:                            ;   in Loop: Header=BB6_20616 Depth=2
	s_and_not1_saveexec_b32 s40, s40
; %bb.20871:                            ;   in Loop: Header=BB6_20616 Depth=2
	v_cmp_lt_i16_e32 vcc_lo, -1, v4
	v_cndmask_b32_e32 v2, 0xff800000, v29, vcc_lo
	v_cmp_eq_u32_e32 vcc_lo, 0, v3
	s_delay_alu instid0(VALU_DEP_2)
	v_cndmask_b32_e32 v2, 0x7f800001, v2, vcc_lo
; %bb.20872:                            ;   in Loop: Header=BB6_20616 Depth=2
	s_or_b32 exec_lo, exec_lo, s40
.LBB6_20873:                            ;   in Loop: Header=BB6_20616 Depth=2
	s_delay_alu instid0(SALU_CYCLE_1)
	s_or_b32 exec_lo, exec_lo, s29
.LBB6_20874:                            ;   in Loop: Header=BB6_20616 Depth=2
	s_delay_alu instid0(SALU_CYCLE_1) | instskip(NEXT) | instid1(VALU_DEP_1)
	s_or_b32 exec_lo, exec_lo, s11
	v_dual_mul_f32 v2, s28, v2 :: v_dual_mov_b32 v5, v55
                                        ; implicit-def: $vgpr11
	s_mov_b32 s11, exec_lo
	s_delay_alu instid0(VALU_DEP_1) | instskip(SKIP_2) | instid1(VALU_DEP_3)
	v_and_b32_e32 v4, 0x7f800000, v2
	v_and_b32_e32 v54, 0x7fffff, v2
	v_lshrrev_b32_e32 v3, 24, v2
	v_cmpx_ne_u64_e32 0x7f800000, v[4:5]
	s_xor_b32 s29, exec_lo, s11
	s_cbranch_execz .LBB6_20888
; %bb.20875:                            ;   in Loop: Header=BB6_20616 Depth=2
	v_and_b32_e32 v4, 0x7fffffff, v2
	v_mov_b32_e32 v5, v55
	v_and_b32_e32 v21, 0x80, v3
                                        ; implicit-def: $vgpr11
	s_mov_b32 s11, exec_lo
	s_delay_alu instid0(VALU_DEP_2)
	v_cmpx_gt_u64_e32 0x47600001, v[4:5]
	s_xor_b32 s40, exec_lo, s11
	s_cbranch_execz .LBB6_20885
; %bb.20876:                            ;   in Loop: Header=BB6_20616 Depth=2
	v_mov_b32_e32 v11, 0
	s_mov_b32 s41, exec_lo
	v_cmpx_ne_u32_e32 0, v2
	s_cbranch_execz .LBB6_20884
; %bb.20877:                            ;   in Loop: Header=BB6_20616 Depth=2
	v_bfe_u32 v11, v2, 23, 8
	v_or_b32_e32 v4, 0x800000, v54
	s_mov_b32 s42, exec_lo
	s_delay_alu instid0(VALU_DEP_2) | instskip(SKIP_1) | instid1(VALU_DEP_2)
	v_dual_mov_b32 v5, v55 :: v_dual_sub_nc_u32 v2, 0x71, v11
	v_cmp_gt_u32_e32 vcc_lo, 0x72, v11
	v_cndmask_b32_e32 v2, 0, v2, vcc_lo
	v_cmp_eq_u32_e32 vcc_lo, 0, v11
	s_delay_alu instid0(VALU_DEP_2) | instskip(SKIP_1) | instid1(VALU_DEP_2)
	v_cndmask_b32_e64 v22, v2, 0x70, vcc_lo
	v_cndmask_b32_e32 v4, v4, v54, vcc_lo
	v_dual_add_nc_u32 v2, 21, v22 :: v_dual_add_nc_u32 v23, 20, v22
	s_delay_alu instid0(VALU_DEP_1) | instskip(NEXT) | instid1(VALU_DEP_2)
	v_lshlrev_b64_e64 v[2:3], v2, -1
	v_lshlrev_b64_e64 v[24:25], v23, 1
	s_delay_alu instid0(VALU_DEP_2) | instskip(NEXT) | instid1(VALU_DEP_3)
	v_bfi_b32 v27, v3, 0, 0
	v_bfi_b32 v26, v2, 0, v4
	v_lshrrev_b64 v[2:3], v22, v[4:5]
	s_delay_alu instid0(VALU_DEP_1) | instskip(NEXT) | instid1(VALU_DEP_3)
	v_mov_b64_e32 v[4:5], v[2:3]
	v_cmpx_eq_u64_e64 v[26:27], v[24:25]
; %bb.20878:                            ;   in Loop: Header=BB6_20616 Depth=2
	v_bfe_u32 v4, v2, 21, 1
	v_mov_b32_e32 v5, v55
	s_delay_alu instid0(VALU_DEP_1) | instskip(NEXT) | instid1(VALU_DEP_1)
	v_add_nc_u64_e32 v[4:5], v[2:3], v[4:5]
	v_add_nc_u64_e32 v[4:5], -1, v[4:5]
; %bb.20879:                            ;   in Loop: Header=BB6_20616 Depth=2
	s_or_b32 exec_lo, exec_lo, s42
	v_add_nc_u32_e32 v3, 0xffffff81, v11
	s_delay_alu instid0(VALU_DEP_2) | instskip(SKIP_2) | instid1(VALU_DEP_3)
	v_and_b32_e32 v4, 0x1fffff, v4
	v_lshrrev_b32_e32 v5, 23, v2
	s_mov_b32 s11, exec_lo
	v_cndmask_b32_e64 v3, v3, 0xffffff82, vcc_lo
	s_delay_alu instid0(VALU_DEP_3) | instskip(NEXT) | instid1(VALU_DEP_2)
	v_add_nc_u32_e32 v54, v4, v2
                                        ; implicit-def: $vgpr4
	v_add3_u32 v5, v22, v3, v5
                                        ; implicit-def: $vgpr2_vgpr3
	s_delay_alu instid0(VALU_DEP_1) | instskip(NEXT) | instid1(VALU_DEP_1)
	v_add_nc_u32_e32 v11, 14, v5
	v_cmpx_ne_u32_e32 0, v11
	s_xor_b32 s11, exec_lo, s11
; %bb.20880:                            ;   in Loop: Header=BB6_20616 Depth=2
	v_cmp_lt_u64_e32 vcc_lo, 0xffffff, v[54:55]
	v_add_nc_u32_e32 v2, 15, v5
	s_delay_alu instid0(VALU_DEP_1) | instskip(SKIP_1) | instid1(VALU_DEP_1)
	v_cndmask_b32_e32 v4, v11, v2, vcc_lo
	v_cndmask_b32_e64 v2, 0, 1, vcc_lo
	v_lshrrev_b64 v[2:3], v2, v[54:55]
; %bb.20881:                            ;   in Loop: Header=BB6_20616 Depth=2
	s_and_not1_saveexec_b32 s11, s11
; %bb.20882:                            ;   in Loop: Header=BB6_20616 Depth=2
	v_mov_b64_e32 v[2:3], v[54:55]
	v_bfe_u32 v4, v54, 23, 1
; %bb.20883:                            ;   in Loop: Header=BB6_20616 Depth=2
	s_or_b32 exec_lo, exec_lo, s11
	s_delay_alu instid0(VALU_DEP_2) | instskip(NEXT) | instid1(VALU_DEP_2)
	v_lshrrev_b64 v[2:3], 21, v[2:3]
	v_cmp_gt_i32_e32 vcc_lo, 32, v4
	v_min_i32_e32 v5, 31, v4
	v_cmp_eq_u32_e64 s11, 0, v4
	s_delay_alu instid0(VALU_DEP_2) | instskip(SKIP_1) | instid1(VALU_DEP_2)
	v_dual_cndmask_b32 v3, 0, v3, vcc_lo :: v_dual_lshlrev_b32 v5, 2, v5
	v_cndmask_b32_e32 v2, 3, v2, vcc_lo
	v_and_b32_e32 v5, 0xfc, v5
	s_delay_alu instid0(VALU_DEP_2) | instskip(NEXT) | instid1(VALU_DEP_2)
	v_cmp_eq_u64_e32 vcc_lo, 0, v[2:3]
	v_and_or_b32 v2, v2, 3, v5
	s_and_b32 s11, s11, vcc_lo
	s_delay_alu instid0(VALU_DEP_1) | instid1(SALU_CYCLE_1)
	v_cndmask_b32_e64 v2, v2, 0, s11
	s_delay_alu instid0(VALU_DEP_1)
	v_or_b32_e32 v11, v2, v21
.LBB6_20884:                            ;   in Loop: Header=BB6_20616 Depth=2
	s_or_b32 exec_lo, exec_lo, s41
                                        ; implicit-def: $vgpr21
.LBB6_20885:                            ;   in Loop: Header=BB6_20616 Depth=2
	s_and_not1_saveexec_b32 s11, s40
; %bb.20886:                            ;   in Loop: Header=BB6_20616 Depth=2
	v_or_b32_e32 v11, 0x7b, v21
; %bb.20887:                            ;   in Loop: Header=BB6_20616 Depth=2
	s_or_b32 exec_lo, exec_lo, s11
                                        ; implicit-def: $vgpr2
                                        ; implicit-def: $vgpr3
.LBB6_20888:                            ;   in Loop: Header=BB6_20616 Depth=2
	s_and_not1_saveexec_b32 s11, s29
	s_cbranch_execz .LBB6_20894
; %bb.20889:                            ;   in Loop: Header=BB6_20616 Depth=2
	s_mov_b32 s29, exec_lo
                                        ; implicit-def: $vgpr11
	v_cmpx_ne_u64_e32 0, v[54:55]
	s_xor_b32 s29, exec_lo, s29
; %bb.20890:                            ;   in Loop: Header=BB6_20616 Depth=2
	v_or_b32_e32 v11, 0x7f, v3
                                        ; implicit-def: $vgpr2
; %bb.20891:                            ;   in Loop: Header=BB6_20616 Depth=2
	s_and_not1_saveexec_b32 s29, s29
; %bb.20892:                            ;   in Loop: Header=BB6_20616 Depth=2
	v_cmp_lt_i32_e32 vcc_lo, -1, v2
	v_cndmask_b32_e32 v11, 0xfc, v30, vcc_lo
; %bb.20893:                            ;   in Loop: Header=BB6_20616 Depth=2
	s_or_b32 exec_lo, exec_lo, s29
.LBB6_20894:                            ;   in Loop: Header=BB6_20616 Depth=2
	s_delay_alu instid0(SALU_CYCLE_1) | instskip(SKIP_3) | instid1(VALU_DEP_2)
	s_or_b32 exec_lo, exec_lo, s11
	v_lshrrev_b16 v2, 8, v12
	v_mov_b32_e32 v4, 0
	s_mov_b32 s11, exec_lo
	v_cmpx_ne_u16_e32 0, v2
	s_cbranch_execz .LBB6_20904
; %bb.20895:                            ;   in Loop: Header=BB6_20616 Depth=2
	v_bfrev_b32_e32 v4, 1
	s_mov_b32 s29, exec_lo
	v_cmpx_ne_u16_e32 0x80, v2
	s_cbranch_execz .LBB6_20903
; %bb.20896:                            ;   in Loop: Header=BB6_20616 Depth=2
	v_and_b32_e32 v5, 0xffff, v2
	s_delay_alu instid0(VALU_DEP_1) | instskip(SKIP_1) | instid1(VALU_DEP_2)
	v_and_b32_e32 v4, 0x7c, v5
	v_and_b32_e32 v3, 3, v5
	v_cmp_ne_u32_e32 vcc_lo, 0x7c, v4
                                        ; implicit-def: $vgpr4
	s_and_saveexec_b32 s40, vcc_lo
	s_delay_alu instid0(SALU_CYCLE_1)
	s_xor_b32 s40, exec_lo, s40
	s_cbranch_execz .LBB6_20900
; %bb.20897:                            ;   in Loop: Header=BB6_20616 Depth=2
	v_bfe_u32 v4, v5, 2, 5
	s_mov_b32 s41, exec_lo
	s_delay_alu instid0(VALU_DEP_1)
	v_cmpx_eq_u32_e32 0, v4
	s_cbranch_execz .LBB6_20899
; %bb.20898:                            ;   in Loop: Header=BB6_20616 Depth=2
	v_clz_i32_u32_e32 v3, v3
	s_delay_alu instid0(VALU_DEP_1) | instskip(SKIP_1) | instid1(VALU_DEP_2)
	v_min_u32_e32 v4, 32, v3
	v_mov_b32_e32 v3, v55
	v_subrev_nc_u32_e32 v5, 29, v4
	v_sub_nc_u32_e32 v4, 30, v4
	s_delay_alu instid0(VALU_DEP_2) | instskip(NEXT) | instid1(VALU_DEP_1)
	v_lshlrev_b64_e32 v[2:3], v5, v[2:3]
	v_and_b32_e32 v3, 3, v2
.LBB6_20899:                            ;   in Loop: Header=BB6_20616 Depth=2
	s_or_b32 exec_lo, exec_lo, s41
	v_lshlrev_b32_e32 v2, 16, v12
	s_delay_alu instid0(VALU_DEP_1) | instskip(NEXT) | instid1(VALU_DEP_1)
	v_and_b32_e32 v2, 0x80000000, v2
	v_lshl_add_u32 v2, v4, 23, v2
	s_delay_alu instid0(VALU_DEP_1) | instskip(NEXT) | instid1(VALU_DEP_1)
	v_lshl_or_b32 v2, v3, 21, v2
                                        ; implicit-def: $vgpr3
	v_add_nc_u32_e32 v4, 0x38000000, v2
.LBB6_20900:                            ;   in Loop: Header=BB6_20616 Depth=2
	s_and_not1_saveexec_b32 s40, s40
; %bb.20901:                            ;   in Loop: Header=BB6_20616 Depth=2
	v_cmp_lt_i16_e32 vcc_lo, -1, v12
	v_cndmask_b32_e32 v2, 0xff800000, v29, vcc_lo
	v_cmp_eq_u32_e32 vcc_lo, 0, v3
	s_delay_alu instid0(VALU_DEP_2)
	v_cndmask_b32_e32 v4, 0x7f800001, v2, vcc_lo
; %bb.20902:                            ;   in Loop: Header=BB6_20616 Depth=2
	s_or_b32 exec_lo, exec_lo, s40
.LBB6_20903:                            ;   in Loop: Header=BB6_20616 Depth=2
	s_delay_alu instid0(SALU_CYCLE_1)
	s_or_b32 exec_lo, exec_lo, s29
.LBB6_20904:                            ;   in Loop: Header=BB6_20616 Depth=2
	s_delay_alu instid0(SALU_CYCLE_1) | instskip(NEXT) | instid1(VALU_DEP_1)
	s_or_b32 exec_lo, exec_lo, s11
	v_dual_mul_f32 v2, s28, v4 :: v_dual_mov_b32 v5, v55
                                        ; implicit-def: $vgpr21
	s_mov_b32 s11, exec_lo
	s_delay_alu instid0(VALU_DEP_1) | instskip(SKIP_2) | instid1(VALU_DEP_3)
	v_and_b32_e32 v4, 0x7f800000, v2
	v_and_b32_e32 v54, 0x7fffff, v2
	v_lshrrev_b32_e32 v3, 24, v2
	v_cmpx_ne_u64_e32 0x7f800000, v[4:5]
	s_xor_b32 s29, exec_lo, s11
	s_cbranch_execz .LBB6_20918
; %bb.20905:                            ;   in Loop: Header=BB6_20616 Depth=2
	v_and_b32_e32 v4, 0x7fffffff, v2
	v_mov_b32_e32 v5, v55
	v_and_b32_e32 v22, 0x80, v3
                                        ; implicit-def: $vgpr21
	s_mov_b32 s11, exec_lo
	s_delay_alu instid0(VALU_DEP_2)
	v_cmpx_gt_u64_e32 0x47600001, v[4:5]
	s_xor_b32 s40, exec_lo, s11
	s_cbranch_execz .LBB6_20915
; %bb.20906:                            ;   in Loop: Header=BB6_20616 Depth=2
	v_mov_b32_e32 v21, 0
	s_mov_b32 s41, exec_lo
	v_cmpx_ne_u32_e32 0, v2
	s_cbranch_execz .LBB6_20914
; %bb.20907:                            ;   in Loop: Header=BB6_20616 Depth=2
	v_bfe_u32 v21, v2, 23, 8
	v_or_b32_e32 v4, 0x800000, v54
	s_mov_b32 s42, exec_lo
	s_delay_alu instid0(VALU_DEP_2) | instskip(SKIP_1) | instid1(VALU_DEP_2)
	v_dual_mov_b32 v5, v55 :: v_dual_sub_nc_u32 v2, 0x71, v21
	v_cmp_gt_u32_e32 vcc_lo, 0x72, v21
	v_cndmask_b32_e32 v2, 0, v2, vcc_lo
	v_cmp_eq_u32_e32 vcc_lo, 0, v21
	s_delay_alu instid0(VALU_DEP_2) | instskip(NEXT) | instid1(VALU_DEP_1)
	v_cndmask_b32_e64 v23, v2, 0x70, vcc_lo
	v_dual_cndmask_b32 v4, v4, v54, vcc_lo :: v_dual_add_nc_u32 v2, 21, v23
	v_add_nc_u32_e32 v24, 20, v23
	s_delay_alu instid0(VALU_DEP_2) | instskip(NEXT) | instid1(VALU_DEP_2)
	v_lshlrev_b64_e64 v[2:3], v2, -1
	v_lshlrev_b64_e64 v[24:25], v24, 1
	s_delay_alu instid0(VALU_DEP_2) | instskip(NEXT) | instid1(VALU_DEP_3)
	v_bfi_b32 v27, v3, 0, 0
	v_bfi_b32 v26, v2, 0, v4
	v_lshrrev_b64 v[2:3], v23, v[4:5]
	s_delay_alu instid0(VALU_DEP_1) | instskip(NEXT) | instid1(VALU_DEP_3)
	v_mov_b64_e32 v[4:5], v[2:3]
	v_cmpx_eq_u64_e64 v[26:27], v[24:25]
; %bb.20908:                            ;   in Loop: Header=BB6_20616 Depth=2
	v_bfe_u32 v4, v2, 21, 1
	v_mov_b32_e32 v5, v55
	s_delay_alu instid0(VALU_DEP_1) | instskip(NEXT) | instid1(VALU_DEP_1)
	v_add_nc_u64_e32 v[4:5], v[2:3], v[4:5]
	v_add_nc_u64_e32 v[4:5], -1, v[4:5]
; %bb.20909:                            ;   in Loop: Header=BB6_20616 Depth=2
	s_or_b32 exec_lo, exec_lo, s42
	v_add_nc_u32_e32 v3, 0xffffff81, v21
	s_delay_alu instid0(VALU_DEP_2) | instskip(SKIP_2) | instid1(VALU_DEP_3)
	v_and_b32_e32 v4, 0x1fffff, v4
	v_lshrrev_b32_e32 v5, 23, v2
	s_mov_b32 s11, exec_lo
	v_cndmask_b32_e64 v3, v3, 0xffffff82, vcc_lo
	s_delay_alu instid0(VALU_DEP_3) | instskip(NEXT) | instid1(VALU_DEP_2)
	v_add_nc_u32_e32 v54, v4, v2
                                        ; implicit-def: $vgpr4
	v_add3_u32 v5, v23, v3, v5
                                        ; implicit-def: $vgpr2_vgpr3
	s_delay_alu instid0(VALU_DEP_1) | instskip(NEXT) | instid1(VALU_DEP_1)
	v_add_nc_u32_e32 v21, 14, v5
	v_cmpx_ne_u32_e32 0, v21
	s_xor_b32 s11, exec_lo, s11
; %bb.20910:                            ;   in Loop: Header=BB6_20616 Depth=2
	v_cmp_lt_u64_e32 vcc_lo, 0xffffff, v[54:55]
	v_add_nc_u32_e32 v2, 15, v5
	s_delay_alu instid0(VALU_DEP_1) | instskip(SKIP_1) | instid1(VALU_DEP_1)
	v_cndmask_b32_e32 v4, v21, v2, vcc_lo
	v_cndmask_b32_e64 v2, 0, 1, vcc_lo
	v_lshrrev_b64 v[2:3], v2, v[54:55]
; %bb.20911:                            ;   in Loop: Header=BB6_20616 Depth=2
	s_and_not1_saveexec_b32 s11, s11
; %bb.20912:                            ;   in Loop: Header=BB6_20616 Depth=2
	v_mov_b64_e32 v[2:3], v[54:55]
	v_bfe_u32 v4, v54, 23, 1
; %bb.20913:                            ;   in Loop: Header=BB6_20616 Depth=2
	s_or_b32 exec_lo, exec_lo, s11
	s_delay_alu instid0(VALU_DEP_2) | instskip(NEXT) | instid1(VALU_DEP_2)
	v_lshrrev_b64 v[2:3], 21, v[2:3]
	v_cmp_gt_i32_e32 vcc_lo, 32, v4
	v_min_i32_e32 v5, 31, v4
	v_cmp_eq_u32_e64 s11, 0, v4
	s_delay_alu instid0(VALU_DEP_2) | instskip(SKIP_1) | instid1(VALU_DEP_2)
	v_dual_cndmask_b32 v3, 0, v3, vcc_lo :: v_dual_lshlrev_b32 v5, 2, v5
	v_cndmask_b32_e32 v2, 3, v2, vcc_lo
	v_and_b32_e32 v5, 0xfc, v5
	s_delay_alu instid0(VALU_DEP_2) | instskip(NEXT) | instid1(VALU_DEP_2)
	v_cmp_eq_u64_e32 vcc_lo, 0, v[2:3]
	v_and_or_b32 v2, v2, 3, v5
	s_and_b32 s11, s11, vcc_lo
	s_delay_alu instid0(VALU_DEP_1) | instid1(SALU_CYCLE_1)
	v_cndmask_b32_e64 v2, v2, 0, s11
	s_delay_alu instid0(VALU_DEP_1)
	v_or_b32_e32 v21, v2, v22
.LBB6_20914:                            ;   in Loop: Header=BB6_20616 Depth=2
	s_or_b32 exec_lo, exec_lo, s41
                                        ; implicit-def: $vgpr22
.LBB6_20915:                            ;   in Loop: Header=BB6_20616 Depth=2
	s_and_not1_saveexec_b32 s11, s40
; %bb.20916:                            ;   in Loop: Header=BB6_20616 Depth=2
	v_or_b32_e32 v21, 0x7b, v22
; %bb.20917:                            ;   in Loop: Header=BB6_20616 Depth=2
	s_or_b32 exec_lo, exec_lo, s11
                                        ; implicit-def: $vgpr2
                                        ; implicit-def: $vgpr3
.LBB6_20918:                            ;   in Loop: Header=BB6_20616 Depth=2
	s_and_not1_saveexec_b32 s11, s29
	s_cbranch_execz .LBB6_20924
; %bb.20919:                            ;   in Loop: Header=BB6_20616 Depth=2
	s_mov_b32 s29, exec_lo
                                        ; implicit-def: $vgpr21
	v_cmpx_ne_u64_e32 0, v[54:55]
	s_xor_b32 s29, exec_lo, s29
; %bb.20920:                            ;   in Loop: Header=BB6_20616 Depth=2
	v_or_b32_e32 v21, 0x7f, v3
                                        ; implicit-def: $vgpr2
; %bb.20921:                            ;   in Loop: Header=BB6_20616 Depth=2
	s_and_not1_saveexec_b32 s29, s29
; %bb.20922:                            ;   in Loop: Header=BB6_20616 Depth=2
	v_cmp_lt_i32_e32 vcc_lo, -1, v2
	v_cndmask_b32_e32 v21, 0xfc, v30, vcc_lo
; %bb.20923:                            ;   in Loop: Header=BB6_20616 Depth=2
	s_or_b32 exec_lo, exec_lo, s29
.LBB6_20924:                            ;   in Loop: Header=BB6_20616 Depth=2
	s_delay_alu instid0(SALU_CYCLE_1) | instskip(SKIP_2) | instid1(VALU_DEP_1)
	s_or_b32 exec_lo, exec_lo, s11
	v_dual_mov_b32 v3, 0 :: v_dual_lshrrev_b32 v2, 16, v12
	s_mov_b32 s11, exec_lo
	v_and_b32_e32 v4, 0xff, v2
	s_delay_alu instid0(VALU_DEP_1)
	v_cmpx_ne_u16_e32 0, v4
	s_cbranch_execz .LBB6_20934
; %bb.20925:                            ;   in Loop: Header=BB6_20616 Depth=2
	v_bfrev_b32_e32 v3, 1
	s_mov_b32 s29, exec_lo
	v_cmpx_ne_u16_e32 0x80, v4
	s_cbranch_execz .LBB6_20933
; %bb.20926:                            ;   in Loop: Header=BB6_20616 Depth=2
	v_and_b32_e32 v3, 0x7c0000, v12
	v_bfe_u32 v4, v12, 16, 2
	s_delay_alu instid0(VALU_DEP_2) | instskip(SKIP_1) | instid1(SALU_CYCLE_1)
	v_cmp_ne_u32_e32 vcc_lo, 0x7c0000, v3
                                        ; implicit-def: $vgpr3
	s_and_saveexec_b32 s40, vcc_lo
	s_xor_b32 s40, exec_lo, s40
	s_cbranch_execz .LBB6_20930
; %bb.20927:                            ;   in Loop: Header=BB6_20616 Depth=2
	v_bfe_u32 v3, v12, 18, 5
	s_mov_b32 s41, exec_lo
	s_delay_alu instid0(VALU_DEP_1)
	v_cmpx_eq_u32_e32 0, v3
; %bb.20928:                            ;   in Loop: Header=BB6_20616 Depth=2
	v_clz_i32_u32_e32 v3, v4
	s_delay_alu instid0(VALU_DEP_1) | instskip(NEXT) | instid1(VALU_DEP_1)
	v_min_u32_e32 v3, 32, v3
	v_subrev_nc_u32_e32 v4, 29, v3
	s_delay_alu instid0(VALU_DEP_1) | instskip(NEXT) | instid1(VALU_DEP_1)
	v_lshlrev_b64_e32 v[4:5], v4, v[2:3]
	v_dual_sub_nc_u32 v3, 30, v3 :: v_dual_bitop2_b32 v4, 3, v4 bitop3:0x40
; %bb.20929:                            ;   in Loop: Header=BB6_20616 Depth=2
	s_or_b32 exec_lo, exec_lo, s41
	v_lshlrev_b32_e32 v2, 24, v2
	s_delay_alu instid0(VALU_DEP_1) | instskip(NEXT) | instid1(VALU_DEP_1)
	v_and_b32_e32 v2, 0x80000000, v2
	v_lshl_add_u32 v2, v3, 23, v2
	s_delay_alu instid0(VALU_DEP_1) | instskip(NEXT) | instid1(VALU_DEP_1)
	v_lshl_or_b32 v2, v4, 21, v2
                                        ; implicit-def: $vgpr4
	v_add_nc_u32_e32 v3, 0x38000000, v2
                                        ; implicit-def: $vgpr2
.LBB6_20930:                            ;   in Loop: Header=BB6_20616 Depth=2
	s_and_not1_saveexec_b32 s40, s40
; %bb.20931:                            ;   in Loop: Header=BB6_20616 Depth=2
	v_bfe_i32 v2, v2, 0, 8
	s_delay_alu instid0(VALU_DEP_1) | instskip(SKIP_2) | instid1(VALU_DEP_2)
	v_cmp_lt_i16_e32 vcc_lo, -1, v2
	v_cndmask_b32_e32 v2, 0xff800000, v29, vcc_lo
	v_cmp_eq_u32_e32 vcc_lo, 0, v4
	v_cndmask_b32_e32 v3, 0x7f800001, v2, vcc_lo
; %bb.20932:                            ;   in Loop: Header=BB6_20616 Depth=2
	s_or_b32 exec_lo, exec_lo, s40
.LBB6_20933:                            ;   in Loop: Header=BB6_20616 Depth=2
	s_delay_alu instid0(SALU_CYCLE_1)
	s_or_b32 exec_lo, exec_lo, s29
.LBB6_20934:                            ;   in Loop: Header=BB6_20616 Depth=2
	s_delay_alu instid0(SALU_CYCLE_1) | instskip(NEXT) | instid1(VALU_DEP_1)
	s_or_b32 exec_lo, exec_lo, s11
	v_dual_mul_f32 v2, s28, v3 :: v_dual_mov_b32 v5, v55
                                        ; implicit-def: $vgpr22
	s_mov_b32 s11, exec_lo
	s_delay_alu instid0(VALU_DEP_1) | instskip(SKIP_2) | instid1(VALU_DEP_3)
	v_and_b32_e32 v4, 0x7f800000, v2
	v_and_b32_e32 v54, 0x7fffff, v2
	v_lshrrev_b32_e32 v3, 24, v2
	v_cmpx_ne_u64_e32 0x7f800000, v[4:5]
	s_xor_b32 s29, exec_lo, s11
	s_cbranch_execz .LBB6_20948
; %bb.20935:                            ;   in Loop: Header=BB6_20616 Depth=2
	v_and_b32_e32 v4, 0x7fffffff, v2
	v_mov_b32_e32 v5, v55
	v_and_b32_e32 v23, 0x80, v3
                                        ; implicit-def: $vgpr22
	s_mov_b32 s11, exec_lo
	s_delay_alu instid0(VALU_DEP_2)
	v_cmpx_gt_u64_e32 0x47600001, v[4:5]
	s_xor_b32 s40, exec_lo, s11
	s_cbranch_execz .LBB6_20945
; %bb.20936:                            ;   in Loop: Header=BB6_20616 Depth=2
	v_mov_b32_e32 v22, 0
	s_mov_b32 s41, exec_lo
	v_cmpx_ne_u32_e32 0, v2
	s_cbranch_execz .LBB6_20944
; %bb.20937:                            ;   in Loop: Header=BB6_20616 Depth=2
	v_bfe_u32 v22, v2, 23, 8
	v_or_b32_e32 v4, 0x800000, v54
	s_mov_b32 s42, exec_lo
	s_delay_alu instid0(VALU_DEP_2) | instskip(SKIP_1) | instid1(VALU_DEP_2)
	v_dual_mov_b32 v5, v55 :: v_dual_sub_nc_u32 v2, 0x71, v22
	v_cmp_gt_u32_e32 vcc_lo, 0x72, v22
	v_cndmask_b32_e32 v2, 0, v2, vcc_lo
	v_cmp_eq_u32_e32 vcc_lo, 0, v22
	s_delay_alu instid0(VALU_DEP_2) | instskip(NEXT) | instid1(VALU_DEP_1)
	v_cndmask_b32_e64 v24, v2, 0x70, vcc_lo
	v_dual_cndmask_b32 v4, v4, v54, vcc_lo :: v_dual_add_nc_u32 v2, 21, v24
	v_add_nc_u32_e32 v25, 20, v24
	s_delay_alu instid0(VALU_DEP_2) | instskip(NEXT) | instid1(VALU_DEP_2)
	v_lshlrev_b64_e64 v[2:3], v2, -1
	v_lshlrev_b64_e64 v[26:27], v25, 1
	s_delay_alu instid0(VALU_DEP_2) | instskip(NEXT) | instid1(VALU_DEP_3)
	v_bfi_b32 v33, v3, 0, 0
	v_bfi_b32 v32, v2, 0, v4
	v_lshrrev_b64 v[2:3], v24, v[4:5]
	s_delay_alu instid0(VALU_DEP_1) | instskip(NEXT) | instid1(VALU_DEP_3)
	v_mov_b64_e32 v[4:5], v[2:3]
	v_cmpx_eq_u64_e64 v[32:33], v[26:27]
; %bb.20938:                            ;   in Loop: Header=BB6_20616 Depth=2
	v_bfe_u32 v4, v2, 21, 1
	v_mov_b32_e32 v5, v55
	s_delay_alu instid0(VALU_DEP_1) | instskip(NEXT) | instid1(VALU_DEP_1)
	v_add_nc_u64_e32 v[4:5], v[2:3], v[4:5]
	v_add_nc_u64_e32 v[4:5], -1, v[4:5]
; %bb.20939:                            ;   in Loop: Header=BB6_20616 Depth=2
	s_or_b32 exec_lo, exec_lo, s42
	v_add_nc_u32_e32 v3, 0xffffff81, v22
	s_delay_alu instid0(VALU_DEP_2) | instskip(SKIP_2) | instid1(VALU_DEP_3)
	v_and_b32_e32 v4, 0x1fffff, v4
	v_lshrrev_b32_e32 v5, 23, v2
	s_mov_b32 s11, exec_lo
	v_cndmask_b32_e64 v3, v3, 0xffffff82, vcc_lo
	s_delay_alu instid0(VALU_DEP_3) | instskip(NEXT) | instid1(VALU_DEP_2)
	v_add_nc_u32_e32 v54, v4, v2
                                        ; implicit-def: $vgpr4
	v_add3_u32 v5, v24, v3, v5
                                        ; implicit-def: $vgpr2_vgpr3
	s_delay_alu instid0(VALU_DEP_1) | instskip(NEXT) | instid1(VALU_DEP_1)
	v_add_nc_u32_e32 v22, 14, v5
	v_cmpx_ne_u32_e32 0, v22
	s_xor_b32 s11, exec_lo, s11
; %bb.20940:                            ;   in Loop: Header=BB6_20616 Depth=2
	v_cmp_lt_u64_e32 vcc_lo, 0xffffff, v[54:55]
	v_add_nc_u32_e32 v2, 15, v5
	s_delay_alu instid0(VALU_DEP_1) | instskip(SKIP_1) | instid1(VALU_DEP_1)
	v_cndmask_b32_e32 v4, v22, v2, vcc_lo
	v_cndmask_b32_e64 v2, 0, 1, vcc_lo
	v_lshrrev_b64 v[2:3], v2, v[54:55]
; %bb.20941:                            ;   in Loop: Header=BB6_20616 Depth=2
	s_and_not1_saveexec_b32 s11, s11
; %bb.20942:                            ;   in Loop: Header=BB6_20616 Depth=2
	v_mov_b64_e32 v[2:3], v[54:55]
	v_bfe_u32 v4, v54, 23, 1
; %bb.20943:                            ;   in Loop: Header=BB6_20616 Depth=2
	s_or_b32 exec_lo, exec_lo, s11
	s_delay_alu instid0(VALU_DEP_2) | instskip(NEXT) | instid1(VALU_DEP_2)
	v_lshrrev_b64 v[2:3], 21, v[2:3]
	v_cmp_gt_i32_e32 vcc_lo, 32, v4
	v_min_i32_e32 v5, 31, v4
	v_cmp_eq_u32_e64 s11, 0, v4
	s_delay_alu instid0(VALU_DEP_2) | instskip(SKIP_1) | instid1(VALU_DEP_2)
	v_dual_cndmask_b32 v3, 0, v3, vcc_lo :: v_dual_lshlrev_b32 v5, 2, v5
	v_cndmask_b32_e32 v2, 3, v2, vcc_lo
	v_and_b32_e32 v5, 0xfc, v5
	s_delay_alu instid0(VALU_DEP_2) | instskip(NEXT) | instid1(VALU_DEP_2)
	v_cmp_eq_u64_e32 vcc_lo, 0, v[2:3]
	v_and_or_b32 v2, v2, 3, v5
	s_and_b32 s11, s11, vcc_lo
	s_delay_alu instid0(VALU_DEP_1) | instid1(SALU_CYCLE_1)
	v_cndmask_b32_e64 v2, v2, 0, s11
	s_delay_alu instid0(VALU_DEP_1)
	v_or_b32_e32 v22, v2, v23
.LBB6_20944:                            ;   in Loop: Header=BB6_20616 Depth=2
	s_or_b32 exec_lo, exec_lo, s41
                                        ; implicit-def: $vgpr23
.LBB6_20945:                            ;   in Loop: Header=BB6_20616 Depth=2
	s_and_not1_saveexec_b32 s11, s40
; %bb.20946:                            ;   in Loop: Header=BB6_20616 Depth=2
	v_or_b32_e32 v22, 0x7b, v23
; %bb.20947:                            ;   in Loop: Header=BB6_20616 Depth=2
	s_or_b32 exec_lo, exec_lo, s11
                                        ; implicit-def: $vgpr2
                                        ; implicit-def: $vgpr3
.LBB6_20948:                            ;   in Loop: Header=BB6_20616 Depth=2
	s_and_not1_saveexec_b32 s11, s29
	s_cbranch_execz .LBB6_20954
; %bb.20949:                            ;   in Loop: Header=BB6_20616 Depth=2
	s_mov_b32 s29, exec_lo
                                        ; implicit-def: $vgpr22
	v_cmpx_ne_u64_e32 0, v[54:55]
	s_xor_b32 s29, exec_lo, s29
; %bb.20950:                            ;   in Loop: Header=BB6_20616 Depth=2
	v_or_b32_e32 v22, 0x7f, v3
                                        ; implicit-def: $vgpr2
; %bb.20951:                            ;   in Loop: Header=BB6_20616 Depth=2
	s_and_not1_saveexec_b32 s29, s29
; %bb.20952:                            ;   in Loop: Header=BB6_20616 Depth=2
	v_cmp_lt_i32_e32 vcc_lo, -1, v2
	v_cndmask_b32_e32 v22, 0xfc, v30, vcc_lo
; %bb.20953:                            ;   in Loop: Header=BB6_20616 Depth=2
	s_or_b32 exec_lo, exec_lo, s29
.LBB6_20954:                            ;   in Loop: Header=BB6_20616 Depth=2
	s_delay_alu instid0(SALU_CYCLE_1)
	s_or_b32 exec_lo, exec_lo, s11
	v_mov_b32_e32 v3, 0
	s_mov_b32 s11, exec_lo
	v_cmpx_lt_u32_e32 0xffffff, v12
	s_cbranch_execz .LBB6_20964
; %bb.20955:                            ;   in Loop: Header=BB6_20616 Depth=2
	v_lshrrev_b32_e32 v2, 24, v12
	v_bfrev_b32_e32 v3, 1
	s_mov_b32 s29, exec_lo
	s_delay_alu instid0(VALU_DEP_2)
	v_cmpx_ne_u32_e32 0x80, v2
	s_cbranch_execz .LBB6_20963
; %bb.20956:                            ;   in Loop: Header=BB6_20616 Depth=2
	v_and_b32_e32 v3, 0x7c000000, v12
	v_bfe_u32 v4, v12, 24, 2
	s_delay_alu instid0(VALU_DEP_2) | instskip(SKIP_1) | instid1(SALU_CYCLE_1)
	v_cmp_ne_u32_e32 vcc_lo, 0x7c000000, v3
                                        ; implicit-def: $vgpr3
	s_and_saveexec_b32 s40, vcc_lo
	s_xor_b32 s40, exec_lo, s40
	s_cbranch_execz .LBB6_20960
; %bb.20957:                            ;   in Loop: Header=BB6_20616 Depth=2
	v_bfe_u32 v3, v12, 26, 5
	s_mov_b32 s41, exec_lo
	s_delay_alu instid0(VALU_DEP_1)
	v_cmpx_eq_u32_e32 0, v3
; %bb.20958:                            ;   in Loop: Header=BB6_20616 Depth=2
	v_clz_i32_u32_e32 v3, v4
	s_delay_alu instid0(VALU_DEP_1) | instskip(NEXT) | instid1(VALU_DEP_1)
	v_min_u32_e32 v4, 32, v3
	v_subrev_nc_u32_e32 v3, 29, v4
	s_delay_alu instid0(VALU_DEP_1) | instskip(NEXT) | instid1(VALU_DEP_1)
	v_lshlrev_b64_e32 v[2:3], v3, v[2:3]
	v_dual_sub_nc_u32 v3, 30, v4 :: v_dual_bitop2_b32 v4, 3, v2 bitop3:0x40
; %bb.20959:                            ;   in Loop: Header=BB6_20616 Depth=2
	s_or_b32 exec_lo, exec_lo, s41
	v_and_b32_e32 v2, 0x80000000, v12
	s_delay_alu instid0(VALU_DEP_1) | instskip(NEXT) | instid1(VALU_DEP_1)
	v_lshl_add_u32 v2, v3, 23, v2
	v_lshl_or_b32 v2, v4, 21, v2
                                        ; implicit-def: $vgpr4
	s_delay_alu instid0(VALU_DEP_1)
	v_add_nc_u32_e32 v3, 0x38000000, v2
.LBB6_20960:                            ;   in Loop: Header=BB6_20616 Depth=2
	s_and_not1_saveexec_b32 s40, s40
; %bb.20961:                            ;   in Loop: Header=BB6_20616 Depth=2
	v_cmp_lt_i32_e32 vcc_lo, -1, v12
	v_cndmask_b32_e32 v2, 0xff800000, v29, vcc_lo
	v_cmp_eq_u32_e32 vcc_lo, 0, v4
	s_delay_alu instid0(VALU_DEP_2)
	v_cndmask_b32_e32 v3, 0x7f800001, v2, vcc_lo
; %bb.20962:                            ;   in Loop: Header=BB6_20616 Depth=2
	s_or_b32 exec_lo, exec_lo, s40
.LBB6_20963:                            ;   in Loop: Header=BB6_20616 Depth=2
	s_delay_alu instid0(SALU_CYCLE_1)
	s_or_b32 exec_lo, exec_lo, s29
.LBB6_20964:                            ;   in Loop: Header=BB6_20616 Depth=2
	s_delay_alu instid0(SALU_CYCLE_1) | instskip(NEXT) | instid1(VALU_DEP_1)
	s_or_b32 exec_lo, exec_lo, s11
	v_dual_mul_f32 v2, s28, v3 :: v_dual_mov_b32 v5, v55
                                        ; implicit-def: $vgpr23
	s_mov_b32 s11, exec_lo
	s_delay_alu instid0(VALU_DEP_1) | instskip(SKIP_2) | instid1(VALU_DEP_3)
	v_and_b32_e32 v4, 0x7f800000, v2
	v_and_b32_e32 v54, 0x7fffff, v2
	v_lshrrev_b32_e32 v3, 24, v2
	v_cmpx_ne_u64_e32 0x7f800000, v[4:5]
	s_xor_b32 s29, exec_lo, s11
	s_cbranch_execz .LBB6_20978
; %bb.20965:                            ;   in Loop: Header=BB6_20616 Depth=2
	v_and_b32_e32 v4, 0x7fffffff, v2
	v_mov_b32_e32 v5, v55
	v_and_b32_e32 v24, 0x80, v3
                                        ; implicit-def: $vgpr23
	s_mov_b32 s11, exec_lo
	s_delay_alu instid0(VALU_DEP_2)
	v_cmpx_gt_u64_e32 0x47600001, v[4:5]
	s_xor_b32 s40, exec_lo, s11
	s_cbranch_execz .LBB6_20975
; %bb.20966:                            ;   in Loop: Header=BB6_20616 Depth=2
	v_mov_b32_e32 v23, 0
	s_mov_b32 s41, exec_lo
	v_cmpx_ne_u32_e32 0, v2
	s_cbranch_execz .LBB6_20974
; %bb.20967:                            ;   in Loop: Header=BB6_20616 Depth=2
	v_bfe_u32 v23, v2, 23, 8
	v_or_b32_e32 v4, 0x800000, v54
	s_mov_b32 s42, exec_lo
	s_delay_alu instid0(VALU_DEP_2) | instskip(SKIP_1) | instid1(VALU_DEP_2)
	v_dual_mov_b32 v5, v55 :: v_dual_sub_nc_u32 v2, 0x71, v23
	v_cmp_gt_u32_e32 vcc_lo, 0x72, v23
	v_cndmask_b32_e32 v2, 0, v2, vcc_lo
	v_cmp_eq_u32_e32 vcc_lo, 0, v23
	s_delay_alu instid0(VALU_DEP_2) | instskip(NEXT) | instid1(VALU_DEP_1)
	v_cndmask_b32_e64 v25, v2, 0x70, vcc_lo
	v_dual_cndmask_b32 v4, v4, v54, vcc_lo :: v_dual_add_nc_u32 v2, 21, v25
	v_add_nc_u32_e32 v26, 20, v25
	s_delay_alu instid0(VALU_DEP_2) | instskip(NEXT) | instid1(VALU_DEP_2)
	v_lshlrev_b64_e64 v[2:3], v2, -1
	v_lshlrev_b64_e64 v[26:27], v26, 1
	s_delay_alu instid0(VALU_DEP_2) | instskip(NEXT) | instid1(VALU_DEP_3)
	v_bfi_b32 v33, v3, 0, 0
	v_bfi_b32 v32, v2, 0, v4
	v_lshrrev_b64 v[2:3], v25, v[4:5]
	s_delay_alu instid0(VALU_DEP_1) | instskip(NEXT) | instid1(VALU_DEP_3)
	v_mov_b64_e32 v[4:5], v[2:3]
	v_cmpx_eq_u64_e64 v[32:33], v[26:27]
; %bb.20968:                            ;   in Loop: Header=BB6_20616 Depth=2
	v_bfe_u32 v4, v2, 21, 1
	v_mov_b32_e32 v5, v55
	s_delay_alu instid0(VALU_DEP_1) | instskip(NEXT) | instid1(VALU_DEP_1)
	v_add_nc_u64_e32 v[4:5], v[2:3], v[4:5]
	v_add_nc_u64_e32 v[4:5], -1, v[4:5]
; %bb.20969:                            ;   in Loop: Header=BB6_20616 Depth=2
	s_or_b32 exec_lo, exec_lo, s42
	v_add_nc_u32_e32 v3, 0xffffff81, v23
	s_delay_alu instid0(VALU_DEP_2) | instskip(SKIP_2) | instid1(VALU_DEP_3)
	v_and_b32_e32 v4, 0x1fffff, v4
	v_lshrrev_b32_e32 v5, 23, v2
	s_mov_b32 s11, exec_lo
	v_cndmask_b32_e64 v3, v3, 0xffffff82, vcc_lo
	s_delay_alu instid0(VALU_DEP_3) | instskip(NEXT) | instid1(VALU_DEP_2)
	v_add_nc_u32_e32 v54, v4, v2
                                        ; implicit-def: $vgpr4
	v_add3_u32 v5, v25, v3, v5
                                        ; implicit-def: $vgpr2_vgpr3
	s_delay_alu instid0(VALU_DEP_1) | instskip(NEXT) | instid1(VALU_DEP_1)
	v_add_nc_u32_e32 v23, 14, v5
	v_cmpx_ne_u32_e32 0, v23
	s_xor_b32 s11, exec_lo, s11
; %bb.20970:                            ;   in Loop: Header=BB6_20616 Depth=2
	v_cmp_lt_u64_e32 vcc_lo, 0xffffff, v[54:55]
	v_add_nc_u32_e32 v2, 15, v5
	s_delay_alu instid0(VALU_DEP_1) | instskip(SKIP_1) | instid1(VALU_DEP_1)
	v_cndmask_b32_e32 v4, v23, v2, vcc_lo
	v_cndmask_b32_e64 v2, 0, 1, vcc_lo
	v_lshrrev_b64 v[2:3], v2, v[54:55]
; %bb.20971:                            ;   in Loop: Header=BB6_20616 Depth=2
	s_and_not1_saveexec_b32 s11, s11
; %bb.20972:                            ;   in Loop: Header=BB6_20616 Depth=2
	v_mov_b64_e32 v[2:3], v[54:55]
	v_bfe_u32 v4, v54, 23, 1
; %bb.20973:                            ;   in Loop: Header=BB6_20616 Depth=2
	s_or_b32 exec_lo, exec_lo, s11
	s_delay_alu instid0(VALU_DEP_2) | instskip(NEXT) | instid1(VALU_DEP_2)
	v_lshrrev_b64 v[2:3], 21, v[2:3]
	v_cmp_gt_i32_e32 vcc_lo, 32, v4
	v_min_i32_e32 v5, 31, v4
	v_cmp_eq_u32_e64 s11, 0, v4
	s_delay_alu instid0(VALU_DEP_2) | instskip(SKIP_1) | instid1(VALU_DEP_2)
	v_dual_cndmask_b32 v3, 0, v3, vcc_lo :: v_dual_lshlrev_b32 v5, 2, v5
	v_cndmask_b32_e32 v2, 3, v2, vcc_lo
	v_and_b32_e32 v5, 0xfc, v5
	s_delay_alu instid0(VALU_DEP_2) | instskip(NEXT) | instid1(VALU_DEP_2)
	v_cmp_eq_u64_e32 vcc_lo, 0, v[2:3]
	v_and_or_b32 v2, v2, 3, v5
	s_and_b32 s11, s11, vcc_lo
	s_delay_alu instid0(VALU_DEP_1) | instid1(SALU_CYCLE_1)
	v_cndmask_b32_e64 v2, v2, 0, s11
	s_delay_alu instid0(VALU_DEP_1)
	v_or_b32_e32 v23, v2, v24
.LBB6_20974:                            ;   in Loop: Header=BB6_20616 Depth=2
	s_or_b32 exec_lo, exec_lo, s41
                                        ; implicit-def: $vgpr24
.LBB6_20975:                            ;   in Loop: Header=BB6_20616 Depth=2
	s_and_not1_saveexec_b32 s11, s40
; %bb.20976:                            ;   in Loop: Header=BB6_20616 Depth=2
	v_or_b32_e32 v23, 0x7b, v24
; %bb.20977:                            ;   in Loop: Header=BB6_20616 Depth=2
	s_or_b32 exec_lo, exec_lo, s11
                                        ; implicit-def: $vgpr2
                                        ; implicit-def: $vgpr3
.LBB6_20978:                            ;   in Loop: Header=BB6_20616 Depth=2
	s_and_not1_saveexec_b32 s11, s29
	s_cbranch_execz .LBB6_20984
; %bb.20979:                            ;   in Loop: Header=BB6_20616 Depth=2
	s_mov_b32 s29, exec_lo
                                        ; implicit-def: $vgpr23
	v_cmpx_ne_u64_e32 0, v[54:55]
	s_xor_b32 s29, exec_lo, s29
; %bb.20980:                            ;   in Loop: Header=BB6_20616 Depth=2
	v_or_b32_e32 v23, 0x7f, v3
                                        ; implicit-def: $vgpr2
; %bb.20981:                            ;   in Loop: Header=BB6_20616 Depth=2
	s_and_not1_saveexec_b32 s29, s29
; %bb.20982:                            ;   in Loop: Header=BB6_20616 Depth=2
	v_cmp_lt_i32_e32 vcc_lo, -1, v2
	v_cndmask_b32_e32 v23, 0xfc, v30, vcc_lo
; %bb.20983:                            ;   in Loop: Header=BB6_20616 Depth=2
	s_or_b32 exec_lo, exec_lo, s29
.LBB6_20984:                            ;   in Loop: Header=BB6_20616 Depth=2
	s_delay_alu instid0(SALU_CYCLE_1) | instskip(SKIP_3) | instid1(VALU_DEP_2)
	s_or_b32 exec_lo, exec_lo, s11
	v_and_b32_e32 v3, 0xff, v13
	v_dual_mov_b32 v54, v13 :: v_dual_mov_b32 v2, 0
	s_mov_b32 s11, exec_lo
	v_cmpx_ne_u16_e32 0, v3
	s_cbranch_execz .LBB6_20994
; %bb.20985:                            ;   in Loop: Header=BB6_20616 Depth=2
	v_bfrev_b32_e32 v2, 1
	s_mov_b32 s29, exec_lo
	v_cmpx_ne_u16_e32 0x80, v3
	s_cbranch_execz .LBB6_20993
; %bb.20986:                            ;   in Loop: Header=BB6_20616 Depth=2
	v_and_b32_e32 v2, 0x7c, v13
	v_and_b32_e32 v3, 3, v13
	s_delay_alu instid0(VALU_DEP_2) | instskip(SKIP_1) | instid1(SALU_CYCLE_1)
	v_cmp_ne_u32_e32 vcc_lo, 0x7c, v2
                                        ; implicit-def: $vgpr2
	s_and_saveexec_b32 s40, vcc_lo
	s_xor_b32 s40, exec_lo, s40
	s_cbranch_execz .LBB6_20990
; %bb.20987:                            ;   in Loop: Header=BB6_20616 Depth=2
	v_bfe_u32 v2, v13, 2, 5
	s_mov_b32 s41, exec_lo
	s_delay_alu instid0(VALU_DEP_1)
	v_cmpx_eq_u32_e32 0, v2
; %bb.20988:                            ;   in Loop: Header=BB6_20616 Depth=2
	v_clz_i32_u32_e32 v2, v3
	s_delay_alu instid0(VALU_DEP_1) | instskip(NEXT) | instid1(VALU_DEP_1)
	v_min_u32_e32 v2, 32, v2
	v_subrev_nc_u32_e32 v3, 29, v2
	s_delay_alu instid0(VALU_DEP_1) | instskip(NEXT) | instid1(VALU_DEP_1)
	v_lshlrev_b64_e32 v[4:5], v3, v[54:55]
	v_dual_sub_nc_u32 v2, 30, v2 :: v_dual_bitop2_b32 v3, 3, v4 bitop3:0x40
; %bb.20989:                            ;   in Loop: Header=BB6_20616 Depth=2
	s_or_b32 exec_lo, exec_lo, s41
	v_lshlrev_b32_e32 v4, 24, v13
	s_delay_alu instid0(VALU_DEP_1) | instskip(NEXT) | instid1(VALU_DEP_1)
	v_and_b32_e32 v4, 0x80000000, v4
	v_lshl_add_u32 v2, v2, 23, v4
	s_delay_alu instid0(VALU_DEP_1) | instskip(NEXT) | instid1(VALU_DEP_1)
	v_lshl_or_b32 v2, v3, 21, v2
                                        ; implicit-def: $vgpr3
	v_add_nc_u32_e32 v2, 0x38000000, v2
.LBB6_20990:                            ;   in Loop: Header=BB6_20616 Depth=2
	s_and_not1_saveexec_b32 s40, s40
; %bb.20991:                            ;   in Loop: Header=BB6_20616 Depth=2
	v_bfe_i32 v2, v13, 0, 8
	s_delay_alu instid0(VALU_DEP_1) | instskip(SKIP_2) | instid1(VALU_DEP_2)
	v_cmp_lt_i16_e32 vcc_lo, -1, v2
	v_cndmask_b32_e32 v2, 0xff800000, v29, vcc_lo
	v_cmp_eq_u32_e32 vcc_lo, 0, v3
	v_cndmask_b32_e32 v2, 0x7f800001, v2, vcc_lo
; %bb.20992:                            ;   in Loop: Header=BB6_20616 Depth=2
	s_or_b32 exec_lo, exec_lo, s40
.LBB6_20993:                            ;   in Loop: Header=BB6_20616 Depth=2
	s_delay_alu instid0(SALU_CYCLE_1)
	s_or_b32 exec_lo, exec_lo, s29
.LBB6_20994:                            ;   in Loop: Header=BB6_20616 Depth=2
	s_delay_alu instid0(SALU_CYCLE_1) | instskip(NEXT) | instid1(VALU_DEP_1)
	s_or_b32 exec_lo, exec_lo, s11
	v_dual_mul_f32 v4, s28, v2 :: v_dual_mov_b32 v25, v55
	s_delay_alu instid0(VALU_DEP_1) | instskip(SKIP_2) | instid1(VALU_DEP_2)
	v_dual_mov_b32 v3, v55 :: v_dual_lshrrev_b32 v5, 24, v4
	v_and_b32_e32 v24, 0x7f800000, v4
	v_and_b32_e32 v2, 0x7fffff, v4
	v_cmp_ne_u64_e32 vcc_lo, 0x7f800000, v[24:25]
                                        ; implicit-def: $vgpr24
	s_and_saveexec_b32 s11, vcc_lo
	s_delay_alu instid0(SALU_CYCLE_1)
	s_xor_b32 s29, exec_lo, s11
	s_cbranch_execz .LBB6_21008
; %bb.20995:                            ;   in Loop: Header=BB6_20616 Depth=2
	v_and_b32_e32 v24, 0x7fffffff, v4
	v_mov_b32_e32 v25, v55
	s_delay_alu instid0(VALU_DEP_1) | instskip(SKIP_2) | instid1(SALU_CYCLE_1)
	v_cmp_gt_u64_e32 vcc_lo, 0x47600001, v[24:25]
	v_and_b32_e32 v25, 0x80, v5
                                        ; implicit-def: $vgpr24
	s_and_saveexec_b32 s11, vcc_lo
	s_xor_b32 s40, exec_lo, s11
	s_cbranch_execz .LBB6_21005
; %bb.20996:                            ;   in Loop: Header=BB6_20616 Depth=2
	v_mov_b32_e32 v24, 0
	s_mov_b32 s41, exec_lo
	v_cmpx_ne_u32_e32 0, v4
	s_cbranch_execz .LBB6_21004
; %bb.20997:                            ;   in Loop: Header=BB6_20616 Depth=2
	v_bfe_u32 v24, v4, 23, 8
	v_or_b32_e32 v27, 0x800000, v2
	s_delay_alu instid0(VALU_DEP_2) | instskip(SKIP_1) | instid1(VALU_DEP_2)
	v_sub_nc_u32_e32 v4, 0x71, v24
	v_cmp_gt_u32_e32 vcc_lo, 0x72, v24
	v_cndmask_b32_e32 v4, 0, v4, vcc_lo
	v_cmp_eq_u32_e32 vcc_lo, 0, v24
	s_delay_alu instid0(VALU_DEP_2) | instskip(SKIP_1) | instid1(VALU_DEP_2)
	v_cndmask_b32_e64 v26, v4, 0x70, vcc_lo
	v_cndmask_b32_e32 v2, v27, v2, vcc_lo
	v_dual_add_nc_u32 v4, 21, v26 :: v_dual_add_nc_u32 v28, 20, v26
	s_delay_alu instid0(VALU_DEP_1) | instskip(NEXT) | instid1(VALU_DEP_2)
	v_lshlrev_b64_e64 v[4:5], v4, -1
	v_lshlrev_b64_e64 v[32:33], v28, 1
	s_delay_alu instid0(VALU_DEP_2) | instskip(SKIP_1) | instid1(VALU_DEP_4)
	v_bfi_b32 v4, v4, 0, v2
	v_lshrrev_b64 v[2:3], v26, v[2:3]
	v_bfi_b32 v5, v5, 0, 0
	s_delay_alu instid0(VALU_DEP_1) | instskip(NEXT) | instid1(VALU_DEP_3)
	v_cmp_eq_u64_e64 s11, v[4:5], v[32:33]
	v_mov_b64_e32 v[4:5], v[2:3]
	s_and_saveexec_b32 s42, s11
; %bb.20998:                            ;   in Loop: Header=BB6_20616 Depth=2
	v_bfe_u32 v4, v2, 21, 1
	v_mov_b32_e32 v5, v55
	s_delay_alu instid0(VALU_DEP_1) | instskip(NEXT) | instid1(VALU_DEP_1)
	v_add_nc_u64_e32 v[4:5], v[2:3], v[4:5]
	v_add_nc_u64_e32 v[4:5], -1, v[4:5]
; %bb.20999:                            ;   in Loop: Header=BB6_20616 Depth=2
	s_or_b32 exec_lo, exec_lo, s42
	v_add_nc_u32_e32 v3, 0xffffff81, v24
	v_lshrrev_b32_e32 v5, 23, v2
	s_mov_b32 s11, exec_lo
	s_delay_alu instid0(VALU_DEP_2) | instskip(NEXT) | instid1(VALU_DEP_1)
	v_cndmask_b32_e64 v3, v3, 0xffffff82, vcc_lo
	v_add3_u32 v5, v26, v3, v5
	v_and_b32_e32 v3, 0x1fffff, v4
                                        ; implicit-def: $vgpr4
	s_delay_alu instid0(VALU_DEP_1) | instskip(SKIP_1) | instid1(VALU_DEP_2)
	v_dual_add_nc_u32 v24, 14, v5 :: v_dual_add_nc_u32 v2, v3, v2
	v_mov_b32_e32 v3, v55
	v_cmpx_ne_u32_e32 0, v24
	s_xor_b32 s11, exec_lo, s11
; %bb.21000:                            ;   in Loop: Header=BB6_20616 Depth=2
	s_delay_alu instid0(VALU_DEP_2) | instskip(SKIP_2) | instid1(VALU_DEP_2)
	v_cmp_lt_u64_e32 vcc_lo, 0xffffff, v[2:3]
	v_add_nc_u32_e32 v4, 15, v5
	v_cndmask_b32_e64 v5, 0, 1, vcc_lo
	v_cndmask_b32_e32 v4, v24, v4, vcc_lo
	s_delay_alu instid0(VALU_DEP_2)
	v_lshrrev_b64 v[2:3], v5, v[2:3]
; %bb.21001:                            ;   in Loop: Header=BB6_20616 Depth=2
	s_and_not1_saveexec_b32 s11, s11
; %bb.21002:                            ;   in Loop: Header=BB6_20616 Depth=2
	s_delay_alu instid0(VALU_DEP_1)
	v_bfe_u32 v4, v2, 23, 1
; %bb.21003:                            ;   in Loop: Header=BB6_20616 Depth=2
	s_or_b32 exec_lo, exec_lo, s11
	s_delay_alu instid0(VALU_DEP_2) | instskip(NEXT) | instid1(VALU_DEP_2)
	v_lshrrev_b64 v[2:3], 21, v[2:3]
	v_cmp_gt_i32_e32 vcc_lo, 32, v4
	v_min_i32_e32 v5, 31, v4
	v_cmp_eq_u32_e64 s11, 0, v4
	s_delay_alu instid0(VALU_DEP_2) | instskip(SKIP_1) | instid1(VALU_DEP_2)
	v_dual_cndmask_b32 v3, 0, v3, vcc_lo :: v_dual_lshlrev_b32 v5, 2, v5
	v_cndmask_b32_e32 v2, 3, v2, vcc_lo
	v_and_b32_e32 v5, 0xfc, v5
	s_delay_alu instid0(VALU_DEP_2) | instskip(NEXT) | instid1(VALU_DEP_2)
	v_cmp_eq_u64_e32 vcc_lo, 0, v[2:3]
	v_and_or_b32 v2, v2, 3, v5
	s_and_b32 s11, s11, vcc_lo
	s_delay_alu instid0(VALU_DEP_1) | instid1(SALU_CYCLE_1)
	v_cndmask_b32_e64 v2, v2, 0, s11
	s_delay_alu instid0(VALU_DEP_1)
	v_or_b32_e32 v24, v2, v25
.LBB6_21004:                            ;   in Loop: Header=BB6_20616 Depth=2
	s_or_b32 exec_lo, exec_lo, s41
                                        ; implicit-def: $vgpr25
.LBB6_21005:                            ;   in Loop: Header=BB6_20616 Depth=2
	s_and_not1_saveexec_b32 s11, s40
; %bb.21006:                            ;   in Loop: Header=BB6_20616 Depth=2
	v_or_b32_e32 v24, 0x7b, v25
; %bb.21007:                            ;   in Loop: Header=BB6_20616 Depth=2
	s_or_b32 exec_lo, exec_lo, s11
                                        ; implicit-def: $vgpr4
                                        ; implicit-def: $vgpr2_vgpr3
                                        ; implicit-def: $vgpr5
.LBB6_21008:                            ;   in Loop: Header=BB6_20616 Depth=2
	s_and_not1_saveexec_b32 s11, s29
	s_cbranch_execz .LBB6_21014
; %bb.21009:                            ;   in Loop: Header=BB6_20616 Depth=2
	s_mov_b32 s29, exec_lo
                                        ; implicit-def: $vgpr24
	v_cmpx_ne_u64_e32 0, v[2:3]
	s_xor_b32 s29, exec_lo, s29
; %bb.21010:                            ;   in Loop: Header=BB6_20616 Depth=2
	v_or_b32_e32 v24, 0x7f, v5
                                        ; implicit-def: $vgpr4
; %bb.21011:                            ;   in Loop: Header=BB6_20616 Depth=2
	s_and_not1_saveexec_b32 s29, s29
; %bb.21012:                            ;   in Loop: Header=BB6_20616 Depth=2
	v_cmp_lt_i32_e32 vcc_lo, -1, v4
	v_cndmask_b32_e32 v24, 0xfc, v30, vcc_lo
; %bb.21013:                            ;   in Loop: Header=BB6_20616 Depth=2
	s_or_b32 exec_lo, exec_lo, s29
.LBB6_21014:                            ;   in Loop: Header=BB6_20616 Depth=2
	s_delay_alu instid0(SALU_CYCLE_1) | instskip(SKIP_3) | instid1(VALU_DEP_2)
	s_or_b32 exec_lo, exec_lo, s11
	v_lshrrev_b16 v2, 8, v54
	v_mov_b32_e32 v4, 0
	s_mov_b32 s11, exec_lo
	v_cmpx_ne_u16_e32 0, v2
	s_cbranch_execz .LBB6_21024
; %bb.21015:                            ;   in Loop: Header=BB6_20616 Depth=2
	v_bfrev_b32_e32 v4, 1
	s_mov_b32 s29, exec_lo
	v_cmpx_ne_u16_e32 0x80, v2
	s_cbranch_execz .LBB6_21023
; %bb.21016:                            ;   in Loop: Header=BB6_20616 Depth=2
	v_and_b32_e32 v5, 0xffff, v2
	s_delay_alu instid0(VALU_DEP_1) | instskip(SKIP_1) | instid1(VALU_DEP_2)
	v_and_b32_e32 v4, 0x7c, v5
	v_and_b32_e32 v3, 3, v5
	v_cmp_ne_u32_e32 vcc_lo, 0x7c, v4
                                        ; implicit-def: $vgpr4
	s_and_saveexec_b32 s40, vcc_lo
	s_delay_alu instid0(SALU_CYCLE_1)
	s_xor_b32 s40, exec_lo, s40
	s_cbranch_execz .LBB6_21020
; %bb.21017:                            ;   in Loop: Header=BB6_20616 Depth=2
	v_bfe_u32 v4, v5, 2, 5
	s_mov_b32 s41, exec_lo
	s_delay_alu instid0(VALU_DEP_1)
	v_cmpx_eq_u32_e32 0, v4
	s_cbranch_execz .LBB6_21019
; %bb.21018:                            ;   in Loop: Header=BB6_20616 Depth=2
	v_clz_i32_u32_e32 v3, v3
	s_delay_alu instid0(VALU_DEP_1) | instskip(SKIP_1) | instid1(VALU_DEP_2)
	v_min_u32_e32 v4, 32, v3
	v_mov_b32_e32 v3, v55
	v_subrev_nc_u32_e32 v5, 29, v4
	v_sub_nc_u32_e32 v4, 30, v4
	s_delay_alu instid0(VALU_DEP_2) | instskip(NEXT) | instid1(VALU_DEP_1)
	v_lshlrev_b64_e32 v[2:3], v5, v[2:3]
	v_and_b32_e32 v3, 3, v2
.LBB6_21019:                            ;   in Loop: Header=BB6_20616 Depth=2
	s_or_b32 exec_lo, exec_lo, s41
	v_lshlrev_b32_e32 v2, 16, v54
	s_delay_alu instid0(VALU_DEP_1) | instskip(NEXT) | instid1(VALU_DEP_1)
	v_and_b32_e32 v2, 0x80000000, v2
	v_lshl_add_u32 v2, v4, 23, v2
	s_delay_alu instid0(VALU_DEP_1) | instskip(NEXT) | instid1(VALU_DEP_1)
	v_lshl_or_b32 v2, v3, 21, v2
                                        ; implicit-def: $vgpr3
	v_add_nc_u32_e32 v4, 0x38000000, v2
.LBB6_21020:                            ;   in Loop: Header=BB6_20616 Depth=2
	s_and_not1_saveexec_b32 s40, s40
; %bb.21021:                            ;   in Loop: Header=BB6_20616 Depth=2
	v_cmp_lt_i16_e32 vcc_lo, -1, v54
	v_cndmask_b32_e32 v2, 0xff800000, v29, vcc_lo
	v_cmp_eq_u32_e32 vcc_lo, 0, v3
	s_delay_alu instid0(VALU_DEP_2)
	v_cndmask_b32_e32 v4, 0x7f800001, v2, vcc_lo
; %bb.21022:                            ;   in Loop: Header=BB6_20616 Depth=2
	s_or_b32 exec_lo, exec_lo, s40
.LBB6_21023:                            ;   in Loop: Header=BB6_20616 Depth=2
	s_delay_alu instid0(SALU_CYCLE_1)
	s_or_b32 exec_lo, exec_lo, s29
.LBB6_21024:                            ;   in Loop: Header=BB6_20616 Depth=2
	s_delay_alu instid0(SALU_CYCLE_1) | instskip(NEXT) | instid1(VALU_DEP_1)
	s_or_b32 exec_lo, exec_lo, s11
	v_dual_mul_f32 v2, s28, v4 :: v_dual_mov_b32 v5, v55
                                        ; implicit-def: $vgpr25
	s_mov_b32 s11, exec_lo
	s_delay_alu instid0(VALU_DEP_1) | instskip(SKIP_2) | instid1(VALU_DEP_3)
	v_and_b32_e32 v4, 0x7f800000, v2
	v_and_b32_e32 v54, 0x7fffff, v2
	v_lshrrev_b32_e32 v3, 24, v2
	v_cmpx_ne_u64_e32 0x7f800000, v[4:5]
	s_xor_b32 s29, exec_lo, s11
	s_cbranch_execz .LBB6_21038
; %bb.21025:                            ;   in Loop: Header=BB6_20616 Depth=2
	v_and_b32_e32 v4, 0x7fffffff, v2
	v_mov_b32_e32 v5, v55
	v_and_b32_e32 v26, 0x80, v3
                                        ; implicit-def: $vgpr25
	s_mov_b32 s11, exec_lo
	s_delay_alu instid0(VALU_DEP_2)
	v_cmpx_gt_u64_e32 0x47600001, v[4:5]
	s_xor_b32 s40, exec_lo, s11
	s_cbranch_execz .LBB6_21035
; %bb.21026:                            ;   in Loop: Header=BB6_20616 Depth=2
	v_mov_b32_e32 v25, 0
	s_mov_b32 s41, exec_lo
	v_cmpx_ne_u32_e32 0, v2
	s_cbranch_execz .LBB6_21034
; %bb.21027:                            ;   in Loop: Header=BB6_20616 Depth=2
	v_bfe_u32 v25, v2, 23, 8
	v_or_b32_e32 v4, 0x800000, v54
	s_mov_b32 s42, exec_lo
	s_delay_alu instid0(VALU_DEP_2) | instskip(SKIP_1) | instid1(VALU_DEP_2)
	v_dual_mov_b32 v5, v55 :: v_dual_sub_nc_u32 v2, 0x71, v25
	v_cmp_gt_u32_e32 vcc_lo, 0x72, v25
	v_cndmask_b32_e32 v2, 0, v2, vcc_lo
	v_cmp_eq_u32_e32 vcc_lo, 0, v25
	s_delay_alu instid0(VALU_DEP_2) | instskip(NEXT) | instid1(VALU_DEP_1)
	v_cndmask_b32_e64 v27, v2, 0x70, vcc_lo
	v_dual_cndmask_b32 v4, v4, v54, vcc_lo :: v_dual_add_nc_u32 v2, 21, v27
	v_add_nc_u32_e32 v28, 20, v27
	s_delay_alu instid0(VALU_DEP_2) | instskip(NEXT) | instid1(VALU_DEP_2)
	v_lshlrev_b64_e64 v[2:3], v2, -1
	v_lshlrev_b64_e64 v[32:33], v28, 1
	s_delay_alu instid0(VALU_DEP_2) | instskip(NEXT) | instid1(VALU_DEP_3)
	v_bfi_b32 v35, v3, 0, 0
	v_bfi_b32 v34, v2, 0, v4
	v_lshrrev_b64 v[2:3], v27, v[4:5]
	s_delay_alu instid0(VALU_DEP_1) | instskip(NEXT) | instid1(VALU_DEP_3)
	v_mov_b64_e32 v[4:5], v[2:3]
	v_cmpx_eq_u64_e64 v[34:35], v[32:33]
; %bb.21028:                            ;   in Loop: Header=BB6_20616 Depth=2
	v_bfe_u32 v4, v2, 21, 1
	v_mov_b32_e32 v5, v55
	s_delay_alu instid0(VALU_DEP_1) | instskip(NEXT) | instid1(VALU_DEP_1)
	v_add_nc_u64_e32 v[4:5], v[2:3], v[4:5]
	v_add_nc_u64_e32 v[4:5], -1, v[4:5]
; %bb.21029:                            ;   in Loop: Header=BB6_20616 Depth=2
	s_or_b32 exec_lo, exec_lo, s42
	v_add_nc_u32_e32 v3, 0xffffff81, v25
	s_delay_alu instid0(VALU_DEP_2) | instskip(SKIP_2) | instid1(VALU_DEP_3)
	v_and_b32_e32 v4, 0x1fffff, v4
	v_lshrrev_b32_e32 v5, 23, v2
	s_mov_b32 s11, exec_lo
	v_cndmask_b32_e64 v3, v3, 0xffffff82, vcc_lo
	s_delay_alu instid0(VALU_DEP_3) | instskip(NEXT) | instid1(VALU_DEP_2)
	v_add_nc_u32_e32 v54, v4, v2
                                        ; implicit-def: $vgpr4
	v_add3_u32 v5, v27, v3, v5
                                        ; implicit-def: $vgpr2_vgpr3
	s_delay_alu instid0(VALU_DEP_1) | instskip(NEXT) | instid1(VALU_DEP_1)
	v_add_nc_u32_e32 v25, 14, v5
	v_cmpx_ne_u32_e32 0, v25
	s_xor_b32 s11, exec_lo, s11
; %bb.21030:                            ;   in Loop: Header=BB6_20616 Depth=2
	v_cmp_lt_u64_e32 vcc_lo, 0xffffff, v[54:55]
	v_add_nc_u32_e32 v2, 15, v5
	s_delay_alu instid0(VALU_DEP_1) | instskip(SKIP_1) | instid1(VALU_DEP_1)
	v_cndmask_b32_e32 v4, v25, v2, vcc_lo
	v_cndmask_b32_e64 v2, 0, 1, vcc_lo
	v_lshrrev_b64 v[2:3], v2, v[54:55]
; %bb.21031:                            ;   in Loop: Header=BB6_20616 Depth=2
	s_and_not1_saveexec_b32 s11, s11
; %bb.21032:                            ;   in Loop: Header=BB6_20616 Depth=2
	v_mov_b64_e32 v[2:3], v[54:55]
	v_bfe_u32 v4, v54, 23, 1
; %bb.21033:                            ;   in Loop: Header=BB6_20616 Depth=2
	s_or_b32 exec_lo, exec_lo, s11
	s_delay_alu instid0(VALU_DEP_2) | instskip(NEXT) | instid1(VALU_DEP_2)
	v_lshrrev_b64 v[2:3], 21, v[2:3]
	v_cmp_gt_i32_e32 vcc_lo, 32, v4
	v_min_i32_e32 v5, 31, v4
	v_cmp_eq_u32_e64 s11, 0, v4
	s_delay_alu instid0(VALU_DEP_2) | instskip(SKIP_1) | instid1(VALU_DEP_2)
	v_dual_cndmask_b32 v3, 0, v3, vcc_lo :: v_dual_lshlrev_b32 v5, 2, v5
	v_cndmask_b32_e32 v2, 3, v2, vcc_lo
	v_and_b32_e32 v5, 0xfc, v5
	s_delay_alu instid0(VALU_DEP_2) | instskip(NEXT) | instid1(VALU_DEP_2)
	v_cmp_eq_u64_e32 vcc_lo, 0, v[2:3]
	v_and_or_b32 v2, v2, 3, v5
	s_and_b32 s11, s11, vcc_lo
	s_delay_alu instid0(VALU_DEP_1) | instid1(SALU_CYCLE_1)
	v_cndmask_b32_e64 v2, v2, 0, s11
	s_delay_alu instid0(VALU_DEP_1)
	v_or_b32_e32 v25, v2, v26
.LBB6_21034:                            ;   in Loop: Header=BB6_20616 Depth=2
	s_or_b32 exec_lo, exec_lo, s41
                                        ; implicit-def: $vgpr26
.LBB6_21035:                            ;   in Loop: Header=BB6_20616 Depth=2
	s_and_not1_saveexec_b32 s11, s40
; %bb.21036:                            ;   in Loop: Header=BB6_20616 Depth=2
	v_or_b32_e32 v25, 0x7b, v26
; %bb.21037:                            ;   in Loop: Header=BB6_20616 Depth=2
	s_or_b32 exec_lo, exec_lo, s11
                                        ; implicit-def: $vgpr2
                                        ; implicit-def: $vgpr3
.LBB6_21038:                            ;   in Loop: Header=BB6_20616 Depth=2
	s_and_not1_saveexec_b32 s11, s29
	s_cbranch_execz .LBB6_21044
; %bb.21039:                            ;   in Loop: Header=BB6_20616 Depth=2
	s_mov_b32 s29, exec_lo
                                        ; implicit-def: $vgpr25
	v_cmpx_ne_u64_e32 0, v[54:55]
	s_xor_b32 s29, exec_lo, s29
; %bb.21040:                            ;   in Loop: Header=BB6_20616 Depth=2
	v_or_b32_e32 v25, 0x7f, v3
                                        ; implicit-def: $vgpr2
; %bb.21041:                            ;   in Loop: Header=BB6_20616 Depth=2
	s_and_not1_saveexec_b32 s29, s29
; %bb.21042:                            ;   in Loop: Header=BB6_20616 Depth=2
	v_cmp_lt_i32_e32 vcc_lo, -1, v2
	v_cndmask_b32_e32 v25, 0xfc, v30, vcc_lo
; %bb.21043:                            ;   in Loop: Header=BB6_20616 Depth=2
	s_or_b32 exec_lo, exec_lo, s29
.LBB6_21044:                            ;   in Loop: Header=BB6_20616 Depth=2
	s_delay_alu instid0(SALU_CYCLE_1) | instskip(SKIP_2) | instid1(VALU_DEP_1)
	s_or_b32 exec_lo, exec_lo, s11
	v_dual_mov_b32 v3, 0 :: v_dual_lshrrev_b32 v2, 16, v13
	s_mov_b32 s11, exec_lo
	v_and_b32_e32 v4, 0xff, v2
	s_delay_alu instid0(VALU_DEP_1)
	v_cmpx_ne_u16_e32 0, v4
	s_cbranch_execz .LBB6_21054
; %bb.21045:                            ;   in Loop: Header=BB6_20616 Depth=2
	v_bfrev_b32_e32 v3, 1
	s_mov_b32 s29, exec_lo
	v_cmpx_ne_u16_e32 0x80, v4
	s_cbranch_execz .LBB6_21053
; %bb.21046:                            ;   in Loop: Header=BB6_20616 Depth=2
	v_and_b32_e32 v3, 0x7c0000, v13
	v_bfe_u32 v4, v13, 16, 2
	s_delay_alu instid0(VALU_DEP_2) | instskip(SKIP_1) | instid1(SALU_CYCLE_1)
	v_cmp_ne_u32_e32 vcc_lo, 0x7c0000, v3
                                        ; implicit-def: $vgpr3
	s_and_saveexec_b32 s40, vcc_lo
	s_xor_b32 s40, exec_lo, s40
	s_cbranch_execz .LBB6_21050
; %bb.21047:                            ;   in Loop: Header=BB6_20616 Depth=2
	v_bfe_u32 v3, v13, 18, 5
	s_mov_b32 s41, exec_lo
	s_delay_alu instid0(VALU_DEP_1)
	v_cmpx_eq_u32_e32 0, v3
; %bb.21048:                            ;   in Loop: Header=BB6_20616 Depth=2
	v_clz_i32_u32_e32 v3, v4
	s_delay_alu instid0(VALU_DEP_1) | instskip(NEXT) | instid1(VALU_DEP_1)
	v_min_u32_e32 v3, 32, v3
	v_subrev_nc_u32_e32 v4, 29, v3
	s_delay_alu instid0(VALU_DEP_1) | instskip(NEXT) | instid1(VALU_DEP_1)
	v_lshlrev_b64_e32 v[4:5], v4, v[2:3]
	v_dual_sub_nc_u32 v3, 30, v3 :: v_dual_bitop2_b32 v4, 3, v4 bitop3:0x40
; %bb.21049:                            ;   in Loop: Header=BB6_20616 Depth=2
	s_or_b32 exec_lo, exec_lo, s41
	v_lshlrev_b32_e32 v2, 24, v2
	s_delay_alu instid0(VALU_DEP_1) | instskip(NEXT) | instid1(VALU_DEP_1)
	v_and_b32_e32 v2, 0x80000000, v2
	v_lshl_add_u32 v2, v3, 23, v2
	s_delay_alu instid0(VALU_DEP_1) | instskip(NEXT) | instid1(VALU_DEP_1)
	v_lshl_or_b32 v2, v4, 21, v2
                                        ; implicit-def: $vgpr4
	v_add_nc_u32_e32 v3, 0x38000000, v2
                                        ; implicit-def: $vgpr2
.LBB6_21050:                            ;   in Loop: Header=BB6_20616 Depth=2
	s_and_not1_saveexec_b32 s40, s40
; %bb.21051:                            ;   in Loop: Header=BB6_20616 Depth=2
	v_bfe_i32 v2, v2, 0, 8
	s_delay_alu instid0(VALU_DEP_1) | instskip(SKIP_2) | instid1(VALU_DEP_2)
	v_cmp_lt_i16_e32 vcc_lo, -1, v2
	v_cndmask_b32_e32 v2, 0xff800000, v29, vcc_lo
	v_cmp_eq_u32_e32 vcc_lo, 0, v4
	v_cndmask_b32_e32 v3, 0x7f800001, v2, vcc_lo
; %bb.21052:                            ;   in Loop: Header=BB6_20616 Depth=2
	s_or_b32 exec_lo, exec_lo, s40
.LBB6_21053:                            ;   in Loop: Header=BB6_20616 Depth=2
	s_delay_alu instid0(SALU_CYCLE_1)
	s_or_b32 exec_lo, exec_lo, s29
.LBB6_21054:                            ;   in Loop: Header=BB6_20616 Depth=2
	s_delay_alu instid0(SALU_CYCLE_1) | instskip(NEXT) | instid1(VALU_DEP_1)
	s_or_b32 exec_lo, exec_lo, s11
	v_dual_mul_f32 v2, s28, v3 :: v_dual_mov_b32 v5, v55
                                        ; implicit-def: $vgpr26
	s_mov_b32 s11, exec_lo
	s_delay_alu instid0(VALU_DEP_1) | instskip(SKIP_2) | instid1(VALU_DEP_3)
	v_and_b32_e32 v4, 0x7f800000, v2
	v_and_b32_e32 v54, 0x7fffff, v2
	v_lshrrev_b32_e32 v3, 24, v2
	v_cmpx_ne_u64_e32 0x7f800000, v[4:5]
	s_xor_b32 s29, exec_lo, s11
	s_cbranch_execz .LBB6_21068
; %bb.21055:                            ;   in Loop: Header=BB6_20616 Depth=2
	v_and_b32_e32 v4, 0x7fffffff, v2
	v_mov_b32_e32 v5, v55
	v_and_b32_e32 v27, 0x80, v3
                                        ; implicit-def: $vgpr26
	s_mov_b32 s11, exec_lo
	s_delay_alu instid0(VALU_DEP_2)
	v_cmpx_gt_u64_e32 0x47600001, v[4:5]
	s_xor_b32 s40, exec_lo, s11
	s_cbranch_execz .LBB6_21065
; %bb.21056:                            ;   in Loop: Header=BB6_20616 Depth=2
	v_mov_b32_e32 v26, 0
	s_mov_b32 s41, exec_lo
	v_cmpx_ne_u32_e32 0, v2
	s_cbranch_execz .LBB6_21064
; %bb.21057:                            ;   in Loop: Header=BB6_20616 Depth=2
	v_bfe_u32 v26, v2, 23, 8
	v_or_b32_e32 v4, 0x800000, v54
	s_mov_b32 s42, exec_lo
	s_delay_alu instid0(VALU_DEP_2) | instskip(SKIP_1) | instid1(VALU_DEP_2)
	v_dual_mov_b32 v5, v55 :: v_dual_sub_nc_u32 v2, 0x71, v26
	v_cmp_gt_u32_e32 vcc_lo, 0x72, v26
	v_cndmask_b32_e32 v2, 0, v2, vcc_lo
	v_cmp_eq_u32_e32 vcc_lo, 0, v26
	s_delay_alu instid0(VALU_DEP_2) | instskip(NEXT) | instid1(VALU_DEP_1)
	v_cndmask_b32_e64 v28, v2, 0x70, vcc_lo
	v_dual_cndmask_b32 v4, v4, v54, vcc_lo :: v_dual_add_nc_u32 v2, 21, v28
	v_add_nc_u32_e32 v31, 20, v28
	s_delay_alu instid0(VALU_DEP_2) | instskip(NEXT) | instid1(VALU_DEP_2)
	v_lshlrev_b64_e64 v[2:3], v2, -1
	v_lshlrev_b64_e64 v[32:33], v31, 1
	s_delay_alu instid0(VALU_DEP_2) | instskip(NEXT) | instid1(VALU_DEP_3)
	v_bfi_b32 v35, v3, 0, 0
	v_bfi_b32 v34, v2, 0, v4
	v_lshrrev_b64 v[2:3], v28, v[4:5]
	s_delay_alu instid0(VALU_DEP_1) | instskip(NEXT) | instid1(VALU_DEP_3)
	v_mov_b64_e32 v[4:5], v[2:3]
	v_cmpx_eq_u64_e64 v[34:35], v[32:33]
; %bb.21058:                            ;   in Loop: Header=BB6_20616 Depth=2
	v_bfe_u32 v4, v2, 21, 1
	v_mov_b32_e32 v5, v55
	s_delay_alu instid0(VALU_DEP_1) | instskip(NEXT) | instid1(VALU_DEP_1)
	v_add_nc_u64_e32 v[4:5], v[2:3], v[4:5]
	v_add_nc_u64_e32 v[4:5], -1, v[4:5]
; %bb.21059:                            ;   in Loop: Header=BB6_20616 Depth=2
	s_or_b32 exec_lo, exec_lo, s42
	v_add_nc_u32_e32 v3, 0xffffff81, v26
	s_delay_alu instid0(VALU_DEP_2) | instskip(SKIP_2) | instid1(VALU_DEP_3)
	v_and_b32_e32 v4, 0x1fffff, v4
	v_lshrrev_b32_e32 v5, 23, v2
	s_mov_b32 s11, exec_lo
	v_cndmask_b32_e64 v3, v3, 0xffffff82, vcc_lo
	s_delay_alu instid0(VALU_DEP_3) | instskip(NEXT) | instid1(VALU_DEP_2)
	v_add_nc_u32_e32 v54, v4, v2
                                        ; implicit-def: $vgpr4
	v_add3_u32 v5, v28, v3, v5
                                        ; implicit-def: $vgpr2_vgpr3
	s_delay_alu instid0(VALU_DEP_1) | instskip(NEXT) | instid1(VALU_DEP_1)
	v_add_nc_u32_e32 v26, 14, v5
	v_cmpx_ne_u32_e32 0, v26
	s_xor_b32 s11, exec_lo, s11
; %bb.21060:                            ;   in Loop: Header=BB6_20616 Depth=2
	v_cmp_lt_u64_e32 vcc_lo, 0xffffff, v[54:55]
	v_add_nc_u32_e32 v2, 15, v5
	s_delay_alu instid0(VALU_DEP_1) | instskip(SKIP_1) | instid1(VALU_DEP_1)
	v_cndmask_b32_e32 v4, v26, v2, vcc_lo
	v_cndmask_b32_e64 v2, 0, 1, vcc_lo
	v_lshrrev_b64 v[2:3], v2, v[54:55]
; %bb.21061:                            ;   in Loop: Header=BB6_20616 Depth=2
	s_and_not1_saveexec_b32 s11, s11
; %bb.21062:                            ;   in Loop: Header=BB6_20616 Depth=2
	v_mov_b64_e32 v[2:3], v[54:55]
	v_bfe_u32 v4, v54, 23, 1
; %bb.21063:                            ;   in Loop: Header=BB6_20616 Depth=2
	s_or_b32 exec_lo, exec_lo, s11
	s_delay_alu instid0(VALU_DEP_2) | instskip(NEXT) | instid1(VALU_DEP_2)
	v_lshrrev_b64 v[2:3], 21, v[2:3]
	v_cmp_gt_i32_e32 vcc_lo, 32, v4
	v_min_i32_e32 v5, 31, v4
	v_cmp_eq_u32_e64 s11, 0, v4
	s_delay_alu instid0(VALU_DEP_2) | instskip(SKIP_1) | instid1(VALU_DEP_2)
	v_dual_cndmask_b32 v3, 0, v3, vcc_lo :: v_dual_lshlrev_b32 v5, 2, v5
	v_cndmask_b32_e32 v2, 3, v2, vcc_lo
	v_and_b32_e32 v5, 0xfc, v5
	s_delay_alu instid0(VALU_DEP_2) | instskip(NEXT) | instid1(VALU_DEP_2)
	v_cmp_eq_u64_e32 vcc_lo, 0, v[2:3]
	v_and_or_b32 v2, v2, 3, v5
	s_and_b32 s11, s11, vcc_lo
	s_delay_alu instid0(VALU_DEP_1) | instid1(SALU_CYCLE_1)
	v_cndmask_b32_e64 v2, v2, 0, s11
	s_delay_alu instid0(VALU_DEP_1)
	v_or_b32_e32 v26, v2, v27
.LBB6_21064:                            ;   in Loop: Header=BB6_20616 Depth=2
	s_or_b32 exec_lo, exec_lo, s41
                                        ; implicit-def: $vgpr27
.LBB6_21065:                            ;   in Loop: Header=BB6_20616 Depth=2
	s_and_not1_saveexec_b32 s11, s40
; %bb.21066:                            ;   in Loop: Header=BB6_20616 Depth=2
	v_or_b32_e32 v26, 0x7b, v27
; %bb.21067:                            ;   in Loop: Header=BB6_20616 Depth=2
	s_or_b32 exec_lo, exec_lo, s11
                                        ; implicit-def: $vgpr2
                                        ; implicit-def: $vgpr3
.LBB6_21068:                            ;   in Loop: Header=BB6_20616 Depth=2
	s_and_not1_saveexec_b32 s11, s29
	s_cbranch_execz .LBB6_21074
; %bb.21069:                            ;   in Loop: Header=BB6_20616 Depth=2
	s_mov_b32 s29, exec_lo
                                        ; implicit-def: $vgpr26
	v_cmpx_ne_u64_e32 0, v[54:55]
	s_xor_b32 s29, exec_lo, s29
; %bb.21070:                            ;   in Loop: Header=BB6_20616 Depth=2
	v_or_b32_e32 v26, 0x7f, v3
                                        ; implicit-def: $vgpr2
; %bb.21071:                            ;   in Loop: Header=BB6_20616 Depth=2
	s_and_not1_saveexec_b32 s29, s29
; %bb.21072:                            ;   in Loop: Header=BB6_20616 Depth=2
	v_cmp_lt_i32_e32 vcc_lo, -1, v2
	v_cndmask_b32_e32 v26, 0xfc, v30, vcc_lo
; %bb.21073:                            ;   in Loop: Header=BB6_20616 Depth=2
	s_or_b32 exec_lo, exec_lo, s29
.LBB6_21074:                            ;   in Loop: Header=BB6_20616 Depth=2
	s_delay_alu instid0(SALU_CYCLE_1)
	s_or_b32 exec_lo, exec_lo, s11
	v_mov_b32_e32 v3, 0
	s_mov_b32 s11, exec_lo
	v_cmpx_lt_u64_e64 s[12:13], v[12:13]
	s_cbranch_execz .LBB6_21084
; %bb.21075:                            ;   in Loop: Header=BB6_20616 Depth=2
	v_lshrrev_b32_e32 v2, 24, v13
	v_bfrev_b32_e32 v3, 1
	s_mov_b32 s29, exec_lo
	s_delay_alu instid0(VALU_DEP_2)
	v_cmpx_ne_u32_e32 0x80, v2
	s_cbranch_execz .LBB6_21083
; %bb.21076:                            ;   in Loop: Header=BB6_20616 Depth=2
	v_and_b32_e32 v3, 0x7c000000, v13
	v_bfe_u32 v4, v13, 24, 2
	s_delay_alu instid0(VALU_DEP_2) | instskip(SKIP_1) | instid1(SALU_CYCLE_1)
	v_cmp_ne_u32_e32 vcc_lo, 0x7c000000, v3
                                        ; implicit-def: $vgpr3
	s_and_saveexec_b32 s40, vcc_lo
	s_xor_b32 s40, exec_lo, s40
	s_cbranch_execz .LBB6_21080
; %bb.21077:                            ;   in Loop: Header=BB6_20616 Depth=2
	v_bfe_u32 v3, v13, 26, 5
	s_mov_b32 s41, exec_lo
	s_delay_alu instid0(VALU_DEP_1)
	v_cmpx_eq_u32_e32 0, v3
; %bb.21078:                            ;   in Loop: Header=BB6_20616 Depth=2
	v_clz_i32_u32_e32 v3, v4
	s_delay_alu instid0(VALU_DEP_1) | instskip(NEXT) | instid1(VALU_DEP_1)
	v_min_u32_e32 v4, 32, v3
	v_subrev_nc_u32_e32 v3, 29, v4
	s_delay_alu instid0(VALU_DEP_1) | instskip(NEXT) | instid1(VALU_DEP_1)
	v_lshlrev_b64_e32 v[2:3], v3, v[2:3]
	v_dual_sub_nc_u32 v3, 30, v4 :: v_dual_bitop2_b32 v4, 3, v2 bitop3:0x40
; %bb.21079:                            ;   in Loop: Header=BB6_20616 Depth=2
	s_or_b32 exec_lo, exec_lo, s41
	v_and_b32_e32 v2, 0x80000000, v13
                                        ; implicit-def: $vgpr12_vgpr13
	s_delay_alu instid0(VALU_DEP_1) | instskip(NEXT) | instid1(VALU_DEP_1)
	v_lshl_add_u32 v2, v3, 23, v2
	v_lshl_or_b32 v2, v4, 21, v2
                                        ; implicit-def: $vgpr4
	s_delay_alu instid0(VALU_DEP_1)
	v_add_nc_u32_e32 v3, 0x38000000, v2
.LBB6_21080:                            ;   in Loop: Header=BB6_20616 Depth=2
	s_and_not1_saveexec_b32 s40, s40
; %bb.21081:                            ;   in Loop: Header=BB6_20616 Depth=2
	v_cmp_lt_i64_e32 vcc_lo, -1, v[12:13]
	v_cndmask_b32_e32 v2, 0xff800000, v29, vcc_lo
	v_cmp_eq_u32_e32 vcc_lo, 0, v4
	s_delay_alu instid0(VALU_DEP_2)
	v_cndmask_b32_e32 v3, 0x7f800001, v2, vcc_lo
; %bb.21082:                            ;   in Loop: Header=BB6_20616 Depth=2
	s_or_b32 exec_lo, exec_lo, s40
.LBB6_21083:                            ;   in Loop: Header=BB6_20616 Depth=2
	s_delay_alu instid0(SALU_CYCLE_1)
	s_or_b32 exec_lo, exec_lo, s29
.LBB6_21084:                            ;   in Loop: Header=BB6_20616 Depth=2
	s_delay_alu instid0(SALU_CYCLE_1) | instskip(NEXT) | instid1(VALU_DEP_1)
	s_or_b32 exec_lo, exec_lo, s11
	v_dual_mul_f32 v3, s28, v3 :: v_dual_mov_b32 v5, v55
                                        ; implicit-def: $vgpr2
	s_delay_alu instid0(VALU_DEP_1) | instskip(SKIP_1) | instid1(VALU_DEP_2)
	v_and_b32_e32 v4, 0x7f800000, v3
	v_and_b32_e32 v54, 0x7fffff, v3
	v_cmp_ne_u64_e32 vcc_lo, 0x7f800000, v[4:5]
	v_lshrrev_b32_e32 v4, 24, v3
	s_and_saveexec_b32 s11, vcc_lo
	s_delay_alu instid0(SALU_CYCLE_1)
	s_xor_b32 s28, exec_lo, s11
	s_cbranch_execz .LBB6_21098
; %bb.21085:                            ;   in Loop: Header=BB6_20616 Depth=2
	v_and_b32_e32 v12, 0x7fffffff, v3
	v_mov_b32_e32 v13, v55
                                        ; implicit-def: $vgpr2
	s_delay_alu instid0(VALU_DEP_1) | instskip(SKIP_2) | instid1(SALU_CYCLE_1)
	v_cmp_gt_u64_e32 vcc_lo, 0x47600001, v[12:13]
	v_and_b32_e32 v12, 0x80, v4
	s_and_saveexec_b32 s11, vcc_lo
	s_xor_b32 s29, exec_lo, s11
	s_cbranch_execz .LBB6_21095
; %bb.21086:                            ;   in Loop: Header=BB6_20616 Depth=2
	v_mov_b32_e32 v2, 0
	s_mov_b32 s40, exec_lo
	v_cmpx_ne_u32_e32 0, v3
	s_cbranch_execz .LBB6_21094
; %bb.21087:                            ;   in Loop: Header=BB6_20616 Depth=2
	v_bfe_u32 v13, v3, 23, 8
	v_or_b32_e32 v4, 0x800000, v54
	s_mov_b32 s41, exec_lo
	s_delay_alu instid0(VALU_DEP_2) | instskip(SKIP_1) | instid1(VALU_DEP_2)
	v_dual_mov_b32 v5, v55 :: v_dual_sub_nc_u32 v2, 0x71, v13
	v_cmp_gt_u32_e32 vcc_lo, 0x72, v13
	v_cndmask_b32_e32 v2, 0, v2, vcc_lo
	v_cmp_eq_u32_e32 vcc_lo, 0, v13
	s_delay_alu instid0(VALU_DEP_2) | instskip(NEXT) | instid1(VALU_DEP_1)
	v_cndmask_b32_e64 v27, v2, 0x70, vcc_lo
	v_dual_cndmask_b32 v4, v4, v54, vcc_lo :: v_dual_add_nc_u32 v2, 21, v27
	v_add_nc_u32_e32 v28, 20, v27
	s_delay_alu instid0(VALU_DEP_2) | instskip(NEXT) | instid1(VALU_DEP_2)
	v_lshlrev_b64_e64 v[2:3], v2, -1
	v_lshlrev_b64_e64 v[32:33], v28, 1
	s_delay_alu instid0(VALU_DEP_2) | instskip(NEXT) | instid1(VALU_DEP_3)
	v_bfi_b32 v35, v3, 0, 0
	v_bfi_b32 v34, v2, 0, v4
	v_lshrrev_b64 v[2:3], v27, v[4:5]
	s_delay_alu instid0(VALU_DEP_1) | instskip(NEXT) | instid1(VALU_DEP_3)
	v_mov_b64_e32 v[4:5], v[2:3]
	v_cmpx_eq_u64_e64 v[34:35], v[32:33]
; %bb.21088:                            ;   in Loop: Header=BB6_20616 Depth=2
	v_bfe_u32 v4, v2, 21, 1
	v_mov_b32_e32 v5, v55
	s_delay_alu instid0(VALU_DEP_1) | instskip(NEXT) | instid1(VALU_DEP_1)
	v_add_nc_u64_e32 v[4:5], v[2:3], v[4:5]
	v_add_nc_u64_e32 v[4:5], -1, v[4:5]
; %bb.21089:                            ;   in Loop: Header=BB6_20616 Depth=2
	s_or_b32 exec_lo, exec_lo, s41
	v_add_nc_u32_e32 v3, 0xffffff81, v13
	s_delay_alu instid0(VALU_DEP_2) | instskip(SKIP_2) | instid1(VALU_DEP_3)
	v_and_b32_e32 v4, 0x1fffff, v4
	v_lshrrev_b32_e32 v5, 23, v2
	s_mov_b32 s11, exec_lo
	v_cndmask_b32_e64 v3, v3, 0xffffff82, vcc_lo
	s_delay_alu instid0(VALU_DEP_3) | instskip(NEXT) | instid1(VALU_DEP_2)
	v_add_nc_u32_e32 v54, v4, v2
                                        ; implicit-def: $vgpr4
	v_add3_u32 v5, v27, v3, v5
                                        ; implicit-def: $vgpr2_vgpr3
	s_delay_alu instid0(VALU_DEP_1) | instskip(NEXT) | instid1(VALU_DEP_1)
	v_add_nc_u32_e32 v13, 14, v5
	v_cmpx_ne_u32_e32 0, v13
	s_xor_b32 s11, exec_lo, s11
; %bb.21090:                            ;   in Loop: Header=BB6_20616 Depth=2
	v_cmp_lt_u64_e32 vcc_lo, 0xffffff, v[54:55]
	v_add_nc_u32_e32 v2, 15, v5
	s_delay_alu instid0(VALU_DEP_1) | instskip(SKIP_1) | instid1(VALU_DEP_1)
	v_cndmask_b32_e32 v4, v13, v2, vcc_lo
	v_cndmask_b32_e64 v2, 0, 1, vcc_lo
	v_lshrrev_b64 v[2:3], v2, v[54:55]
; %bb.21091:                            ;   in Loop: Header=BB6_20616 Depth=2
	s_and_not1_saveexec_b32 s11, s11
; %bb.21092:                            ;   in Loop: Header=BB6_20616 Depth=2
	v_mov_b64_e32 v[2:3], v[54:55]
	v_bfe_u32 v4, v54, 23, 1
; %bb.21093:                            ;   in Loop: Header=BB6_20616 Depth=2
	s_or_b32 exec_lo, exec_lo, s11
	s_delay_alu instid0(VALU_DEP_2) | instskip(NEXT) | instid1(VALU_DEP_2)
	v_lshrrev_b64 v[2:3], 21, v[2:3]
	v_cmp_gt_i32_e32 vcc_lo, 32, v4
	v_min_i32_e32 v5, 31, v4
	v_cmp_eq_u32_e64 s11, 0, v4
	s_delay_alu instid0(VALU_DEP_2) | instskip(SKIP_1) | instid1(VALU_DEP_2)
	v_dual_cndmask_b32 v3, 0, v3, vcc_lo :: v_dual_lshlrev_b32 v5, 2, v5
	v_cndmask_b32_e32 v2, 3, v2, vcc_lo
	v_and_b32_e32 v5, 0xfc, v5
	s_delay_alu instid0(VALU_DEP_2) | instskip(NEXT) | instid1(VALU_DEP_2)
	v_cmp_eq_u64_e32 vcc_lo, 0, v[2:3]
	v_and_or_b32 v2, v2, 3, v5
	s_and_b32 s11, s11, vcc_lo
	s_delay_alu instid0(VALU_DEP_1) | instid1(SALU_CYCLE_1)
	v_cndmask_b32_e64 v2, v2, 0, s11
	s_delay_alu instid0(VALU_DEP_1)
	v_or_b32_e32 v2, v2, v12
.LBB6_21094:                            ;   in Loop: Header=BB6_20616 Depth=2
	s_or_b32 exec_lo, exec_lo, s40
                                        ; implicit-def: $vgpr12
.LBB6_21095:                            ;   in Loop: Header=BB6_20616 Depth=2
	s_and_not1_saveexec_b32 s11, s29
; %bb.21096:                            ;   in Loop: Header=BB6_20616 Depth=2
	v_or_b32_e32 v2, 0x7b, v12
; %bb.21097:                            ;   in Loop: Header=BB6_20616 Depth=2
	s_or_b32 exec_lo, exec_lo, s11
                                        ; implicit-def: $vgpr3
                                        ; implicit-def: $vgpr4
.LBB6_21098:                            ;   in Loop: Header=BB6_20616 Depth=2
	s_and_not1_saveexec_b32 s11, s28
	s_cbranch_execz .LBB6_20615
; %bb.21099:                            ;   in Loop: Header=BB6_20616 Depth=2
	s_mov_b32 s28, exec_lo
                                        ; implicit-def: $vgpr2
	v_cmpx_ne_u64_e32 0, v[54:55]
	s_xor_b32 s28, exec_lo, s28
; %bb.21100:                            ;   in Loop: Header=BB6_20616 Depth=2
	v_or_b32_e32 v2, 0x7f, v4
                                        ; implicit-def: $vgpr3
; %bb.21101:                            ;   in Loop: Header=BB6_20616 Depth=2
	s_and_not1_saveexec_b32 s28, s28
	s_cbranch_execz .LBB6_20614
; %bb.21102:                            ;   in Loop: Header=BB6_20616 Depth=2
	v_cmp_lt_i32_e32 vcc_lo, -1, v3
	v_cndmask_b32_e32 v2, 0xfc, v30, vcc_lo
	s_branch .LBB6_20614
.LBB6_21103:                            ;   in Loop: Header=BB6_16686 Depth=1
	s_or_b32 exec_lo, exec_lo, s25
.LBB6_21104:                            ;   in Loop: Header=BB6_16686 Depth=1
	s_delay_alu instid0(SALU_CYCLE_1) | instskip(SKIP_4) | instid1(VALU_DEP_2)
	s_or_b32 exec_lo, exec_lo, s24
	v_cmp_lt_i32_e32 vcc_lo, 0, v9
	v_and_b32_e32 v0, 15, v97
	v_and_b32_e32 v1, 0x1f0, v97
	v_cndmask_b32_e32 v2, 0, v40, vcc_lo
	v_dual_cndmask_b32 v7, v6, v0, s10 :: v_dual_cndmask_b32 v0, 0, v1, s10
	s_delay_alu instid0(VALU_DEP_2) | instskip(NEXT) | instid1(VALU_DEP_2)
	v_sub_nc_u32_e32 v1, v2, v9
	v_cmp_ne_u32_e32 vcc_lo, 0, v7
	s_delay_alu instid0(VALU_DEP_3) | instskip(NEXT) | instid1(VALU_DEP_3)
	v_and_or_b32 v6, 0x3ffffe00, v97, v0
	v_lshl_add_u32 v8, v1, 5, v8
	s_and_b32 s10, vcc_lo, exec_lo
.LBB6_21105:                            ;   in Loop: Header=BB6_16686 Depth=1
	s_or_b32 exec_lo, exec_lo, s23
	s_and_saveexec_b32 s23, s10
	s_cbranch_execz .LBB6_22252
.LBB6_21106:                            ;   in Loop: Header=BB6_16686 Depth=1
	s_wait_loadcnt 0x0
	v_dual_ashrrev_i32 v0, 31, v8 :: v_dual_lshrrev_b32 v1, 10, v7
	s_mov_b32 s24, exec_lo
	s_delay_alu instid0(VALU_DEP_1) | instskip(NEXT) | instid1(VALU_DEP_1)
	v_lshrrev_b32_e32 v0, 27, v0
	v_add_nc_u32_e32 v0, v8, v0
	s_delay_alu instid0(VALU_DEP_1) | instskip(NEXT) | instid1(VALU_DEP_1)
	v_ashrrev_i32_e32 v9, 5, v0
	v_sub_nc_u32_e32 v12, v1, v9
	s_delay_alu instid0(VALU_DEP_1)
	v_cmpx_lt_i32_e32 0, v12
	s_cbranch_execz .LBB6_22206
; %bb.21107:                            ;   in Loop: Header=BB6_16686 Depth=1
	v_and_b32_e32 v0, 0xffffffe0, v0
	s_mov_b32 s25, 0
	s_delay_alu instid0(VALU_DEP_1) | instskip(NEXT) | instid1(VALU_DEP_1)
	v_dual_lshlrev_b32 v1, 10, v9 :: v_dual_sub_nc_u32 v0, v8, v0
	v_add3_u32 v2, v6, v0, v1
	s_delay_alu instid0(VALU_DEP_1)
	v_ashrrev_i32_e32 v3, 31, v2
	s_branch .LBB6_21110
.LBB6_21108:                            ;   in Loop: Header=BB6_21110 Depth=2
	s_or_b32 exec_lo, exec_lo, s11
.LBB6_21109:                            ;   in Loop: Header=BB6_21110 Depth=2
	s_delay_alu instid0(SALU_CYCLE_1)
	s_or_b32 exec_lo, exec_lo, s10
	v_sub_nc_u32_e32 v12, v12, v40
	v_add_nc_u64_e32 v[4:5], v[2:3], v[100:101]
	v_add_nc_u64_e32 v[98:99], v[98:99], v[82:83]
	;; [unrolled: 1-line block ×3, first 2 shown]
	s_clause 0x7
	flat_store_b8 v[4:5], v13 th:TH_STORE_NT
	flat_store_b8 v[4:5], v14 offset:32 th:TH_STORE_NT
	flat_store_b8 v[4:5], v15 offset:64 th:TH_STORE_NT
	;; [unrolled: 1-line block ×7, first 2 shown]
	v_cmp_gt_i32_e32 vcc_lo, 1, v12
	s_clause 0x17
	flat_store_b8 v[4:5], v21 offset:256 th:TH_STORE_NT
	flat_store_b8 v[4:5], v22 offset:288 th:TH_STORE_NT
	;; [unrolled: 1-line block ×24, first 2 shown]
	s_or_b32 s25, vcc_lo, s25
	s_wait_xcnt 0x0
	s_and_not1_b32 exec_lo, exec_lo, s25
	s_cbranch_execz .LBB6_22205
.LBB6_21110:                            ;   Parent Loop BB6_16686 Depth=1
                                        ; =>  This Inner Loop Header: Depth=2
	s_trap 2
	ds_load_b64 v[0:1], v0
	s_mov_b32 s26, 0
	s_wait_dscnt 0x0
	v_and_b32_e32 v4, 0xff, v0
	v_readfirstlane_b32 s10, v0
	v_readfirstlane_b32 s11, v1
	s_delay_alu instid0(VALU_DEP_3)
	v_cmp_eq_u32_e32 vcc_lo, 0, v4
	s_cbranch_vccnz .LBB6_21118
; %bb.21111:                            ;   in Loop: Header=BB6_21110 Depth=2
	s_bfe_i32 s28, s10, 0x80000
	s_delay_alu instid0(SALU_CYCLE_1) | instskip(NEXT) | instid1(SALU_CYCLE_1)
	s_and_b32 s26, 0xffff, s28
	s_cmp_eq_u32 s26, 0xff80
	s_brev_b32 s26, 1
	s_cbranch_scc1 .LBB6_21118
; %bb.21112:                            ;   in Loop: Header=BB6_21110 Depth=2
	s_and_b32 s26, s10, 0x7c
	s_and_b32 s27, s10, 3
	s_mov_b32 s29, -1
	s_cmp_lg_u32 s26, 0x7c
	s_sext_i32_i16 s28, s28
                                        ; implicit-def: $sgpr26
	s_cbranch_scc0 .LBB6_21116
; %bb.21113:                            ;   in Loop: Header=BB6_21110 Depth=2
	s_bfe_u32 s26, s10, 0x50002
	s_mov_b32 s29, s27
	s_cmp_lg_u32 s26, 0
	s_cbranch_scc1 .LBB6_21115
; %bb.21114:                            ;   in Loop: Header=BB6_21110 Depth=2
	s_clz_i32_u32 s26, s27
	s_delay_alu instid0(SALU_CYCLE_1) | instskip(NEXT) | instid1(SALU_CYCLE_1)
	s_min_u32 s26, s26, 32
	s_sub_co_i32 s29, s26, 29
	s_sub_co_i32 s26, 30, s26
	s_lshl_b64 s[10:11], s[10:11], s29
	s_delay_alu instid0(SALU_CYCLE_1)
	s_and_b32 s29, s10, 3
.LBB6_21115:                            ;   in Loop: Header=BB6_21110 Depth=2
	s_and_b32 s10, s28, 0x80000000
	s_lshl_b32 s11, s26, 23
	s_lshl_b32 s26, s29, 21
	s_add_co_i32 s11, s11, s10
	s_mov_b32 s29, 0
	s_or_b32 s10, s11, s26
	s_delay_alu instid0(SALU_CYCLE_1)
	s_add_co_i32 s26, s10, 0x38000000
.LBB6_21116:                            ;   in Loop: Header=BB6_21110 Depth=2
	s_and_b32 vcc_lo, exec_lo, s29
	s_cbranch_vccz .LBB6_21118
; %bb.21117:                            ;   in Loop: Header=BB6_21110 Depth=2
	s_cmp_gt_i32 s28, -1
	s_cselect_b32 s10, s20, 0xff800000
	s_cmp_eq_u32 s27, 0
	s_cselect_b32 s26, s10, 0x7f800001
.LBB6_21118:                            ;   in Loop: Header=BB6_21110 Depth=2
	v_add_nc_u64_e32 v[10:11], v[2:3], v[98:99]
	v_mov_b32_e32 v4, 0
	s_mov_b32 s10, exec_lo
	flat_load_i8 v0, v[10:11] th:TH_LOAD_NT
	s_wait_loadcnt_dscnt 0x0
	v_cmpx_ne_u16_e32 0, v0
	s_cbranch_execz .LBB6_21128
; %bb.21119:                            ;   in Loop: Header=BB6_21110 Depth=2
	v_bfrev_b32_e32 v4, 1
	s_mov_b32 s11, exec_lo
	v_cmpx_ne_u16_e32 0xff80, v0
	s_cbranch_execz .LBB6_21127
; %bb.21120:                            ;   in Loop: Header=BB6_21110 Depth=2
	v_and_b32_e32 v4, 0x7c, v0
	v_and_b32_e32 v1, 3, v0
	s_delay_alu instid0(VALU_DEP_2) | instskip(SKIP_1) | instid1(SALU_CYCLE_1)
	v_cmp_ne_u32_e32 vcc_lo, 0x7c, v4
                                        ; implicit-def: $vgpr4
	s_and_saveexec_b32 s27, vcc_lo
	s_xor_b32 s27, exec_lo, s27
	s_cbranch_execz .LBB6_21124
; %bb.21121:                            ;   in Loop: Header=BB6_21110 Depth=2
	v_and_b32_e32 v4, 0xff, v0
	s_mov_b32 s28, exec_lo
	s_delay_alu instid0(VALU_DEP_1) | instskip(NEXT) | instid1(VALU_DEP_1)
	v_bfe_u32 v4, v4, 2, 5
	v_cmpx_eq_u32_e32 0, v4
	s_cbranch_execz .LBB6_21123
; %bb.21122:                            ;   in Loop: Header=BB6_21110 Depth=2
	v_clz_i32_u32_e32 v1, v1
	s_delay_alu instid0(VALU_DEP_1) | instskip(SKIP_1) | instid1(VALU_DEP_2)
	v_min_u32_e32 v4, 32, v1
	v_mov_b32_e32 v1, v55
	v_subrev_nc_u32_e32 v5, 29, v4
	v_sub_nc_u32_e32 v4, 30, v4
	s_delay_alu instid0(VALU_DEP_2) | instskip(NEXT) | instid1(VALU_DEP_1)
	v_lshlrev_b64_e32 v[14:15], v5, v[0:1]
	v_and_b32_e32 v1, 3, v14
.LBB6_21123:                            ;   in Loop: Header=BB6_21110 Depth=2
	s_or_b32 exec_lo, exec_lo, s28
	v_bfe_i32 v0, v0, 0, 16
	s_delay_alu instid0(VALU_DEP_1) | instskip(NEXT) | instid1(VALU_DEP_1)
	v_and_b32_e32 v0, 0x80000000, v0
	v_lshl_add_u32 v0, v4, 23, v0
	s_delay_alu instid0(VALU_DEP_1) | instskip(NEXT) | instid1(VALU_DEP_1)
	v_lshl_or_b32 v0, v1, 21, v0
                                        ; implicit-def: $vgpr1
	v_add_nc_u32_e32 v4, 0x38000000, v0
                                        ; implicit-def: $vgpr0
.LBB6_21124:                            ;   in Loop: Header=BB6_21110 Depth=2
	s_and_not1_saveexec_b32 s27, s27
; %bb.21125:                            ;   in Loop: Header=BB6_21110 Depth=2
	v_cmp_lt_i16_e32 vcc_lo, -1, v0
	v_cndmask_b32_e32 v0, 0xff800000, v29, vcc_lo
	v_cmp_eq_u32_e32 vcc_lo, 0, v1
	s_delay_alu instid0(VALU_DEP_2)
	v_cndmask_b32_e32 v4, 0x7f800001, v0, vcc_lo
; %bb.21126:                            ;   in Loop: Header=BB6_21110 Depth=2
	s_or_b32 exec_lo, exec_lo, s27
.LBB6_21127:                            ;   in Loop: Header=BB6_21110 Depth=2
	s_delay_alu instid0(SALU_CYCLE_1)
	s_or_b32 exec_lo, exec_lo, s11
.LBB6_21128:                            ;   in Loop: Header=BB6_21110 Depth=2
	s_delay_alu instid0(SALU_CYCLE_1) | instskip(NEXT) | instid1(VALU_DEP_1)
	s_or_b32 exec_lo, exec_lo, s10
	v_dual_mul_f32 v0, s26, v4 :: v_dual_mov_b32 v5, v55
                                        ; implicit-def: $vgpr13
	s_mov_b32 s10, exec_lo
	s_delay_alu instid0(VALU_DEP_1) | instskip(SKIP_1) | instid1(VALU_DEP_2)
	v_and_b32_e32 v4, 0x7f800000, v0
	v_and_b32_e32 v54, 0x7fffff, v0
	v_cmpx_ne_u64_e32 0x7f800000, v[4:5]
	s_xor_b32 s11, exec_lo, s10
	s_cbranch_execz .LBB6_21146
; %bb.21129:                            ;   in Loop: Header=BB6_21110 Depth=2
	v_dual_mov_b32 v5, v55 :: v_dual_lshrrev_b32 v1, 24, v0
	v_and_b32_e32 v4, 0x7fffffff, v0
                                        ; implicit-def: $vgpr13
	s_mov_b32 s10, exec_lo
	s_delay_alu instid0(VALU_DEP_2) | instskip(NEXT) | instid1(VALU_DEP_2)
	v_and_b32_e32 v14, 0x80, v1
	v_cmpx_gt_u64_e32 0x47600001, v[4:5]
	s_xor_b32 s27, exec_lo, s10
	s_cbranch_execz .LBB6_21143
; %bb.21130:                            ;   in Loop: Header=BB6_21110 Depth=2
	v_mov_b32_e32 v13, 0
	s_mov_b32 s28, exec_lo
	v_cmpx_ne_u32_e32 0, v0
	s_cbranch_execz .LBB6_21142
; %bb.21131:                            ;   in Loop: Header=BB6_21110 Depth=2
	v_bfe_u32 v13, v0, 23, 8
	v_or_b32_e32 v4, 0x800000, v54
	s_mov_b32 s29, exec_lo
	s_delay_alu instid0(VALU_DEP_2) | instskip(SKIP_1) | instid1(VALU_DEP_2)
	v_dual_mov_b32 v5, v55 :: v_dual_sub_nc_u32 v0, 0x71, v13
	v_cmp_gt_u32_e32 vcc_lo, 0x72, v13
	v_cndmask_b32_e32 v0, 0, v0, vcc_lo
	v_cmp_eq_u32_e32 vcc_lo, 0, v13
	s_delay_alu instid0(VALU_DEP_2) | instskip(NEXT) | instid1(VALU_DEP_1)
	v_cndmask_b32_e64 v15, v0, 0x70, vcc_lo
	v_dual_cndmask_b32 v4, v4, v54, vcc_lo :: v_dual_add_nc_u32 v0, 21, v15
	v_add_nc_u32_e32 v16, 20, v15
	s_delay_alu instid0(VALU_DEP_2) | instskip(NEXT) | instid1(VALU_DEP_2)
	v_lshlrev_b64_e64 v[0:1], v0, -1
	v_lshlrev_b64_e64 v[16:17], v16, 1
	s_delay_alu instid0(VALU_DEP_2) | instskip(NEXT) | instid1(VALU_DEP_3)
	v_bfi_b32 v19, v1, 0, 0
	v_bfi_b32 v18, v0, 0, v4
	v_lshrrev_b64 v[0:1], v15, v[4:5]
	s_delay_alu instid0(VALU_DEP_1) | instskip(NEXT) | instid1(VALU_DEP_3)
	v_mov_b64_e32 v[4:5], v[0:1]
	v_cmpx_eq_u64_e64 v[18:19], v[16:17]
; %bb.21132:                            ;   in Loop: Header=BB6_21110 Depth=2
	v_bfe_u32 v4, v0, 21, 1
	v_mov_b32_e32 v5, v55
	s_delay_alu instid0(VALU_DEP_1) | instskip(NEXT) | instid1(VALU_DEP_1)
	v_add_nc_u64_e32 v[4:5], v[0:1], v[4:5]
	v_add_nc_u64_e32 v[4:5], -1, v[4:5]
; %bb.21133:                            ;   in Loop: Header=BB6_21110 Depth=2
	s_or_b32 exec_lo, exec_lo, s29
	v_add_nc_u32_e32 v1, 0xffffff81, v13
	s_delay_alu instid0(VALU_DEP_2) | instskip(SKIP_2) | instid1(VALU_DEP_3)
	v_and_b32_e32 v4, 0x1fffff, v4
	v_lshrrev_b32_e32 v5, 23, v0
	s_mov_b32 s10, exec_lo
	v_cndmask_b32_e64 v1, v1, 0xffffff82, vcc_lo
	s_delay_alu instid0(VALU_DEP_3) | instskip(NEXT) | instid1(VALU_DEP_2)
	v_add_nc_u32_e32 v54, v4, v0
                                        ; implicit-def: $vgpr4
	v_add3_u32 v5, v15, v1, v5
                                        ; implicit-def: $vgpr0_vgpr1
	s_delay_alu instid0(VALU_DEP_1) | instskip(NEXT) | instid1(VALU_DEP_1)
	v_add_nc_u32_e32 v13, 14, v5
	v_cmpx_ne_u32_e32 0, v13
	s_xor_b32 s10, exec_lo, s10
; %bb.21134:                            ;   in Loop: Header=BB6_21110 Depth=2
	v_cmp_lt_u64_e32 vcc_lo, 0xffffff, v[54:55]
	v_add_nc_u32_e32 v0, 15, v5
	s_delay_alu instid0(VALU_DEP_1) | instskip(SKIP_1) | instid1(VALU_DEP_1)
	v_cndmask_b32_e32 v4, v13, v0, vcc_lo
	v_cndmask_b32_e64 v0, 0, 1, vcc_lo
	v_lshrrev_b64 v[0:1], v0, v[54:55]
; %bb.21135:                            ;   in Loop: Header=BB6_21110 Depth=2
	s_and_not1_saveexec_b32 s10, s10
; %bb.21136:                            ;   in Loop: Header=BB6_21110 Depth=2
	v_mov_b64_e32 v[0:1], v[54:55]
	v_bfe_u32 v4, v54, 23, 1
; %bb.21137:                            ;   in Loop: Header=BB6_21110 Depth=2
	s_or_b32 exec_lo, exec_lo, s10
	s_delay_alu instid0(VALU_DEP_2) | instskip(NEXT) | instid1(VALU_DEP_2)
	v_lshrrev_b64 v[0:1], 21, v[0:1]
	v_cmp_gt_i32_e32 vcc_lo, 32, v4
	v_cmp_ne_u32_e64 s10, 0, v4
                                        ; implicit-def: $vgpr13
	s_delay_alu instid0(VALU_DEP_3) | instskip(NEXT) | instid1(VALU_DEP_1)
	v_dual_cndmask_b32 v1, 0, v1 :: v_dual_cndmask_b32 v0, 3, v0
	v_cmp_ne_u64_e32 vcc_lo, 0, v[0:1]
	s_or_b32 s10, s10, vcc_lo
	s_delay_alu instid0(SALU_CYCLE_1) | instskip(NEXT) | instid1(SALU_CYCLE_1)
	s_and_saveexec_b32 s29, s10
	s_xor_b32 s10, exec_lo, s29
; %bb.21138:                            ;   in Loop: Header=BB6_21110 Depth=2
	v_min_i32_e32 v1, 31, v4
	s_delay_alu instid0(VALU_DEP_1) | instskip(NEXT) | instid1(VALU_DEP_1)
	v_lshl_or_b32 v1, v1, 2, v14
                                        ; implicit-def: $vgpr14
	v_and_or_b32 v13, v0, 3, v1
; %bb.21139:                            ;   in Loop: Header=BB6_21110 Depth=2
	s_and_not1_saveexec_b32 s10, s10
; %bb.21140:                            ;   in Loop: Header=BB6_21110 Depth=2
	v_mov_b32_e32 v13, v14
; %bb.21141:                            ;   in Loop: Header=BB6_21110 Depth=2
	s_or_b32 exec_lo, exec_lo, s10
.LBB6_21142:                            ;   in Loop: Header=BB6_21110 Depth=2
	s_delay_alu instid0(SALU_CYCLE_1)
	s_or_b32 exec_lo, exec_lo, s28
                                        ; implicit-def: $vgpr14
.LBB6_21143:                            ;   in Loop: Header=BB6_21110 Depth=2
	s_and_not1_saveexec_b32 s10, s27
; %bb.21144:                            ;   in Loop: Header=BB6_21110 Depth=2
	v_or_b32_e32 v13, 0x7b, v14
; %bb.21145:                            ;   in Loop: Header=BB6_21110 Depth=2
	s_or_b32 exec_lo, exec_lo, s10
                                        ; implicit-def: $vgpr0
.LBB6_21146:                            ;   in Loop: Header=BB6_21110 Depth=2
	s_and_not1_saveexec_b32 s10, s11
	s_cbranch_execz .LBB6_21152
; %bb.21147:                            ;   in Loop: Header=BB6_21110 Depth=2
	s_mov_b32 s11, exec_lo
                                        ; implicit-def: $vgpr13
	v_cmpx_ne_u64_e32 0, v[54:55]
	s_xor_b32 s11, exec_lo, s11
; %bb.21148:                            ;   in Loop: Header=BB6_21110 Depth=2
	v_lshrrev_b32_e32 v0, 24, v0
	s_delay_alu instid0(VALU_DEP_1)
	v_or_b32_e32 v13, 0x7f, v0
                                        ; implicit-def: $vgpr0
; %bb.21149:                            ;   in Loop: Header=BB6_21110 Depth=2
	s_and_not1_saveexec_b32 s11, s11
; %bb.21150:                            ;   in Loop: Header=BB6_21110 Depth=2
	v_cmp_lt_i32_e32 vcc_lo, -1, v0
	v_cndmask_b32_e64 v13, -4, 0x7c, vcc_lo
; %bb.21151:                            ;   in Loop: Header=BB6_21110 Depth=2
	s_or_b32 exec_lo, exec_lo, s11
.LBB6_21152:                            ;   in Loop: Header=BB6_21110 Depth=2
	s_delay_alu instid0(SALU_CYCLE_1)
	s_or_b32 exec_lo, exec_lo, s10
	flat_load_i8 v0, v[10:11] offset:32 th:TH_LOAD_NT
	v_mov_b32_e32 v4, 0
	s_mov_b32 s10, exec_lo
	s_wait_loadcnt_dscnt 0x0
	v_cmpx_ne_u16_e32 0, v0
	s_cbranch_execz .LBB6_21162
; %bb.21153:                            ;   in Loop: Header=BB6_21110 Depth=2
	v_bfrev_b32_e32 v4, 1
	s_mov_b32 s11, exec_lo
	v_cmpx_ne_u16_e32 0xff80, v0
	s_cbranch_execz .LBB6_21161
; %bb.21154:                            ;   in Loop: Header=BB6_21110 Depth=2
	v_and_b32_e32 v4, 0x7c, v0
	v_and_b32_e32 v1, 3, v0
	s_delay_alu instid0(VALU_DEP_2) | instskip(SKIP_1) | instid1(SALU_CYCLE_1)
	v_cmp_ne_u32_e32 vcc_lo, 0x7c, v4
                                        ; implicit-def: $vgpr4
	s_and_saveexec_b32 s27, vcc_lo
	s_xor_b32 s27, exec_lo, s27
	s_cbranch_execz .LBB6_21158
; %bb.21155:                            ;   in Loop: Header=BB6_21110 Depth=2
	v_and_b32_e32 v4, 0xff, v0
	s_mov_b32 s28, exec_lo
	s_delay_alu instid0(VALU_DEP_1) | instskip(NEXT) | instid1(VALU_DEP_1)
	v_bfe_u32 v4, v4, 2, 5
	v_cmpx_eq_u32_e32 0, v4
	s_cbranch_execz .LBB6_21157
; %bb.21156:                            ;   in Loop: Header=BB6_21110 Depth=2
	v_clz_i32_u32_e32 v1, v1
	s_delay_alu instid0(VALU_DEP_1) | instskip(SKIP_1) | instid1(VALU_DEP_2)
	v_min_u32_e32 v4, 32, v1
	v_mov_b32_e32 v1, v55
	v_subrev_nc_u32_e32 v5, 29, v4
	v_sub_nc_u32_e32 v4, 30, v4
	s_delay_alu instid0(VALU_DEP_2) | instskip(NEXT) | instid1(VALU_DEP_1)
	v_lshlrev_b64_e32 v[14:15], v5, v[0:1]
	v_and_b32_e32 v1, 3, v14
.LBB6_21157:                            ;   in Loop: Header=BB6_21110 Depth=2
	s_or_b32 exec_lo, exec_lo, s28
	v_bfe_i32 v0, v0, 0, 16
	s_delay_alu instid0(VALU_DEP_1) | instskip(NEXT) | instid1(VALU_DEP_1)
	v_and_b32_e32 v0, 0x80000000, v0
	v_lshl_add_u32 v0, v4, 23, v0
	s_delay_alu instid0(VALU_DEP_1) | instskip(NEXT) | instid1(VALU_DEP_1)
	v_lshl_or_b32 v0, v1, 21, v0
                                        ; implicit-def: $vgpr1
	v_add_nc_u32_e32 v4, 0x38000000, v0
                                        ; implicit-def: $vgpr0
.LBB6_21158:                            ;   in Loop: Header=BB6_21110 Depth=2
	s_and_not1_saveexec_b32 s27, s27
; %bb.21159:                            ;   in Loop: Header=BB6_21110 Depth=2
	v_cmp_lt_i16_e32 vcc_lo, -1, v0
	v_cndmask_b32_e32 v0, 0xff800000, v29, vcc_lo
	v_cmp_eq_u32_e32 vcc_lo, 0, v1
	s_delay_alu instid0(VALU_DEP_2)
	v_cndmask_b32_e32 v4, 0x7f800001, v0, vcc_lo
; %bb.21160:                            ;   in Loop: Header=BB6_21110 Depth=2
	s_or_b32 exec_lo, exec_lo, s27
.LBB6_21161:                            ;   in Loop: Header=BB6_21110 Depth=2
	s_delay_alu instid0(SALU_CYCLE_1)
	s_or_b32 exec_lo, exec_lo, s11
.LBB6_21162:                            ;   in Loop: Header=BB6_21110 Depth=2
	s_delay_alu instid0(SALU_CYCLE_1) | instskip(NEXT) | instid1(VALU_DEP_1)
	s_or_b32 exec_lo, exec_lo, s10
	v_dual_mul_f32 v0, s26, v4 :: v_dual_mov_b32 v5, v55
                                        ; implicit-def: $vgpr14
	s_mov_b32 s10, exec_lo
	s_delay_alu instid0(VALU_DEP_1) | instskip(SKIP_1) | instid1(VALU_DEP_2)
	v_and_b32_e32 v4, 0x7f800000, v0
	v_and_b32_e32 v54, 0x7fffff, v0
	v_cmpx_ne_u64_e32 0x7f800000, v[4:5]
	s_xor_b32 s11, exec_lo, s10
	s_cbranch_execz .LBB6_21180
; %bb.21163:                            ;   in Loop: Header=BB6_21110 Depth=2
	v_dual_mov_b32 v5, v55 :: v_dual_lshrrev_b32 v1, 24, v0
	v_and_b32_e32 v4, 0x7fffffff, v0
                                        ; implicit-def: $vgpr14
	s_mov_b32 s10, exec_lo
	s_delay_alu instid0(VALU_DEP_2) | instskip(NEXT) | instid1(VALU_DEP_2)
	v_and_b32_e32 v15, 0x80, v1
	v_cmpx_gt_u64_e32 0x47600001, v[4:5]
	s_xor_b32 s27, exec_lo, s10
	s_cbranch_execz .LBB6_21177
; %bb.21164:                            ;   in Loop: Header=BB6_21110 Depth=2
	v_mov_b32_e32 v14, 0
	s_mov_b32 s28, exec_lo
	v_cmpx_ne_u32_e32 0, v0
	s_cbranch_execz .LBB6_21176
; %bb.21165:                            ;   in Loop: Header=BB6_21110 Depth=2
	v_bfe_u32 v14, v0, 23, 8
	v_or_b32_e32 v4, 0x800000, v54
	s_mov_b32 s29, exec_lo
	s_delay_alu instid0(VALU_DEP_2) | instskip(SKIP_1) | instid1(VALU_DEP_2)
	v_dual_mov_b32 v5, v55 :: v_dual_sub_nc_u32 v0, 0x71, v14
	v_cmp_gt_u32_e32 vcc_lo, 0x72, v14
	v_cndmask_b32_e32 v0, 0, v0, vcc_lo
	v_cmp_eq_u32_e32 vcc_lo, 0, v14
	v_cndmask_b32_e32 v4, v4, v54, vcc_lo
	s_delay_alu instid0(VALU_DEP_3) | instskip(NEXT) | instid1(VALU_DEP_1)
	v_cndmask_b32_e64 v16, v0, 0x70, vcc_lo
	v_dual_add_nc_u32 v0, 21, v16 :: v_dual_add_nc_u32 v17, 20, v16
	s_delay_alu instid0(VALU_DEP_1) | instskip(NEXT) | instid1(VALU_DEP_2)
	v_lshlrev_b64_e64 v[0:1], v0, -1
	v_lshlrev_b64_e64 v[18:19], v17, 1
	s_delay_alu instid0(VALU_DEP_2) | instskip(NEXT) | instid1(VALU_DEP_3)
	v_bfi_b32 v21, v1, 0, 0
	v_bfi_b32 v20, v0, 0, v4
	v_lshrrev_b64 v[0:1], v16, v[4:5]
	s_delay_alu instid0(VALU_DEP_1) | instskip(NEXT) | instid1(VALU_DEP_3)
	v_mov_b64_e32 v[4:5], v[0:1]
	v_cmpx_eq_u64_e64 v[20:21], v[18:19]
; %bb.21166:                            ;   in Loop: Header=BB6_21110 Depth=2
	v_bfe_u32 v4, v0, 21, 1
	v_mov_b32_e32 v5, v55
	s_delay_alu instid0(VALU_DEP_1) | instskip(NEXT) | instid1(VALU_DEP_1)
	v_add_nc_u64_e32 v[4:5], v[0:1], v[4:5]
	v_add_nc_u64_e32 v[4:5], -1, v[4:5]
; %bb.21167:                            ;   in Loop: Header=BB6_21110 Depth=2
	s_or_b32 exec_lo, exec_lo, s29
	v_add_nc_u32_e32 v1, 0xffffff81, v14
	s_delay_alu instid0(VALU_DEP_2) | instskip(SKIP_2) | instid1(VALU_DEP_3)
	v_and_b32_e32 v4, 0x1fffff, v4
	v_lshrrev_b32_e32 v5, 23, v0
	s_mov_b32 s10, exec_lo
	v_cndmask_b32_e64 v1, v1, 0xffffff82, vcc_lo
	s_delay_alu instid0(VALU_DEP_3) | instskip(NEXT) | instid1(VALU_DEP_2)
	v_add_nc_u32_e32 v54, v4, v0
                                        ; implicit-def: $vgpr4
	v_add3_u32 v5, v16, v1, v5
                                        ; implicit-def: $vgpr0_vgpr1
	s_delay_alu instid0(VALU_DEP_1) | instskip(NEXT) | instid1(VALU_DEP_1)
	v_add_nc_u32_e32 v14, 14, v5
	v_cmpx_ne_u32_e32 0, v14
	s_xor_b32 s10, exec_lo, s10
; %bb.21168:                            ;   in Loop: Header=BB6_21110 Depth=2
	v_cmp_lt_u64_e32 vcc_lo, 0xffffff, v[54:55]
	v_add_nc_u32_e32 v0, 15, v5
	s_delay_alu instid0(VALU_DEP_1) | instskip(SKIP_1) | instid1(VALU_DEP_1)
	v_cndmask_b32_e32 v4, v14, v0, vcc_lo
	v_cndmask_b32_e64 v0, 0, 1, vcc_lo
	v_lshrrev_b64 v[0:1], v0, v[54:55]
; %bb.21169:                            ;   in Loop: Header=BB6_21110 Depth=2
	s_and_not1_saveexec_b32 s10, s10
; %bb.21170:                            ;   in Loop: Header=BB6_21110 Depth=2
	v_mov_b64_e32 v[0:1], v[54:55]
	v_bfe_u32 v4, v54, 23, 1
; %bb.21171:                            ;   in Loop: Header=BB6_21110 Depth=2
	s_or_b32 exec_lo, exec_lo, s10
	s_delay_alu instid0(VALU_DEP_2) | instskip(NEXT) | instid1(VALU_DEP_2)
	v_lshrrev_b64 v[0:1], 21, v[0:1]
	v_cmp_gt_i32_e32 vcc_lo, 32, v4
	v_cmp_ne_u32_e64 s10, 0, v4
                                        ; implicit-def: $vgpr14
	s_delay_alu instid0(VALU_DEP_3) | instskip(NEXT) | instid1(VALU_DEP_1)
	v_dual_cndmask_b32 v1, 0, v1 :: v_dual_cndmask_b32 v0, 3, v0
	v_cmp_ne_u64_e32 vcc_lo, 0, v[0:1]
	s_or_b32 s10, s10, vcc_lo
	s_delay_alu instid0(SALU_CYCLE_1) | instskip(NEXT) | instid1(SALU_CYCLE_1)
	s_and_saveexec_b32 s29, s10
	s_xor_b32 s10, exec_lo, s29
; %bb.21172:                            ;   in Loop: Header=BB6_21110 Depth=2
	v_min_i32_e32 v1, 31, v4
	s_delay_alu instid0(VALU_DEP_1) | instskip(NEXT) | instid1(VALU_DEP_1)
	v_lshl_or_b32 v1, v1, 2, v15
                                        ; implicit-def: $vgpr15
	v_and_or_b32 v14, v0, 3, v1
; %bb.21173:                            ;   in Loop: Header=BB6_21110 Depth=2
	s_and_not1_saveexec_b32 s10, s10
; %bb.21174:                            ;   in Loop: Header=BB6_21110 Depth=2
	v_mov_b32_e32 v14, v15
; %bb.21175:                            ;   in Loop: Header=BB6_21110 Depth=2
	s_or_b32 exec_lo, exec_lo, s10
.LBB6_21176:                            ;   in Loop: Header=BB6_21110 Depth=2
	s_delay_alu instid0(SALU_CYCLE_1)
	s_or_b32 exec_lo, exec_lo, s28
                                        ; implicit-def: $vgpr15
.LBB6_21177:                            ;   in Loop: Header=BB6_21110 Depth=2
	s_and_not1_saveexec_b32 s10, s27
; %bb.21178:                            ;   in Loop: Header=BB6_21110 Depth=2
	v_or_b32_e32 v14, 0x7b, v15
; %bb.21179:                            ;   in Loop: Header=BB6_21110 Depth=2
	s_or_b32 exec_lo, exec_lo, s10
                                        ; implicit-def: $vgpr0
.LBB6_21180:                            ;   in Loop: Header=BB6_21110 Depth=2
	s_and_not1_saveexec_b32 s10, s11
	s_cbranch_execz .LBB6_21186
; %bb.21181:                            ;   in Loop: Header=BB6_21110 Depth=2
	s_mov_b32 s11, exec_lo
                                        ; implicit-def: $vgpr14
	v_cmpx_ne_u64_e32 0, v[54:55]
	s_xor_b32 s11, exec_lo, s11
; %bb.21182:                            ;   in Loop: Header=BB6_21110 Depth=2
	v_lshrrev_b32_e32 v0, 24, v0
	s_delay_alu instid0(VALU_DEP_1)
	v_or_b32_e32 v14, 0x7f, v0
                                        ; implicit-def: $vgpr0
; %bb.21183:                            ;   in Loop: Header=BB6_21110 Depth=2
	s_and_not1_saveexec_b32 s11, s11
; %bb.21184:                            ;   in Loop: Header=BB6_21110 Depth=2
	v_cmp_lt_i32_e32 vcc_lo, -1, v0
	v_cndmask_b32_e64 v14, -4, 0x7c, vcc_lo
; %bb.21185:                            ;   in Loop: Header=BB6_21110 Depth=2
	s_or_b32 exec_lo, exec_lo, s11
.LBB6_21186:                            ;   in Loop: Header=BB6_21110 Depth=2
	s_delay_alu instid0(SALU_CYCLE_1)
	s_or_b32 exec_lo, exec_lo, s10
	flat_load_i8 v0, v[10:11] offset:64 th:TH_LOAD_NT
	v_mov_b32_e32 v4, 0
	s_mov_b32 s10, exec_lo
	s_wait_loadcnt_dscnt 0x0
	v_cmpx_ne_u16_e32 0, v0
	s_cbranch_execz .LBB6_21196
; %bb.21187:                            ;   in Loop: Header=BB6_21110 Depth=2
	v_bfrev_b32_e32 v4, 1
	s_mov_b32 s11, exec_lo
	v_cmpx_ne_u16_e32 0xff80, v0
	s_cbranch_execz .LBB6_21195
; %bb.21188:                            ;   in Loop: Header=BB6_21110 Depth=2
	v_and_b32_e32 v4, 0x7c, v0
	v_and_b32_e32 v1, 3, v0
	s_delay_alu instid0(VALU_DEP_2) | instskip(SKIP_1) | instid1(SALU_CYCLE_1)
	v_cmp_ne_u32_e32 vcc_lo, 0x7c, v4
                                        ; implicit-def: $vgpr4
	s_and_saveexec_b32 s27, vcc_lo
	s_xor_b32 s27, exec_lo, s27
	s_cbranch_execz .LBB6_21192
; %bb.21189:                            ;   in Loop: Header=BB6_21110 Depth=2
	v_and_b32_e32 v4, 0xff, v0
	s_mov_b32 s28, exec_lo
	s_delay_alu instid0(VALU_DEP_1) | instskip(NEXT) | instid1(VALU_DEP_1)
	v_bfe_u32 v4, v4, 2, 5
	v_cmpx_eq_u32_e32 0, v4
	s_cbranch_execz .LBB6_21191
; %bb.21190:                            ;   in Loop: Header=BB6_21110 Depth=2
	v_clz_i32_u32_e32 v1, v1
	s_delay_alu instid0(VALU_DEP_1) | instskip(SKIP_1) | instid1(VALU_DEP_2)
	v_min_u32_e32 v4, 32, v1
	v_mov_b32_e32 v1, v55
	v_subrev_nc_u32_e32 v5, 29, v4
	v_sub_nc_u32_e32 v4, 30, v4
	s_delay_alu instid0(VALU_DEP_2) | instskip(NEXT) | instid1(VALU_DEP_1)
	v_lshlrev_b64_e32 v[16:17], v5, v[0:1]
	v_and_b32_e32 v1, 3, v16
.LBB6_21191:                            ;   in Loop: Header=BB6_21110 Depth=2
	s_or_b32 exec_lo, exec_lo, s28
	v_bfe_i32 v0, v0, 0, 16
	s_delay_alu instid0(VALU_DEP_1) | instskip(NEXT) | instid1(VALU_DEP_1)
	v_and_b32_e32 v0, 0x80000000, v0
	v_lshl_add_u32 v0, v4, 23, v0
	s_delay_alu instid0(VALU_DEP_1) | instskip(NEXT) | instid1(VALU_DEP_1)
	v_lshl_or_b32 v0, v1, 21, v0
                                        ; implicit-def: $vgpr1
	v_add_nc_u32_e32 v4, 0x38000000, v0
                                        ; implicit-def: $vgpr0
.LBB6_21192:                            ;   in Loop: Header=BB6_21110 Depth=2
	s_and_not1_saveexec_b32 s27, s27
; %bb.21193:                            ;   in Loop: Header=BB6_21110 Depth=2
	v_cmp_lt_i16_e32 vcc_lo, -1, v0
	v_cndmask_b32_e32 v0, 0xff800000, v29, vcc_lo
	v_cmp_eq_u32_e32 vcc_lo, 0, v1
	s_delay_alu instid0(VALU_DEP_2)
	v_cndmask_b32_e32 v4, 0x7f800001, v0, vcc_lo
; %bb.21194:                            ;   in Loop: Header=BB6_21110 Depth=2
	s_or_b32 exec_lo, exec_lo, s27
.LBB6_21195:                            ;   in Loop: Header=BB6_21110 Depth=2
	s_delay_alu instid0(SALU_CYCLE_1)
	s_or_b32 exec_lo, exec_lo, s11
.LBB6_21196:                            ;   in Loop: Header=BB6_21110 Depth=2
	s_delay_alu instid0(SALU_CYCLE_1) | instskip(NEXT) | instid1(VALU_DEP_1)
	s_or_b32 exec_lo, exec_lo, s10
	v_dual_mul_f32 v0, s26, v4 :: v_dual_mov_b32 v5, v55
                                        ; implicit-def: $vgpr15
	s_mov_b32 s10, exec_lo
	s_delay_alu instid0(VALU_DEP_1) | instskip(SKIP_1) | instid1(VALU_DEP_2)
	v_and_b32_e32 v4, 0x7f800000, v0
	v_and_b32_e32 v54, 0x7fffff, v0
	v_cmpx_ne_u64_e32 0x7f800000, v[4:5]
	s_xor_b32 s11, exec_lo, s10
	s_cbranch_execz .LBB6_21214
; %bb.21197:                            ;   in Loop: Header=BB6_21110 Depth=2
	v_dual_mov_b32 v5, v55 :: v_dual_lshrrev_b32 v1, 24, v0
	v_and_b32_e32 v4, 0x7fffffff, v0
                                        ; implicit-def: $vgpr15
	s_mov_b32 s10, exec_lo
	s_delay_alu instid0(VALU_DEP_2) | instskip(NEXT) | instid1(VALU_DEP_2)
	v_and_b32_e32 v16, 0x80, v1
	v_cmpx_gt_u64_e32 0x47600001, v[4:5]
	s_xor_b32 s27, exec_lo, s10
	s_cbranch_execz .LBB6_21211
; %bb.21198:                            ;   in Loop: Header=BB6_21110 Depth=2
	v_mov_b32_e32 v15, 0
	s_mov_b32 s28, exec_lo
	v_cmpx_ne_u32_e32 0, v0
	s_cbranch_execz .LBB6_21210
; %bb.21199:                            ;   in Loop: Header=BB6_21110 Depth=2
	v_bfe_u32 v15, v0, 23, 8
	v_or_b32_e32 v4, 0x800000, v54
	s_mov_b32 s29, exec_lo
	s_delay_alu instid0(VALU_DEP_2) | instskip(SKIP_1) | instid1(VALU_DEP_2)
	v_dual_mov_b32 v5, v55 :: v_dual_sub_nc_u32 v0, 0x71, v15
	v_cmp_gt_u32_e32 vcc_lo, 0x72, v15
	v_cndmask_b32_e32 v0, 0, v0, vcc_lo
	v_cmp_eq_u32_e32 vcc_lo, 0, v15
	s_delay_alu instid0(VALU_DEP_2) | instskip(NEXT) | instid1(VALU_DEP_1)
	v_cndmask_b32_e64 v17, v0, 0x70, vcc_lo
	v_dual_cndmask_b32 v4, v4, v54, vcc_lo :: v_dual_add_nc_u32 v0, 21, v17
	v_add_nc_u32_e32 v18, 20, v17
	s_delay_alu instid0(VALU_DEP_2) | instskip(NEXT) | instid1(VALU_DEP_2)
	v_lshlrev_b64_e64 v[0:1], v0, -1
	v_lshlrev_b64_e64 v[18:19], v18, 1
	s_delay_alu instid0(VALU_DEP_2) | instskip(NEXT) | instid1(VALU_DEP_3)
	v_bfi_b32 v21, v1, 0, 0
	v_bfi_b32 v20, v0, 0, v4
	v_lshrrev_b64 v[0:1], v17, v[4:5]
	s_delay_alu instid0(VALU_DEP_1) | instskip(NEXT) | instid1(VALU_DEP_3)
	v_mov_b64_e32 v[4:5], v[0:1]
	v_cmpx_eq_u64_e64 v[20:21], v[18:19]
; %bb.21200:                            ;   in Loop: Header=BB6_21110 Depth=2
	v_bfe_u32 v4, v0, 21, 1
	v_mov_b32_e32 v5, v55
	s_delay_alu instid0(VALU_DEP_1) | instskip(NEXT) | instid1(VALU_DEP_1)
	v_add_nc_u64_e32 v[4:5], v[0:1], v[4:5]
	v_add_nc_u64_e32 v[4:5], -1, v[4:5]
; %bb.21201:                            ;   in Loop: Header=BB6_21110 Depth=2
	s_or_b32 exec_lo, exec_lo, s29
	v_add_nc_u32_e32 v1, 0xffffff81, v15
	s_delay_alu instid0(VALU_DEP_2) | instskip(SKIP_2) | instid1(VALU_DEP_3)
	v_and_b32_e32 v4, 0x1fffff, v4
	v_lshrrev_b32_e32 v5, 23, v0
	s_mov_b32 s10, exec_lo
	v_cndmask_b32_e64 v1, v1, 0xffffff82, vcc_lo
	s_delay_alu instid0(VALU_DEP_3) | instskip(NEXT) | instid1(VALU_DEP_2)
	v_add_nc_u32_e32 v54, v4, v0
                                        ; implicit-def: $vgpr4
	v_add3_u32 v5, v17, v1, v5
                                        ; implicit-def: $vgpr0_vgpr1
	s_delay_alu instid0(VALU_DEP_1) | instskip(NEXT) | instid1(VALU_DEP_1)
	v_add_nc_u32_e32 v15, 14, v5
	v_cmpx_ne_u32_e32 0, v15
	s_xor_b32 s10, exec_lo, s10
; %bb.21202:                            ;   in Loop: Header=BB6_21110 Depth=2
	v_cmp_lt_u64_e32 vcc_lo, 0xffffff, v[54:55]
	v_add_nc_u32_e32 v0, 15, v5
	s_delay_alu instid0(VALU_DEP_1) | instskip(SKIP_1) | instid1(VALU_DEP_1)
	v_cndmask_b32_e32 v4, v15, v0, vcc_lo
	v_cndmask_b32_e64 v0, 0, 1, vcc_lo
	v_lshrrev_b64 v[0:1], v0, v[54:55]
; %bb.21203:                            ;   in Loop: Header=BB6_21110 Depth=2
	s_and_not1_saveexec_b32 s10, s10
; %bb.21204:                            ;   in Loop: Header=BB6_21110 Depth=2
	v_mov_b64_e32 v[0:1], v[54:55]
	v_bfe_u32 v4, v54, 23, 1
; %bb.21205:                            ;   in Loop: Header=BB6_21110 Depth=2
	s_or_b32 exec_lo, exec_lo, s10
	s_delay_alu instid0(VALU_DEP_2) | instskip(NEXT) | instid1(VALU_DEP_2)
	v_lshrrev_b64 v[0:1], 21, v[0:1]
	v_cmp_gt_i32_e32 vcc_lo, 32, v4
	v_cmp_ne_u32_e64 s10, 0, v4
                                        ; implicit-def: $vgpr15
	s_delay_alu instid0(VALU_DEP_3) | instskip(NEXT) | instid1(VALU_DEP_1)
	v_dual_cndmask_b32 v1, 0, v1 :: v_dual_cndmask_b32 v0, 3, v0
	v_cmp_ne_u64_e32 vcc_lo, 0, v[0:1]
	s_or_b32 s10, s10, vcc_lo
	s_delay_alu instid0(SALU_CYCLE_1) | instskip(NEXT) | instid1(SALU_CYCLE_1)
	s_and_saveexec_b32 s29, s10
	s_xor_b32 s10, exec_lo, s29
; %bb.21206:                            ;   in Loop: Header=BB6_21110 Depth=2
	v_min_i32_e32 v1, 31, v4
	s_delay_alu instid0(VALU_DEP_1) | instskip(NEXT) | instid1(VALU_DEP_1)
	v_lshl_or_b32 v1, v1, 2, v16
                                        ; implicit-def: $vgpr16
	v_and_or_b32 v15, v0, 3, v1
; %bb.21207:                            ;   in Loop: Header=BB6_21110 Depth=2
	s_and_not1_saveexec_b32 s10, s10
; %bb.21208:                            ;   in Loop: Header=BB6_21110 Depth=2
	v_mov_b32_e32 v15, v16
; %bb.21209:                            ;   in Loop: Header=BB6_21110 Depth=2
	s_or_b32 exec_lo, exec_lo, s10
.LBB6_21210:                            ;   in Loop: Header=BB6_21110 Depth=2
	s_delay_alu instid0(SALU_CYCLE_1)
	s_or_b32 exec_lo, exec_lo, s28
                                        ; implicit-def: $vgpr16
.LBB6_21211:                            ;   in Loop: Header=BB6_21110 Depth=2
	s_and_not1_saveexec_b32 s10, s27
; %bb.21212:                            ;   in Loop: Header=BB6_21110 Depth=2
	v_or_b32_e32 v15, 0x7b, v16
; %bb.21213:                            ;   in Loop: Header=BB6_21110 Depth=2
	s_or_b32 exec_lo, exec_lo, s10
                                        ; implicit-def: $vgpr0
.LBB6_21214:                            ;   in Loop: Header=BB6_21110 Depth=2
	s_and_not1_saveexec_b32 s10, s11
	s_cbranch_execz .LBB6_21220
; %bb.21215:                            ;   in Loop: Header=BB6_21110 Depth=2
	s_mov_b32 s11, exec_lo
                                        ; implicit-def: $vgpr15
	v_cmpx_ne_u64_e32 0, v[54:55]
	s_xor_b32 s11, exec_lo, s11
; %bb.21216:                            ;   in Loop: Header=BB6_21110 Depth=2
	v_lshrrev_b32_e32 v0, 24, v0
	s_delay_alu instid0(VALU_DEP_1)
	v_or_b32_e32 v15, 0x7f, v0
                                        ; implicit-def: $vgpr0
; %bb.21217:                            ;   in Loop: Header=BB6_21110 Depth=2
	s_and_not1_saveexec_b32 s11, s11
; %bb.21218:                            ;   in Loop: Header=BB6_21110 Depth=2
	v_cmp_lt_i32_e32 vcc_lo, -1, v0
	v_cndmask_b32_e64 v15, -4, 0x7c, vcc_lo
; %bb.21219:                            ;   in Loop: Header=BB6_21110 Depth=2
	s_or_b32 exec_lo, exec_lo, s11
.LBB6_21220:                            ;   in Loop: Header=BB6_21110 Depth=2
	s_delay_alu instid0(SALU_CYCLE_1)
	s_or_b32 exec_lo, exec_lo, s10
	flat_load_i8 v0, v[10:11] offset:96 th:TH_LOAD_NT
	v_mov_b32_e32 v4, 0
	s_mov_b32 s10, exec_lo
	s_wait_loadcnt_dscnt 0x0
	v_cmpx_ne_u16_e32 0, v0
	s_cbranch_execz .LBB6_21230
; %bb.21221:                            ;   in Loop: Header=BB6_21110 Depth=2
	v_bfrev_b32_e32 v4, 1
	s_mov_b32 s11, exec_lo
	v_cmpx_ne_u16_e32 0xff80, v0
	s_cbranch_execz .LBB6_21229
; %bb.21222:                            ;   in Loop: Header=BB6_21110 Depth=2
	v_and_b32_e32 v4, 0x7c, v0
	v_and_b32_e32 v1, 3, v0
	s_delay_alu instid0(VALU_DEP_2) | instskip(SKIP_1) | instid1(SALU_CYCLE_1)
	v_cmp_ne_u32_e32 vcc_lo, 0x7c, v4
                                        ; implicit-def: $vgpr4
	s_and_saveexec_b32 s27, vcc_lo
	s_xor_b32 s27, exec_lo, s27
	s_cbranch_execz .LBB6_21226
; %bb.21223:                            ;   in Loop: Header=BB6_21110 Depth=2
	v_and_b32_e32 v4, 0xff, v0
	s_mov_b32 s28, exec_lo
	s_delay_alu instid0(VALU_DEP_1) | instskip(NEXT) | instid1(VALU_DEP_1)
	v_bfe_u32 v4, v4, 2, 5
	v_cmpx_eq_u32_e32 0, v4
	s_cbranch_execz .LBB6_21225
; %bb.21224:                            ;   in Loop: Header=BB6_21110 Depth=2
	v_clz_i32_u32_e32 v1, v1
	s_delay_alu instid0(VALU_DEP_1) | instskip(SKIP_1) | instid1(VALU_DEP_2)
	v_min_u32_e32 v4, 32, v1
	v_mov_b32_e32 v1, v55
	v_subrev_nc_u32_e32 v5, 29, v4
	v_sub_nc_u32_e32 v4, 30, v4
	s_delay_alu instid0(VALU_DEP_2) | instskip(NEXT) | instid1(VALU_DEP_1)
	v_lshlrev_b64_e32 v[16:17], v5, v[0:1]
	v_and_b32_e32 v1, 3, v16
.LBB6_21225:                            ;   in Loop: Header=BB6_21110 Depth=2
	s_or_b32 exec_lo, exec_lo, s28
	v_bfe_i32 v0, v0, 0, 16
	s_delay_alu instid0(VALU_DEP_1) | instskip(NEXT) | instid1(VALU_DEP_1)
	v_and_b32_e32 v0, 0x80000000, v0
	v_lshl_add_u32 v0, v4, 23, v0
	s_delay_alu instid0(VALU_DEP_1) | instskip(NEXT) | instid1(VALU_DEP_1)
	v_lshl_or_b32 v0, v1, 21, v0
                                        ; implicit-def: $vgpr1
	v_add_nc_u32_e32 v4, 0x38000000, v0
                                        ; implicit-def: $vgpr0
.LBB6_21226:                            ;   in Loop: Header=BB6_21110 Depth=2
	s_and_not1_saveexec_b32 s27, s27
; %bb.21227:                            ;   in Loop: Header=BB6_21110 Depth=2
	v_cmp_lt_i16_e32 vcc_lo, -1, v0
	v_cndmask_b32_e32 v0, 0xff800000, v29, vcc_lo
	v_cmp_eq_u32_e32 vcc_lo, 0, v1
	s_delay_alu instid0(VALU_DEP_2)
	v_cndmask_b32_e32 v4, 0x7f800001, v0, vcc_lo
; %bb.21228:                            ;   in Loop: Header=BB6_21110 Depth=2
	s_or_b32 exec_lo, exec_lo, s27
.LBB6_21229:                            ;   in Loop: Header=BB6_21110 Depth=2
	s_delay_alu instid0(SALU_CYCLE_1)
	s_or_b32 exec_lo, exec_lo, s11
.LBB6_21230:                            ;   in Loop: Header=BB6_21110 Depth=2
	s_delay_alu instid0(SALU_CYCLE_1) | instskip(NEXT) | instid1(VALU_DEP_1)
	s_or_b32 exec_lo, exec_lo, s10
	v_dual_mul_f32 v0, s26, v4 :: v_dual_mov_b32 v5, v55
                                        ; implicit-def: $vgpr16
	s_mov_b32 s10, exec_lo
	s_delay_alu instid0(VALU_DEP_1) | instskip(SKIP_1) | instid1(VALU_DEP_2)
	v_and_b32_e32 v4, 0x7f800000, v0
	v_and_b32_e32 v54, 0x7fffff, v0
	v_cmpx_ne_u64_e32 0x7f800000, v[4:5]
	s_xor_b32 s11, exec_lo, s10
	s_cbranch_execz .LBB6_21248
; %bb.21231:                            ;   in Loop: Header=BB6_21110 Depth=2
	v_dual_mov_b32 v5, v55 :: v_dual_lshrrev_b32 v1, 24, v0
	v_and_b32_e32 v4, 0x7fffffff, v0
                                        ; implicit-def: $vgpr16
	s_mov_b32 s10, exec_lo
	s_delay_alu instid0(VALU_DEP_2) | instskip(NEXT) | instid1(VALU_DEP_2)
	v_and_b32_e32 v17, 0x80, v1
	v_cmpx_gt_u64_e32 0x47600001, v[4:5]
	s_xor_b32 s27, exec_lo, s10
	s_cbranch_execz .LBB6_21245
; %bb.21232:                            ;   in Loop: Header=BB6_21110 Depth=2
	v_mov_b32_e32 v16, 0
	s_mov_b32 s28, exec_lo
	v_cmpx_ne_u32_e32 0, v0
	s_cbranch_execz .LBB6_21244
; %bb.21233:                            ;   in Loop: Header=BB6_21110 Depth=2
	v_bfe_u32 v16, v0, 23, 8
	v_or_b32_e32 v4, 0x800000, v54
	s_mov_b32 s29, exec_lo
	s_delay_alu instid0(VALU_DEP_2) | instskip(SKIP_1) | instid1(VALU_DEP_2)
	v_dual_mov_b32 v5, v55 :: v_dual_sub_nc_u32 v0, 0x71, v16
	v_cmp_gt_u32_e32 vcc_lo, 0x72, v16
	v_cndmask_b32_e32 v0, 0, v0, vcc_lo
	v_cmp_eq_u32_e32 vcc_lo, 0, v16
	s_delay_alu instid0(VALU_DEP_2) | instskip(SKIP_1) | instid1(VALU_DEP_2)
	v_cndmask_b32_e64 v18, v0, 0x70, vcc_lo
	v_cndmask_b32_e32 v4, v4, v54, vcc_lo
	v_dual_add_nc_u32 v0, 21, v18 :: v_dual_add_nc_u32 v19, 20, v18
	s_delay_alu instid0(VALU_DEP_1) | instskip(NEXT) | instid1(VALU_DEP_2)
	v_lshlrev_b64_e64 v[0:1], v0, -1
	v_lshlrev_b64_e64 v[20:21], v19, 1
	s_delay_alu instid0(VALU_DEP_2) | instskip(NEXT) | instid1(VALU_DEP_3)
	v_bfi_b32 v23, v1, 0, 0
	v_bfi_b32 v22, v0, 0, v4
	v_lshrrev_b64 v[0:1], v18, v[4:5]
	s_delay_alu instid0(VALU_DEP_1) | instskip(NEXT) | instid1(VALU_DEP_3)
	v_mov_b64_e32 v[4:5], v[0:1]
	v_cmpx_eq_u64_e64 v[22:23], v[20:21]
; %bb.21234:                            ;   in Loop: Header=BB6_21110 Depth=2
	v_bfe_u32 v4, v0, 21, 1
	v_mov_b32_e32 v5, v55
	s_delay_alu instid0(VALU_DEP_1) | instskip(NEXT) | instid1(VALU_DEP_1)
	v_add_nc_u64_e32 v[4:5], v[0:1], v[4:5]
	v_add_nc_u64_e32 v[4:5], -1, v[4:5]
; %bb.21235:                            ;   in Loop: Header=BB6_21110 Depth=2
	s_or_b32 exec_lo, exec_lo, s29
	v_add_nc_u32_e32 v1, 0xffffff81, v16
	s_delay_alu instid0(VALU_DEP_2) | instskip(SKIP_2) | instid1(VALU_DEP_3)
	v_and_b32_e32 v4, 0x1fffff, v4
	v_lshrrev_b32_e32 v5, 23, v0
	s_mov_b32 s10, exec_lo
	v_cndmask_b32_e64 v1, v1, 0xffffff82, vcc_lo
	s_delay_alu instid0(VALU_DEP_3) | instskip(NEXT) | instid1(VALU_DEP_2)
	v_add_nc_u32_e32 v54, v4, v0
                                        ; implicit-def: $vgpr4
	v_add3_u32 v5, v18, v1, v5
                                        ; implicit-def: $vgpr0_vgpr1
	s_delay_alu instid0(VALU_DEP_1) | instskip(NEXT) | instid1(VALU_DEP_1)
	v_add_nc_u32_e32 v16, 14, v5
	v_cmpx_ne_u32_e32 0, v16
	s_xor_b32 s10, exec_lo, s10
; %bb.21236:                            ;   in Loop: Header=BB6_21110 Depth=2
	v_cmp_lt_u64_e32 vcc_lo, 0xffffff, v[54:55]
	v_add_nc_u32_e32 v0, 15, v5
	s_delay_alu instid0(VALU_DEP_1) | instskip(SKIP_1) | instid1(VALU_DEP_1)
	v_cndmask_b32_e32 v4, v16, v0, vcc_lo
	v_cndmask_b32_e64 v0, 0, 1, vcc_lo
	v_lshrrev_b64 v[0:1], v0, v[54:55]
; %bb.21237:                            ;   in Loop: Header=BB6_21110 Depth=2
	s_and_not1_saveexec_b32 s10, s10
; %bb.21238:                            ;   in Loop: Header=BB6_21110 Depth=2
	v_mov_b64_e32 v[0:1], v[54:55]
	v_bfe_u32 v4, v54, 23, 1
; %bb.21239:                            ;   in Loop: Header=BB6_21110 Depth=2
	s_or_b32 exec_lo, exec_lo, s10
	s_delay_alu instid0(VALU_DEP_2) | instskip(NEXT) | instid1(VALU_DEP_2)
	v_lshrrev_b64 v[0:1], 21, v[0:1]
	v_cmp_gt_i32_e32 vcc_lo, 32, v4
	v_cmp_ne_u32_e64 s10, 0, v4
                                        ; implicit-def: $vgpr16
	s_delay_alu instid0(VALU_DEP_3) | instskip(NEXT) | instid1(VALU_DEP_1)
	v_dual_cndmask_b32 v1, 0, v1 :: v_dual_cndmask_b32 v0, 3, v0
	v_cmp_ne_u64_e32 vcc_lo, 0, v[0:1]
	s_or_b32 s10, s10, vcc_lo
	s_delay_alu instid0(SALU_CYCLE_1) | instskip(NEXT) | instid1(SALU_CYCLE_1)
	s_and_saveexec_b32 s29, s10
	s_xor_b32 s10, exec_lo, s29
; %bb.21240:                            ;   in Loop: Header=BB6_21110 Depth=2
	v_min_i32_e32 v1, 31, v4
	s_delay_alu instid0(VALU_DEP_1) | instskip(NEXT) | instid1(VALU_DEP_1)
	v_lshl_or_b32 v1, v1, 2, v17
                                        ; implicit-def: $vgpr17
	v_and_or_b32 v16, v0, 3, v1
; %bb.21241:                            ;   in Loop: Header=BB6_21110 Depth=2
	s_and_not1_saveexec_b32 s10, s10
; %bb.21242:                            ;   in Loop: Header=BB6_21110 Depth=2
	v_mov_b32_e32 v16, v17
; %bb.21243:                            ;   in Loop: Header=BB6_21110 Depth=2
	s_or_b32 exec_lo, exec_lo, s10
.LBB6_21244:                            ;   in Loop: Header=BB6_21110 Depth=2
	s_delay_alu instid0(SALU_CYCLE_1)
	s_or_b32 exec_lo, exec_lo, s28
                                        ; implicit-def: $vgpr17
.LBB6_21245:                            ;   in Loop: Header=BB6_21110 Depth=2
	s_and_not1_saveexec_b32 s10, s27
; %bb.21246:                            ;   in Loop: Header=BB6_21110 Depth=2
	v_or_b32_e32 v16, 0x7b, v17
; %bb.21247:                            ;   in Loop: Header=BB6_21110 Depth=2
	s_or_b32 exec_lo, exec_lo, s10
                                        ; implicit-def: $vgpr0
.LBB6_21248:                            ;   in Loop: Header=BB6_21110 Depth=2
	s_and_not1_saveexec_b32 s10, s11
	s_cbranch_execz .LBB6_21254
; %bb.21249:                            ;   in Loop: Header=BB6_21110 Depth=2
	s_mov_b32 s11, exec_lo
                                        ; implicit-def: $vgpr16
	v_cmpx_ne_u64_e32 0, v[54:55]
	s_xor_b32 s11, exec_lo, s11
; %bb.21250:                            ;   in Loop: Header=BB6_21110 Depth=2
	v_lshrrev_b32_e32 v0, 24, v0
	s_delay_alu instid0(VALU_DEP_1)
	v_or_b32_e32 v16, 0x7f, v0
                                        ; implicit-def: $vgpr0
; %bb.21251:                            ;   in Loop: Header=BB6_21110 Depth=2
	s_and_not1_saveexec_b32 s11, s11
; %bb.21252:                            ;   in Loop: Header=BB6_21110 Depth=2
	v_cmp_lt_i32_e32 vcc_lo, -1, v0
	v_cndmask_b32_e64 v16, -4, 0x7c, vcc_lo
; %bb.21253:                            ;   in Loop: Header=BB6_21110 Depth=2
	s_or_b32 exec_lo, exec_lo, s11
.LBB6_21254:                            ;   in Loop: Header=BB6_21110 Depth=2
	s_delay_alu instid0(SALU_CYCLE_1)
	s_or_b32 exec_lo, exec_lo, s10
	flat_load_i8 v0, v[10:11] offset:128 th:TH_LOAD_NT
	v_mov_b32_e32 v4, 0
	s_mov_b32 s10, exec_lo
	s_wait_loadcnt_dscnt 0x0
	v_cmpx_ne_u16_e32 0, v0
	s_cbranch_execz .LBB6_21264
; %bb.21255:                            ;   in Loop: Header=BB6_21110 Depth=2
	v_bfrev_b32_e32 v4, 1
	s_mov_b32 s11, exec_lo
	v_cmpx_ne_u16_e32 0xff80, v0
	s_cbranch_execz .LBB6_21263
; %bb.21256:                            ;   in Loop: Header=BB6_21110 Depth=2
	v_and_b32_e32 v4, 0x7c, v0
	v_and_b32_e32 v1, 3, v0
	s_delay_alu instid0(VALU_DEP_2) | instskip(SKIP_1) | instid1(SALU_CYCLE_1)
	v_cmp_ne_u32_e32 vcc_lo, 0x7c, v4
                                        ; implicit-def: $vgpr4
	s_and_saveexec_b32 s27, vcc_lo
	s_xor_b32 s27, exec_lo, s27
	s_cbranch_execz .LBB6_21260
; %bb.21257:                            ;   in Loop: Header=BB6_21110 Depth=2
	v_and_b32_e32 v4, 0xff, v0
	s_mov_b32 s28, exec_lo
	s_delay_alu instid0(VALU_DEP_1) | instskip(NEXT) | instid1(VALU_DEP_1)
	v_bfe_u32 v4, v4, 2, 5
	v_cmpx_eq_u32_e32 0, v4
	s_cbranch_execz .LBB6_21259
; %bb.21258:                            ;   in Loop: Header=BB6_21110 Depth=2
	v_clz_i32_u32_e32 v1, v1
	s_delay_alu instid0(VALU_DEP_1) | instskip(SKIP_1) | instid1(VALU_DEP_2)
	v_min_u32_e32 v4, 32, v1
	v_mov_b32_e32 v1, v55
	v_subrev_nc_u32_e32 v5, 29, v4
	v_sub_nc_u32_e32 v4, 30, v4
	s_delay_alu instid0(VALU_DEP_2) | instskip(NEXT) | instid1(VALU_DEP_1)
	v_lshlrev_b64_e32 v[18:19], v5, v[0:1]
	v_and_b32_e32 v1, 3, v18
.LBB6_21259:                            ;   in Loop: Header=BB6_21110 Depth=2
	s_or_b32 exec_lo, exec_lo, s28
	v_bfe_i32 v0, v0, 0, 16
	s_delay_alu instid0(VALU_DEP_1) | instskip(NEXT) | instid1(VALU_DEP_1)
	v_and_b32_e32 v0, 0x80000000, v0
	v_lshl_add_u32 v0, v4, 23, v0
	s_delay_alu instid0(VALU_DEP_1) | instskip(NEXT) | instid1(VALU_DEP_1)
	v_lshl_or_b32 v0, v1, 21, v0
                                        ; implicit-def: $vgpr1
	v_add_nc_u32_e32 v4, 0x38000000, v0
                                        ; implicit-def: $vgpr0
.LBB6_21260:                            ;   in Loop: Header=BB6_21110 Depth=2
	s_and_not1_saveexec_b32 s27, s27
; %bb.21261:                            ;   in Loop: Header=BB6_21110 Depth=2
	v_cmp_lt_i16_e32 vcc_lo, -1, v0
	v_cndmask_b32_e32 v0, 0xff800000, v29, vcc_lo
	v_cmp_eq_u32_e32 vcc_lo, 0, v1
	s_delay_alu instid0(VALU_DEP_2)
	v_cndmask_b32_e32 v4, 0x7f800001, v0, vcc_lo
; %bb.21262:                            ;   in Loop: Header=BB6_21110 Depth=2
	s_or_b32 exec_lo, exec_lo, s27
.LBB6_21263:                            ;   in Loop: Header=BB6_21110 Depth=2
	s_delay_alu instid0(SALU_CYCLE_1)
	s_or_b32 exec_lo, exec_lo, s11
.LBB6_21264:                            ;   in Loop: Header=BB6_21110 Depth=2
	s_delay_alu instid0(SALU_CYCLE_1) | instskip(NEXT) | instid1(VALU_DEP_1)
	s_or_b32 exec_lo, exec_lo, s10
	v_dual_mul_f32 v0, s26, v4 :: v_dual_mov_b32 v5, v55
                                        ; implicit-def: $vgpr17
	s_mov_b32 s10, exec_lo
	s_delay_alu instid0(VALU_DEP_1) | instskip(SKIP_1) | instid1(VALU_DEP_2)
	v_and_b32_e32 v4, 0x7f800000, v0
	v_and_b32_e32 v54, 0x7fffff, v0
	v_cmpx_ne_u64_e32 0x7f800000, v[4:5]
	s_xor_b32 s11, exec_lo, s10
	s_cbranch_execz .LBB6_21282
; %bb.21265:                            ;   in Loop: Header=BB6_21110 Depth=2
	v_dual_mov_b32 v5, v55 :: v_dual_lshrrev_b32 v1, 24, v0
	v_and_b32_e32 v4, 0x7fffffff, v0
                                        ; implicit-def: $vgpr17
	s_mov_b32 s10, exec_lo
	s_delay_alu instid0(VALU_DEP_2) | instskip(NEXT) | instid1(VALU_DEP_2)
	v_and_b32_e32 v18, 0x80, v1
	v_cmpx_gt_u64_e32 0x47600001, v[4:5]
	s_xor_b32 s27, exec_lo, s10
	s_cbranch_execz .LBB6_21279
; %bb.21266:                            ;   in Loop: Header=BB6_21110 Depth=2
	v_mov_b32_e32 v17, 0
	s_mov_b32 s28, exec_lo
	v_cmpx_ne_u32_e32 0, v0
	s_cbranch_execz .LBB6_21278
; %bb.21267:                            ;   in Loop: Header=BB6_21110 Depth=2
	v_bfe_u32 v17, v0, 23, 8
	v_or_b32_e32 v4, 0x800000, v54
	s_mov_b32 s29, exec_lo
	s_delay_alu instid0(VALU_DEP_2) | instskip(SKIP_1) | instid1(VALU_DEP_2)
	v_dual_mov_b32 v5, v55 :: v_dual_sub_nc_u32 v0, 0x71, v17
	v_cmp_gt_u32_e32 vcc_lo, 0x72, v17
	v_cndmask_b32_e32 v0, 0, v0, vcc_lo
	v_cmp_eq_u32_e32 vcc_lo, 0, v17
	s_delay_alu instid0(VALU_DEP_2) | instskip(NEXT) | instid1(VALU_DEP_1)
	v_cndmask_b32_e64 v19, v0, 0x70, vcc_lo
	v_dual_cndmask_b32 v4, v4, v54, vcc_lo :: v_dual_add_nc_u32 v0, 21, v19
	v_add_nc_u32_e32 v20, 20, v19
	s_delay_alu instid0(VALU_DEP_2) | instskip(NEXT) | instid1(VALU_DEP_2)
	v_lshlrev_b64_e64 v[0:1], v0, -1
	v_lshlrev_b64_e64 v[20:21], v20, 1
	s_delay_alu instid0(VALU_DEP_2) | instskip(NEXT) | instid1(VALU_DEP_3)
	v_bfi_b32 v23, v1, 0, 0
	v_bfi_b32 v22, v0, 0, v4
	v_lshrrev_b64 v[0:1], v19, v[4:5]
	s_delay_alu instid0(VALU_DEP_1) | instskip(NEXT) | instid1(VALU_DEP_3)
	v_mov_b64_e32 v[4:5], v[0:1]
	v_cmpx_eq_u64_e64 v[22:23], v[20:21]
; %bb.21268:                            ;   in Loop: Header=BB6_21110 Depth=2
	v_bfe_u32 v4, v0, 21, 1
	v_mov_b32_e32 v5, v55
	s_delay_alu instid0(VALU_DEP_1) | instskip(NEXT) | instid1(VALU_DEP_1)
	v_add_nc_u64_e32 v[4:5], v[0:1], v[4:5]
	v_add_nc_u64_e32 v[4:5], -1, v[4:5]
; %bb.21269:                            ;   in Loop: Header=BB6_21110 Depth=2
	s_or_b32 exec_lo, exec_lo, s29
	v_add_nc_u32_e32 v1, 0xffffff81, v17
	s_delay_alu instid0(VALU_DEP_2) | instskip(SKIP_2) | instid1(VALU_DEP_3)
	v_and_b32_e32 v4, 0x1fffff, v4
	v_lshrrev_b32_e32 v5, 23, v0
	s_mov_b32 s10, exec_lo
	v_cndmask_b32_e64 v1, v1, 0xffffff82, vcc_lo
	s_delay_alu instid0(VALU_DEP_3) | instskip(NEXT) | instid1(VALU_DEP_2)
	v_add_nc_u32_e32 v54, v4, v0
                                        ; implicit-def: $vgpr4
	v_add3_u32 v5, v19, v1, v5
                                        ; implicit-def: $vgpr0_vgpr1
	s_delay_alu instid0(VALU_DEP_1) | instskip(NEXT) | instid1(VALU_DEP_1)
	v_add_nc_u32_e32 v17, 14, v5
	v_cmpx_ne_u32_e32 0, v17
	s_xor_b32 s10, exec_lo, s10
; %bb.21270:                            ;   in Loop: Header=BB6_21110 Depth=2
	v_cmp_lt_u64_e32 vcc_lo, 0xffffff, v[54:55]
	v_add_nc_u32_e32 v0, 15, v5
	s_delay_alu instid0(VALU_DEP_1) | instskip(SKIP_1) | instid1(VALU_DEP_1)
	v_cndmask_b32_e32 v4, v17, v0, vcc_lo
	v_cndmask_b32_e64 v0, 0, 1, vcc_lo
	v_lshrrev_b64 v[0:1], v0, v[54:55]
; %bb.21271:                            ;   in Loop: Header=BB6_21110 Depth=2
	s_and_not1_saveexec_b32 s10, s10
; %bb.21272:                            ;   in Loop: Header=BB6_21110 Depth=2
	v_mov_b64_e32 v[0:1], v[54:55]
	v_bfe_u32 v4, v54, 23, 1
; %bb.21273:                            ;   in Loop: Header=BB6_21110 Depth=2
	s_or_b32 exec_lo, exec_lo, s10
	s_delay_alu instid0(VALU_DEP_2) | instskip(NEXT) | instid1(VALU_DEP_2)
	v_lshrrev_b64 v[0:1], 21, v[0:1]
	v_cmp_gt_i32_e32 vcc_lo, 32, v4
	v_cmp_ne_u32_e64 s10, 0, v4
                                        ; implicit-def: $vgpr17
	s_delay_alu instid0(VALU_DEP_3) | instskip(NEXT) | instid1(VALU_DEP_1)
	v_dual_cndmask_b32 v1, 0, v1 :: v_dual_cndmask_b32 v0, 3, v0
	v_cmp_ne_u64_e32 vcc_lo, 0, v[0:1]
	s_or_b32 s10, s10, vcc_lo
	s_delay_alu instid0(SALU_CYCLE_1) | instskip(NEXT) | instid1(SALU_CYCLE_1)
	s_and_saveexec_b32 s29, s10
	s_xor_b32 s10, exec_lo, s29
; %bb.21274:                            ;   in Loop: Header=BB6_21110 Depth=2
	v_min_i32_e32 v1, 31, v4
	s_delay_alu instid0(VALU_DEP_1) | instskip(NEXT) | instid1(VALU_DEP_1)
	v_lshl_or_b32 v1, v1, 2, v18
                                        ; implicit-def: $vgpr18
	v_and_or_b32 v17, v0, 3, v1
; %bb.21275:                            ;   in Loop: Header=BB6_21110 Depth=2
	s_and_not1_saveexec_b32 s10, s10
; %bb.21276:                            ;   in Loop: Header=BB6_21110 Depth=2
	v_mov_b32_e32 v17, v18
; %bb.21277:                            ;   in Loop: Header=BB6_21110 Depth=2
	s_or_b32 exec_lo, exec_lo, s10
.LBB6_21278:                            ;   in Loop: Header=BB6_21110 Depth=2
	s_delay_alu instid0(SALU_CYCLE_1)
	s_or_b32 exec_lo, exec_lo, s28
                                        ; implicit-def: $vgpr18
.LBB6_21279:                            ;   in Loop: Header=BB6_21110 Depth=2
	s_and_not1_saveexec_b32 s10, s27
; %bb.21280:                            ;   in Loop: Header=BB6_21110 Depth=2
	v_or_b32_e32 v17, 0x7b, v18
; %bb.21281:                            ;   in Loop: Header=BB6_21110 Depth=2
	s_or_b32 exec_lo, exec_lo, s10
                                        ; implicit-def: $vgpr0
.LBB6_21282:                            ;   in Loop: Header=BB6_21110 Depth=2
	s_and_not1_saveexec_b32 s10, s11
	s_cbranch_execz .LBB6_21288
; %bb.21283:                            ;   in Loop: Header=BB6_21110 Depth=2
	s_mov_b32 s11, exec_lo
                                        ; implicit-def: $vgpr17
	v_cmpx_ne_u64_e32 0, v[54:55]
	s_xor_b32 s11, exec_lo, s11
; %bb.21284:                            ;   in Loop: Header=BB6_21110 Depth=2
	v_lshrrev_b32_e32 v0, 24, v0
	s_delay_alu instid0(VALU_DEP_1)
	v_or_b32_e32 v17, 0x7f, v0
                                        ; implicit-def: $vgpr0
; %bb.21285:                            ;   in Loop: Header=BB6_21110 Depth=2
	s_and_not1_saveexec_b32 s11, s11
; %bb.21286:                            ;   in Loop: Header=BB6_21110 Depth=2
	v_cmp_lt_i32_e32 vcc_lo, -1, v0
	v_cndmask_b32_e64 v17, -4, 0x7c, vcc_lo
; %bb.21287:                            ;   in Loop: Header=BB6_21110 Depth=2
	s_or_b32 exec_lo, exec_lo, s11
.LBB6_21288:                            ;   in Loop: Header=BB6_21110 Depth=2
	s_delay_alu instid0(SALU_CYCLE_1)
	s_or_b32 exec_lo, exec_lo, s10
	flat_load_i8 v0, v[10:11] offset:160 th:TH_LOAD_NT
	v_mov_b32_e32 v4, 0
	s_mov_b32 s10, exec_lo
	s_wait_loadcnt_dscnt 0x0
	v_cmpx_ne_u16_e32 0, v0
	s_cbranch_execz .LBB6_21298
; %bb.21289:                            ;   in Loop: Header=BB6_21110 Depth=2
	v_bfrev_b32_e32 v4, 1
	s_mov_b32 s11, exec_lo
	v_cmpx_ne_u16_e32 0xff80, v0
	s_cbranch_execz .LBB6_21297
; %bb.21290:                            ;   in Loop: Header=BB6_21110 Depth=2
	v_and_b32_e32 v4, 0x7c, v0
	v_and_b32_e32 v1, 3, v0
	s_delay_alu instid0(VALU_DEP_2) | instskip(SKIP_1) | instid1(SALU_CYCLE_1)
	v_cmp_ne_u32_e32 vcc_lo, 0x7c, v4
                                        ; implicit-def: $vgpr4
	s_and_saveexec_b32 s27, vcc_lo
	s_xor_b32 s27, exec_lo, s27
	s_cbranch_execz .LBB6_21294
; %bb.21291:                            ;   in Loop: Header=BB6_21110 Depth=2
	v_and_b32_e32 v4, 0xff, v0
	s_mov_b32 s28, exec_lo
	s_delay_alu instid0(VALU_DEP_1) | instskip(NEXT) | instid1(VALU_DEP_1)
	v_bfe_u32 v4, v4, 2, 5
	v_cmpx_eq_u32_e32 0, v4
	s_cbranch_execz .LBB6_21293
; %bb.21292:                            ;   in Loop: Header=BB6_21110 Depth=2
	v_clz_i32_u32_e32 v1, v1
	s_delay_alu instid0(VALU_DEP_1) | instskip(SKIP_1) | instid1(VALU_DEP_2)
	v_min_u32_e32 v4, 32, v1
	v_mov_b32_e32 v1, v55
	v_subrev_nc_u32_e32 v5, 29, v4
	v_sub_nc_u32_e32 v4, 30, v4
	s_delay_alu instid0(VALU_DEP_2) | instskip(NEXT) | instid1(VALU_DEP_1)
	v_lshlrev_b64_e32 v[18:19], v5, v[0:1]
	v_and_b32_e32 v1, 3, v18
.LBB6_21293:                            ;   in Loop: Header=BB6_21110 Depth=2
	s_or_b32 exec_lo, exec_lo, s28
	v_bfe_i32 v0, v0, 0, 16
	s_delay_alu instid0(VALU_DEP_1) | instskip(NEXT) | instid1(VALU_DEP_1)
	v_and_b32_e32 v0, 0x80000000, v0
	v_lshl_add_u32 v0, v4, 23, v0
	s_delay_alu instid0(VALU_DEP_1) | instskip(NEXT) | instid1(VALU_DEP_1)
	v_lshl_or_b32 v0, v1, 21, v0
                                        ; implicit-def: $vgpr1
	v_add_nc_u32_e32 v4, 0x38000000, v0
                                        ; implicit-def: $vgpr0
.LBB6_21294:                            ;   in Loop: Header=BB6_21110 Depth=2
	s_and_not1_saveexec_b32 s27, s27
; %bb.21295:                            ;   in Loop: Header=BB6_21110 Depth=2
	v_cmp_lt_i16_e32 vcc_lo, -1, v0
	v_cndmask_b32_e32 v0, 0xff800000, v29, vcc_lo
	v_cmp_eq_u32_e32 vcc_lo, 0, v1
	s_delay_alu instid0(VALU_DEP_2)
	v_cndmask_b32_e32 v4, 0x7f800001, v0, vcc_lo
; %bb.21296:                            ;   in Loop: Header=BB6_21110 Depth=2
	s_or_b32 exec_lo, exec_lo, s27
.LBB6_21297:                            ;   in Loop: Header=BB6_21110 Depth=2
	s_delay_alu instid0(SALU_CYCLE_1)
	s_or_b32 exec_lo, exec_lo, s11
.LBB6_21298:                            ;   in Loop: Header=BB6_21110 Depth=2
	s_delay_alu instid0(SALU_CYCLE_1) | instskip(NEXT) | instid1(VALU_DEP_1)
	s_or_b32 exec_lo, exec_lo, s10
	v_dual_mul_f32 v0, s26, v4 :: v_dual_mov_b32 v5, v55
                                        ; implicit-def: $vgpr18
	s_mov_b32 s10, exec_lo
	s_delay_alu instid0(VALU_DEP_1) | instskip(SKIP_1) | instid1(VALU_DEP_2)
	v_and_b32_e32 v4, 0x7f800000, v0
	v_and_b32_e32 v54, 0x7fffff, v0
	v_cmpx_ne_u64_e32 0x7f800000, v[4:5]
	s_xor_b32 s11, exec_lo, s10
	s_cbranch_execz .LBB6_21316
; %bb.21299:                            ;   in Loop: Header=BB6_21110 Depth=2
	v_dual_mov_b32 v5, v55 :: v_dual_lshrrev_b32 v1, 24, v0
	v_and_b32_e32 v4, 0x7fffffff, v0
                                        ; implicit-def: $vgpr18
	s_mov_b32 s10, exec_lo
	s_delay_alu instid0(VALU_DEP_2) | instskip(NEXT) | instid1(VALU_DEP_2)
	v_and_b32_e32 v19, 0x80, v1
	v_cmpx_gt_u64_e32 0x47600001, v[4:5]
	s_xor_b32 s27, exec_lo, s10
	s_cbranch_execz .LBB6_21313
; %bb.21300:                            ;   in Loop: Header=BB6_21110 Depth=2
	v_mov_b32_e32 v18, 0
	s_mov_b32 s28, exec_lo
	v_cmpx_ne_u32_e32 0, v0
	s_cbranch_execz .LBB6_21312
; %bb.21301:                            ;   in Loop: Header=BB6_21110 Depth=2
	v_bfe_u32 v18, v0, 23, 8
	v_or_b32_e32 v4, 0x800000, v54
	s_mov_b32 s29, exec_lo
	s_delay_alu instid0(VALU_DEP_2) | instskip(SKIP_1) | instid1(VALU_DEP_2)
	v_dual_mov_b32 v5, v55 :: v_dual_sub_nc_u32 v0, 0x71, v18
	v_cmp_gt_u32_e32 vcc_lo, 0x72, v18
	v_cndmask_b32_e32 v0, 0, v0, vcc_lo
	v_cmp_eq_u32_e32 vcc_lo, 0, v18
	v_cndmask_b32_e32 v4, v4, v54, vcc_lo
	s_delay_alu instid0(VALU_DEP_3) | instskip(NEXT) | instid1(VALU_DEP_1)
	v_cndmask_b32_e64 v20, v0, 0x70, vcc_lo
	v_dual_add_nc_u32 v0, 21, v20 :: v_dual_add_nc_u32 v21, 20, v20
	s_delay_alu instid0(VALU_DEP_1) | instskip(NEXT) | instid1(VALU_DEP_2)
	v_lshlrev_b64_e64 v[0:1], v0, -1
	v_lshlrev_b64_e64 v[22:23], v21, 1
	s_delay_alu instid0(VALU_DEP_2) | instskip(NEXT) | instid1(VALU_DEP_3)
	v_bfi_b32 v25, v1, 0, 0
	v_bfi_b32 v24, v0, 0, v4
	v_lshrrev_b64 v[0:1], v20, v[4:5]
	s_delay_alu instid0(VALU_DEP_1) | instskip(NEXT) | instid1(VALU_DEP_3)
	v_mov_b64_e32 v[4:5], v[0:1]
	v_cmpx_eq_u64_e64 v[24:25], v[22:23]
; %bb.21302:                            ;   in Loop: Header=BB6_21110 Depth=2
	v_bfe_u32 v4, v0, 21, 1
	v_mov_b32_e32 v5, v55
	s_delay_alu instid0(VALU_DEP_1) | instskip(NEXT) | instid1(VALU_DEP_1)
	v_add_nc_u64_e32 v[4:5], v[0:1], v[4:5]
	v_add_nc_u64_e32 v[4:5], -1, v[4:5]
; %bb.21303:                            ;   in Loop: Header=BB6_21110 Depth=2
	s_or_b32 exec_lo, exec_lo, s29
	v_add_nc_u32_e32 v1, 0xffffff81, v18
	s_delay_alu instid0(VALU_DEP_2) | instskip(SKIP_2) | instid1(VALU_DEP_3)
	v_and_b32_e32 v4, 0x1fffff, v4
	v_lshrrev_b32_e32 v5, 23, v0
	s_mov_b32 s10, exec_lo
	v_cndmask_b32_e64 v1, v1, 0xffffff82, vcc_lo
	s_delay_alu instid0(VALU_DEP_3) | instskip(NEXT) | instid1(VALU_DEP_2)
	v_add_nc_u32_e32 v54, v4, v0
                                        ; implicit-def: $vgpr4
	v_add3_u32 v5, v20, v1, v5
                                        ; implicit-def: $vgpr0_vgpr1
	s_delay_alu instid0(VALU_DEP_1) | instskip(NEXT) | instid1(VALU_DEP_1)
	v_add_nc_u32_e32 v18, 14, v5
	v_cmpx_ne_u32_e32 0, v18
	s_xor_b32 s10, exec_lo, s10
; %bb.21304:                            ;   in Loop: Header=BB6_21110 Depth=2
	v_cmp_lt_u64_e32 vcc_lo, 0xffffff, v[54:55]
	v_add_nc_u32_e32 v0, 15, v5
	s_delay_alu instid0(VALU_DEP_1) | instskip(SKIP_1) | instid1(VALU_DEP_1)
	v_cndmask_b32_e32 v4, v18, v0, vcc_lo
	v_cndmask_b32_e64 v0, 0, 1, vcc_lo
	v_lshrrev_b64 v[0:1], v0, v[54:55]
; %bb.21305:                            ;   in Loop: Header=BB6_21110 Depth=2
	s_and_not1_saveexec_b32 s10, s10
; %bb.21306:                            ;   in Loop: Header=BB6_21110 Depth=2
	v_mov_b64_e32 v[0:1], v[54:55]
	v_bfe_u32 v4, v54, 23, 1
; %bb.21307:                            ;   in Loop: Header=BB6_21110 Depth=2
	s_or_b32 exec_lo, exec_lo, s10
	s_delay_alu instid0(VALU_DEP_2) | instskip(NEXT) | instid1(VALU_DEP_2)
	v_lshrrev_b64 v[0:1], 21, v[0:1]
	v_cmp_gt_i32_e32 vcc_lo, 32, v4
	v_cmp_ne_u32_e64 s10, 0, v4
                                        ; implicit-def: $vgpr18
	s_delay_alu instid0(VALU_DEP_3) | instskip(NEXT) | instid1(VALU_DEP_1)
	v_dual_cndmask_b32 v1, 0, v1 :: v_dual_cndmask_b32 v0, 3, v0
	v_cmp_ne_u64_e32 vcc_lo, 0, v[0:1]
	s_or_b32 s10, s10, vcc_lo
	s_delay_alu instid0(SALU_CYCLE_1) | instskip(NEXT) | instid1(SALU_CYCLE_1)
	s_and_saveexec_b32 s29, s10
	s_xor_b32 s10, exec_lo, s29
; %bb.21308:                            ;   in Loop: Header=BB6_21110 Depth=2
	v_min_i32_e32 v1, 31, v4
	s_delay_alu instid0(VALU_DEP_1) | instskip(NEXT) | instid1(VALU_DEP_1)
	v_lshl_or_b32 v1, v1, 2, v19
                                        ; implicit-def: $vgpr19
	v_and_or_b32 v18, v0, 3, v1
; %bb.21309:                            ;   in Loop: Header=BB6_21110 Depth=2
	s_and_not1_saveexec_b32 s10, s10
; %bb.21310:                            ;   in Loop: Header=BB6_21110 Depth=2
	v_mov_b32_e32 v18, v19
; %bb.21311:                            ;   in Loop: Header=BB6_21110 Depth=2
	s_or_b32 exec_lo, exec_lo, s10
.LBB6_21312:                            ;   in Loop: Header=BB6_21110 Depth=2
	s_delay_alu instid0(SALU_CYCLE_1)
	s_or_b32 exec_lo, exec_lo, s28
                                        ; implicit-def: $vgpr19
.LBB6_21313:                            ;   in Loop: Header=BB6_21110 Depth=2
	s_and_not1_saveexec_b32 s10, s27
; %bb.21314:                            ;   in Loop: Header=BB6_21110 Depth=2
	v_or_b32_e32 v18, 0x7b, v19
; %bb.21315:                            ;   in Loop: Header=BB6_21110 Depth=2
	s_or_b32 exec_lo, exec_lo, s10
                                        ; implicit-def: $vgpr0
.LBB6_21316:                            ;   in Loop: Header=BB6_21110 Depth=2
	s_and_not1_saveexec_b32 s10, s11
	s_cbranch_execz .LBB6_21322
; %bb.21317:                            ;   in Loop: Header=BB6_21110 Depth=2
	s_mov_b32 s11, exec_lo
                                        ; implicit-def: $vgpr18
	v_cmpx_ne_u64_e32 0, v[54:55]
	s_xor_b32 s11, exec_lo, s11
; %bb.21318:                            ;   in Loop: Header=BB6_21110 Depth=2
	v_lshrrev_b32_e32 v0, 24, v0
	s_delay_alu instid0(VALU_DEP_1)
	v_or_b32_e32 v18, 0x7f, v0
                                        ; implicit-def: $vgpr0
; %bb.21319:                            ;   in Loop: Header=BB6_21110 Depth=2
	s_and_not1_saveexec_b32 s11, s11
; %bb.21320:                            ;   in Loop: Header=BB6_21110 Depth=2
	v_cmp_lt_i32_e32 vcc_lo, -1, v0
	v_cndmask_b32_e64 v18, -4, 0x7c, vcc_lo
; %bb.21321:                            ;   in Loop: Header=BB6_21110 Depth=2
	s_or_b32 exec_lo, exec_lo, s11
.LBB6_21322:                            ;   in Loop: Header=BB6_21110 Depth=2
	s_delay_alu instid0(SALU_CYCLE_1)
	s_or_b32 exec_lo, exec_lo, s10
	flat_load_i8 v0, v[10:11] offset:192 th:TH_LOAD_NT
	v_mov_b32_e32 v4, 0
	s_mov_b32 s10, exec_lo
	s_wait_loadcnt_dscnt 0x0
	v_cmpx_ne_u16_e32 0, v0
	s_cbranch_execz .LBB6_21332
; %bb.21323:                            ;   in Loop: Header=BB6_21110 Depth=2
	v_bfrev_b32_e32 v4, 1
	s_mov_b32 s11, exec_lo
	v_cmpx_ne_u16_e32 0xff80, v0
	s_cbranch_execz .LBB6_21331
; %bb.21324:                            ;   in Loop: Header=BB6_21110 Depth=2
	v_and_b32_e32 v4, 0x7c, v0
	v_and_b32_e32 v1, 3, v0
	s_delay_alu instid0(VALU_DEP_2) | instskip(SKIP_1) | instid1(SALU_CYCLE_1)
	v_cmp_ne_u32_e32 vcc_lo, 0x7c, v4
                                        ; implicit-def: $vgpr4
	s_and_saveexec_b32 s27, vcc_lo
	s_xor_b32 s27, exec_lo, s27
	s_cbranch_execz .LBB6_21328
; %bb.21325:                            ;   in Loop: Header=BB6_21110 Depth=2
	v_and_b32_e32 v4, 0xff, v0
	s_mov_b32 s28, exec_lo
	s_delay_alu instid0(VALU_DEP_1) | instskip(NEXT) | instid1(VALU_DEP_1)
	v_bfe_u32 v4, v4, 2, 5
	v_cmpx_eq_u32_e32 0, v4
	s_cbranch_execz .LBB6_21327
; %bb.21326:                            ;   in Loop: Header=BB6_21110 Depth=2
	v_clz_i32_u32_e32 v1, v1
	s_delay_alu instid0(VALU_DEP_1) | instskip(SKIP_1) | instid1(VALU_DEP_2)
	v_min_u32_e32 v4, 32, v1
	v_mov_b32_e32 v1, v55
	v_subrev_nc_u32_e32 v5, 29, v4
	v_sub_nc_u32_e32 v4, 30, v4
	s_delay_alu instid0(VALU_DEP_2) | instskip(NEXT) | instid1(VALU_DEP_1)
	v_lshlrev_b64_e32 v[20:21], v5, v[0:1]
	v_and_b32_e32 v1, 3, v20
.LBB6_21327:                            ;   in Loop: Header=BB6_21110 Depth=2
	s_or_b32 exec_lo, exec_lo, s28
	v_bfe_i32 v0, v0, 0, 16
	s_delay_alu instid0(VALU_DEP_1) | instskip(NEXT) | instid1(VALU_DEP_1)
	v_and_b32_e32 v0, 0x80000000, v0
	v_lshl_add_u32 v0, v4, 23, v0
	s_delay_alu instid0(VALU_DEP_1) | instskip(NEXT) | instid1(VALU_DEP_1)
	v_lshl_or_b32 v0, v1, 21, v0
                                        ; implicit-def: $vgpr1
	v_add_nc_u32_e32 v4, 0x38000000, v0
                                        ; implicit-def: $vgpr0
.LBB6_21328:                            ;   in Loop: Header=BB6_21110 Depth=2
	s_and_not1_saveexec_b32 s27, s27
; %bb.21329:                            ;   in Loop: Header=BB6_21110 Depth=2
	v_cmp_lt_i16_e32 vcc_lo, -1, v0
	v_cndmask_b32_e32 v0, 0xff800000, v29, vcc_lo
	v_cmp_eq_u32_e32 vcc_lo, 0, v1
	s_delay_alu instid0(VALU_DEP_2)
	v_cndmask_b32_e32 v4, 0x7f800001, v0, vcc_lo
; %bb.21330:                            ;   in Loop: Header=BB6_21110 Depth=2
	s_or_b32 exec_lo, exec_lo, s27
.LBB6_21331:                            ;   in Loop: Header=BB6_21110 Depth=2
	s_delay_alu instid0(SALU_CYCLE_1)
	s_or_b32 exec_lo, exec_lo, s11
.LBB6_21332:                            ;   in Loop: Header=BB6_21110 Depth=2
	s_delay_alu instid0(SALU_CYCLE_1) | instskip(NEXT) | instid1(VALU_DEP_1)
	s_or_b32 exec_lo, exec_lo, s10
	v_dual_mul_f32 v0, s26, v4 :: v_dual_mov_b32 v5, v55
                                        ; implicit-def: $vgpr19
	s_mov_b32 s10, exec_lo
	s_delay_alu instid0(VALU_DEP_1) | instskip(SKIP_1) | instid1(VALU_DEP_2)
	v_and_b32_e32 v4, 0x7f800000, v0
	v_and_b32_e32 v54, 0x7fffff, v0
	v_cmpx_ne_u64_e32 0x7f800000, v[4:5]
	s_xor_b32 s11, exec_lo, s10
	s_cbranch_execz .LBB6_21350
; %bb.21333:                            ;   in Loop: Header=BB6_21110 Depth=2
	v_dual_mov_b32 v5, v55 :: v_dual_lshrrev_b32 v1, 24, v0
	v_and_b32_e32 v4, 0x7fffffff, v0
                                        ; implicit-def: $vgpr19
	s_mov_b32 s10, exec_lo
	s_delay_alu instid0(VALU_DEP_2) | instskip(NEXT) | instid1(VALU_DEP_2)
	v_and_b32_e32 v20, 0x80, v1
	v_cmpx_gt_u64_e32 0x47600001, v[4:5]
	s_xor_b32 s27, exec_lo, s10
	s_cbranch_execz .LBB6_21347
; %bb.21334:                            ;   in Loop: Header=BB6_21110 Depth=2
	v_mov_b32_e32 v19, 0
	s_mov_b32 s28, exec_lo
	v_cmpx_ne_u32_e32 0, v0
	s_cbranch_execz .LBB6_21346
; %bb.21335:                            ;   in Loop: Header=BB6_21110 Depth=2
	v_bfe_u32 v19, v0, 23, 8
	v_or_b32_e32 v4, 0x800000, v54
	s_mov_b32 s29, exec_lo
	s_delay_alu instid0(VALU_DEP_2) | instskip(SKIP_1) | instid1(VALU_DEP_2)
	v_dual_mov_b32 v5, v55 :: v_dual_sub_nc_u32 v0, 0x71, v19
	v_cmp_gt_u32_e32 vcc_lo, 0x72, v19
	v_cndmask_b32_e32 v0, 0, v0, vcc_lo
	v_cmp_eq_u32_e32 vcc_lo, 0, v19
	s_delay_alu instid0(VALU_DEP_2) | instskip(NEXT) | instid1(VALU_DEP_1)
	v_cndmask_b32_e64 v21, v0, 0x70, vcc_lo
	v_dual_cndmask_b32 v4, v4, v54, vcc_lo :: v_dual_add_nc_u32 v0, 21, v21
	v_add_nc_u32_e32 v22, 20, v21
	s_delay_alu instid0(VALU_DEP_2) | instskip(NEXT) | instid1(VALU_DEP_2)
	v_lshlrev_b64_e64 v[0:1], v0, -1
	v_lshlrev_b64_e64 v[22:23], v22, 1
	s_delay_alu instid0(VALU_DEP_2) | instskip(NEXT) | instid1(VALU_DEP_3)
	v_bfi_b32 v25, v1, 0, 0
	v_bfi_b32 v24, v0, 0, v4
	v_lshrrev_b64 v[0:1], v21, v[4:5]
	s_delay_alu instid0(VALU_DEP_1) | instskip(NEXT) | instid1(VALU_DEP_3)
	v_mov_b64_e32 v[4:5], v[0:1]
	v_cmpx_eq_u64_e64 v[24:25], v[22:23]
; %bb.21336:                            ;   in Loop: Header=BB6_21110 Depth=2
	v_bfe_u32 v4, v0, 21, 1
	v_mov_b32_e32 v5, v55
	s_delay_alu instid0(VALU_DEP_1) | instskip(NEXT) | instid1(VALU_DEP_1)
	v_add_nc_u64_e32 v[4:5], v[0:1], v[4:5]
	v_add_nc_u64_e32 v[4:5], -1, v[4:5]
; %bb.21337:                            ;   in Loop: Header=BB6_21110 Depth=2
	s_or_b32 exec_lo, exec_lo, s29
	v_add_nc_u32_e32 v1, 0xffffff81, v19
	s_delay_alu instid0(VALU_DEP_2) | instskip(SKIP_2) | instid1(VALU_DEP_3)
	v_and_b32_e32 v4, 0x1fffff, v4
	v_lshrrev_b32_e32 v5, 23, v0
	s_mov_b32 s10, exec_lo
	v_cndmask_b32_e64 v1, v1, 0xffffff82, vcc_lo
	s_delay_alu instid0(VALU_DEP_3) | instskip(NEXT) | instid1(VALU_DEP_2)
	v_add_nc_u32_e32 v54, v4, v0
                                        ; implicit-def: $vgpr4
	v_add3_u32 v5, v21, v1, v5
                                        ; implicit-def: $vgpr0_vgpr1
	s_delay_alu instid0(VALU_DEP_1) | instskip(NEXT) | instid1(VALU_DEP_1)
	v_add_nc_u32_e32 v19, 14, v5
	v_cmpx_ne_u32_e32 0, v19
	s_xor_b32 s10, exec_lo, s10
; %bb.21338:                            ;   in Loop: Header=BB6_21110 Depth=2
	v_cmp_lt_u64_e32 vcc_lo, 0xffffff, v[54:55]
	v_add_nc_u32_e32 v0, 15, v5
	s_delay_alu instid0(VALU_DEP_1) | instskip(SKIP_1) | instid1(VALU_DEP_1)
	v_cndmask_b32_e32 v4, v19, v0, vcc_lo
	v_cndmask_b32_e64 v0, 0, 1, vcc_lo
	v_lshrrev_b64 v[0:1], v0, v[54:55]
; %bb.21339:                            ;   in Loop: Header=BB6_21110 Depth=2
	s_and_not1_saveexec_b32 s10, s10
; %bb.21340:                            ;   in Loop: Header=BB6_21110 Depth=2
	v_mov_b64_e32 v[0:1], v[54:55]
	v_bfe_u32 v4, v54, 23, 1
; %bb.21341:                            ;   in Loop: Header=BB6_21110 Depth=2
	s_or_b32 exec_lo, exec_lo, s10
	s_delay_alu instid0(VALU_DEP_2) | instskip(NEXT) | instid1(VALU_DEP_2)
	v_lshrrev_b64 v[0:1], 21, v[0:1]
	v_cmp_gt_i32_e32 vcc_lo, 32, v4
	v_cmp_ne_u32_e64 s10, 0, v4
                                        ; implicit-def: $vgpr19
	s_delay_alu instid0(VALU_DEP_3) | instskip(NEXT) | instid1(VALU_DEP_1)
	v_dual_cndmask_b32 v1, 0, v1 :: v_dual_cndmask_b32 v0, 3, v0
	v_cmp_ne_u64_e32 vcc_lo, 0, v[0:1]
	s_or_b32 s10, s10, vcc_lo
	s_delay_alu instid0(SALU_CYCLE_1) | instskip(NEXT) | instid1(SALU_CYCLE_1)
	s_and_saveexec_b32 s29, s10
	s_xor_b32 s10, exec_lo, s29
; %bb.21342:                            ;   in Loop: Header=BB6_21110 Depth=2
	v_min_i32_e32 v1, 31, v4
	s_delay_alu instid0(VALU_DEP_1) | instskip(NEXT) | instid1(VALU_DEP_1)
	v_lshl_or_b32 v1, v1, 2, v20
                                        ; implicit-def: $vgpr20
	v_and_or_b32 v19, v0, 3, v1
; %bb.21343:                            ;   in Loop: Header=BB6_21110 Depth=2
	s_and_not1_saveexec_b32 s10, s10
; %bb.21344:                            ;   in Loop: Header=BB6_21110 Depth=2
	v_mov_b32_e32 v19, v20
; %bb.21345:                            ;   in Loop: Header=BB6_21110 Depth=2
	s_or_b32 exec_lo, exec_lo, s10
.LBB6_21346:                            ;   in Loop: Header=BB6_21110 Depth=2
	s_delay_alu instid0(SALU_CYCLE_1)
	s_or_b32 exec_lo, exec_lo, s28
                                        ; implicit-def: $vgpr20
.LBB6_21347:                            ;   in Loop: Header=BB6_21110 Depth=2
	s_and_not1_saveexec_b32 s10, s27
; %bb.21348:                            ;   in Loop: Header=BB6_21110 Depth=2
	v_or_b32_e32 v19, 0x7b, v20
; %bb.21349:                            ;   in Loop: Header=BB6_21110 Depth=2
	s_or_b32 exec_lo, exec_lo, s10
                                        ; implicit-def: $vgpr0
.LBB6_21350:                            ;   in Loop: Header=BB6_21110 Depth=2
	s_and_not1_saveexec_b32 s10, s11
	s_cbranch_execz .LBB6_21356
; %bb.21351:                            ;   in Loop: Header=BB6_21110 Depth=2
	s_mov_b32 s11, exec_lo
                                        ; implicit-def: $vgpr19
	v_cmpx_ne_u64_e32 0, v[54:55]
	s_xor_b32 s11, exec_lo, s11
; %bb.21352:                            ;   in Loop: Header=BB6_21110 Depth=2
	v_lshrrev_b32_e32 v0, 24, v0
	s_delay_alu instid0(VALU_DEP_1)
	v_or_b32_e32 v19, 0x7f, v0
                                        ; implicit-def: $vgpr0
; %bb.21353:                            ;   in Loop: Header=BB6_21110 Depth=2
	s_and_not1_saveexec_b32 s11, s11
; %bb.21354:                            ;   in Loop: Header=BB6_21110 Depth=2
	v_cmp_lt_i32_e32 vcc_lo, -1, v0
	v_cndmask_b32_e64 v19, -4, 0x7c, vcc_lo
; %bb.21355:                            ;   in Loop: Header=BB6_21110 Depth=2
	s_or_b32 exec_lo, exec_lo, s11
.LBB6_21356:                            ;   in Loop: Header=BB6_21110 Depth=2
	s_delay_alu instid0(SALU_CYCLE_1)
	s_or_b32 exec_lo, exec_lo, s10
	flat_load_i8 v0, v[10:11] offset:224 th:TH_LOAD_NT
	v_mov_b32_e32 v4, 0
	s_mov_b32 s10, exec_lo
	s_wait_loadcnt_dscnt 0x0
	v_cmpx_ne_u16_e32 0, v0
	s_cbranch_execz .LBB6_21366
; %bb.21357:                            ;   in Loop: Header=BB6_21110 Depth=2
	v_bfrev_b32_e32 v4, 1
	s_mov_b32 s11, exec_lo
	v_cmpx_ne_u16_e32 0xff80, v0
	s_cbranch_execz .LBB6_21365
; %bb.21358:                            ;   in Loop: Header=BB6_21110 Depth=2
	v_and_b32_e32 v4, 0x7c, v0
	v_and_b32_e32 v1, 3, v0
	s_delay_alu instid0(VALU_DEP_2) | instskip(SKIP_1) | instid1(SALU_CYCLE_1)
	v_cmp_ne_u32_e32 vcc_lo, 0x7c, v4
                                        ; implicit-def: $vgpr4
	s_and_saveexec_b32 s27, vcc_lo
	s_xor_b32 s27, exec_lo, s27
	s_cbranch_execz .LBB6_21362
; %bb.21359:                            ;   in Loop: Header=BB6_21110 Depth=2
	v_and_b32_e32 v4, 0xff, v0
	s_mov_b32 s28, exec_lo
	s_delay_alu instid0(VALU_DEP_1) | instskip(NEXT) | instid1(VALU_DEP_1)
	v_bfe_u32 v4, v4, 2, 5
	v_cmpx_eq_u32_e32 0, v4
	s_cbranch_execz .LBB6_21361
; %bb.21360:                            ;   in Loop: Header=BB6_21110 Depth=2
	v_clz_i32_u32_e32 v1, v1
	s_delay_alu instid0(VALU_DEP_1) | instskip(SKIP_1) | instid1(VALU_DEP_2)
	v_min_u32_e32 v4, 32, v1
	v_mov_b32_e32 v1, v55
	v_subrev_nc_u32_e32 v5, 29, v4
	v_sub_nc_u32_e32 v4, 30, v4
	s_delay_alu instid0(VALU_DEP_2) | instskip(NEXT) | instid1(VALU_DEP_1)
	v_lshlrev_b64_e32 v[20:21], v5, v[0:1]
	v_and_b32_e32 v1, 3, v20
.LBB6_21361:                            ;   in Loop: Header=BB6_21110 Depth=2
	s_or_b32 exec_lo, exec_lo, s28
	v_bfe_i32 v0, v0, 0, 16
	s_delay_alu instid0(VALU_DEP_1) | instskip(NEXT) | instid1(VALU_DEP_1)
	v_and_b32_e32 v0, 0x80000000, v0
	v_lshl_add_u32 v0, v4, 23, v0
	s_delay_alu instid0(VALU_DEP_1) | instskip(NEXT) | instid1(VALU_DEP_1)
	v_lshl_or_b32 v0, v1, 21, v0
                                        ; implicit-def: $vgpr1
	v_add_nc_u32_e32 v4, 0x38000000, v0
                                        ; implicit-def: $vgpr0
.LBB6_21362:                            ;   in Loop: Header=BB6_21110 Depth=2
	s_and_not1_saveexec_b32 s27, s27
; %bb.21363:                            ;   in Loop: Header=BB6_21110 Depth=2
	v_cmp_lt_i16_e32 vcc_lo, -1, v0
	v_cndmask_b32_e32 v0, 0xff800000, v29, vcc_lo
	v_cmp_eq_u32_e32 vcc_lo, 0, v1
	s_delay_alu instid0(VALU_DEP_2)
	v_cndmask_b32_e32 v4, 0x7f800001, v0, vcc_lo
; %bb.21364:                            ;   in Loop: Header=BB6_21110 Depth=2
	s_or_b32 exec_lo, exec_lo, s27
.LBB6_21365:                            ;   in Loop: Header=BB6_21110 Depth=2
	s_delay_alu instid0(SALU_CYCLE_1)
	s_or_b32 exec_lo, exec_lo, s11
.LBB6_21366:                            ;   in Loop: Header=BB6_21110 Depth=2
	s_delay_alu instid0(SALU_CYCLE_1) | instskip(NEXT) | instid1(VALU_DEP_1)
	s_or_b32 exec_lo, exec_lo, s10
	v_dual_mul_f32 v0, s26, v4 :: v_dual_mov_b32 v5, v55
                                        ; implicit-def: $vgpr20
	s_mov_b32 s10, exec_lo
	s_delay_alu instid0(VALU_DEP_1) | instskip(SKIP_1) | instid1(VALU_DEP_2)
	v_and_b32_e32 v4, 0x7f800000, v0
	v_and_b32_e32 v54, 0x7fffff, v0
	v_cmpx_ne_u64_e32 0x7f800000, v[4:5]
	s_xor_b32 s11, exec_lo, s10
	s_cbranch_execz .LBB6_21384
; %bb.21367:                            ;   in Loop: Header=BB6_21110 Depth=2
	v_dual_mov_b32 v5, v55 :: v_dual_lshrrev_b32 v1, 24, v0
	v_and_b32_e32 v4, 0x7fffffff, v0
                                        ; implicit-def: $vgpr20
	s_mov_b32 s10, exec_lo
	s_delay_alu instid0(VALU_DEP_2) | instskip(NEXT) | instid1(VALU_DEP_2)
	v_and_b32_e32 v21, 0x80, v1
	v_cmpx_gt_u64_e32 0x47600001, v[4:5]
	s_xor_b32 s27, exec_lo, s10
	s_cbranch_execz .LBB6_21381
; %bb.21368:                            ;   in Loop: Header=BB6_21110 Depth=2
	v_mov_b32_e32 v20, 0
	s_mov_b32 s28, exec_lo
	v_cmpx_ne_u32_e32 0, v0
	s_cbranch_execz .LBB6_21380
; %bb.21369:                            ;   in Loop: Header=BB6_21110 Depth=2
	v_bfe_u32 v20, v0, 23, 8
	v_or_b32_e32 v4, 0x800000, v54
	s_mov_b32 s29, exec_lo
	s_delay_alu instid0(VALU_DEP_2) | instskip(SKIP_1) | instid1(VALU_DEP_2)
	v_dual_mov_b32 v5, v55 :: v_dual_sub_nc_u32 v0, 0x71, v20
	v_cmp_gt_u32_e32 vcc_lo, 0x72, v20
	v_cndmask_b32_e32 v0, 0, v0, vcc_lo
	v_cmp_eq_u32_e32 vcc_lo, 0, v20
	s_delay_alu instid0(VALU_DEP_2) | instskip(SKIP_1) | instid1(VALU_DEP_2)
	v_cndmask_b32_e64 v22, v0, 0x70, vcc_lo
	v_cndmask_b32_e32 v4, v4, v54, vcc_lo
	v_dual_add_nc_u32 v0, 21, v22 :: v_dual_add_nc_u32 v23, 20, v22
	s_delay_alu instid0(VALU_DEP_1) | instskip(NEXT) | instid1(VALU_DEP_2)
	v_lshlrev_b64_e64 v[0:1], v0, -1
	v_lshlrev_b64_e64 v[24:25], v23, 1
	s_delay_alu instid0(VALU_DEP_2) | instskip(NEXT) | instid1(VALU_DEP_3)
	v_bfi_b32 v27, v1, 0, 0
	v_bfi_b32 v26, v0, 0, v4
	v_lshrrev_b64 v[0:1], v22, v[4:5]
	s_delay_alu instid0(VALU_DEP_1) | instskip(NEXT) | instid1(VALU_DEP_3)
	v_mov_b64_e32 v[4:5], v[0:1]
	v_cmpx_eq_u64_e64 v[26:27], v[24:25]
; %bb.21370:                            ;   in Loop: Header=BB6_21110 Depth=2
	v_bfe_u32 v4, v0, 21, 1
	v_mov_b32_e32 v5, v55
	s_delay_alu instid0(VALU_DEP_1) | instskip(NEXT) | instid1(VALU_DEP_1)
	v_add_nc_u64_e32 v[4:5], v[0:1], v[4:5]
	v_add_nc_u64_e32 v[4:5], -1, v[4:5]
; %bb.21371:                            ;   in Loop: Header=BB6_21110 Depth=2
	s_or_b32 exec_lo, exec_lo, s29
	v_add_nc_u32_e32 v1, 0xffffff81, v20
	s_delay_alu instid0(VALU_DEP_2) | instskip(SKIP_2) | instid1(VALU_DEP_3)
	v_and_b32_e32 v4, 0x1fffff, v4
	v_lshrrev_b32_e32 v5, 23, v0
	s_mov_b32 s10, exec_lo
	v_cndmask_b32_e64 v1, v1, 0xffffff82, vcc_lo
	s_delay_alu instid0(VALU_DEP_3) | instskip(NEXT) | instid1(VALU_DEP_2)
	v_add_nc_u32_e32 v54, v4, v0
                                        ; implicit-def: $vgpr4
	v_add3_u32 v5, v22, v1, v5
                                        ; implicit-def: $vgpr0_vgpr1
	s_delay_alu instid0(VALU_DEP_1) | instskip(NEXT) | instid1(VALU_DEP_1)
	v_add_nc_u32_e32 v20, 14, v5
	v_cmpx_ne_u32_e32 0, v20
	s_xor_b32 s10, exec_lo, s10
; %bb.21372:                            ;   in Loop: Header=BB6_21110 Depth=2
	v_cmp_lt_u64_e32 vcc_lo, 0xffffff, v[54:55]
	v_add_nc_u32_e32 v0, 15, v5
	s_delay_alu instid0(VALU_DEP_1) | instskip(SKIP_1) | instid1(VALU_DEP_1)
	v_cndmask_b32_e32 v4, v20, v0, vcc_lo
	v_cndmask_b32_e64 v0, 0, 1, vcc_lo
	v_lshrrev_b64 v[0:1], v0, v[54:55]
; %bb.21373:                            ;   in Loop: Header=BB6_21110 Depth=2
	s_and_not1_saveexec_b32 s10, s10
; %bb.21374:                            ;   in Loop: Header=BB6_21110 Depth=2
	v_mov_b64_e32 v[0:1], v[54:55]
	v_bfe_u32 v4, v54, 23, 1
; %bb.21375:                            ;   in Loop: Header=BB6_21110 Depth=2
	s_or_b32 exec_lo, exec_lo, s10
	s_delay_alu instid0(VALU_DEP_2) | instskip(NEXT) | instid1(VALU_DEP_2)
	v_lshrrev_b64 v[0:1], 21, v[0:1]
	v_cmp_gt_i32_e32 vcc_lo, 32, v4
	v_cmp_ne_u32_e64 s10, 0, v4
                                        ; implicit-def: $vgpr20
	s_delay_alu instid0(VALU_DEP_3) | instskip(NEXT) | instid1(VALU_DEP_1)
	v_dual_cndmask_b32 v1, 0, v1 :: v_dual_cndmask_b32 v0, 3, v0
	v_cmp_ne_u64_e32 vcc_lo, 0, v[0:1]
	s_or_b32 s10, s10, vcc_lo
	s_delay_alu instid0(SALU_CYCLE_1) | instskip(NEXT) | instid1(SALU_CYCLE_1)
	s_and_saveexec_b32 s29, s10
	s_xor_b32 s10, exec_lo, s29
; %bb.21376:                            ;   in Loop: Header=BB6_21110 Depth=2
	v_min_i32_e32 v1, 31, v4
	s_delay_alu instid0(VALU_DEP_1) | instskip(NEXT) | instid1(VALU_DEP_1)
	v_lshl_or_b32 v1, v1, 2, v21
                                        ; implicit-def: $vgpr21
	v_and_or_b32 v20, v0, 3, v1
; %bb.21377:                            ;   in Loop: Header=BB6_21110 Depth=2
	s_and_not1_saveexec_b32 s10, s10
; %bb.21378:                            ;   in Loop: Header=BB6_21110 Depth=2
	v_mov_b32_e32 v20, v21
; %bb.21379:                            ;   in Loop: Header=BB6_21110 Depth=2
	s_or_b32 exec_lo, exec_lo, s10
.LBB6_21380:                            ;   in Loop: Header=BB6_21110 Depth=2
	s_delay_alu instid0(SALU_CYCLE_1)
	s_or_b32 exec_lo, exec_lo, s28
                                        ; implicit-def: $vgpr21
.LBB6_21381:                            ;   in Loop: Header=BB6_21110 Depth=2
	s_and_not1_saveexec_b32 s10, s27
; %bb.21382:                            ;   in Loop: Header=BB6_21110 Depth=2
	v_or_b32_e32 v20, 0x7b, v21
; %bb.21383:                            ;   in Loop: Header=BB6_21110 Depth=2
	s_or_b32 exec_lo, exec_lo, s10
                                        ; implicit-def: $vgpr0
.LBB6_21384:                            ;   in Loop: Header=BB6_21110 Depth=2
	s_and_not1_saveexec_b32 s10, s11
	s_cbranch_execz .LBB6_21390
; %bb.21385:                            ;   in Loop: Header=BB6_21110 Depth=2
	s_mov_b32 s11, exec_lo
                                        ; implicit-def: $vgpr20
	v_cmpx_ne_u64_e32 0, v[54:55]
	s_xor_b32 s11, exec_lo, s11
; %bb.21386:                            ;   in Loop: Header=BB6_21110 Depth=2
	v_lshrrev_b32_e32 v0, 24, v0
	s_delay_alu instid0(VALU_DEP_1)
	v_or_b32_e32 v20, 0x7f, v0
                                        ; implicit-def: $vgpr0
; %bb.21387:                            ;   in Loop: Header=BB6_21110 Depth=2
	s_and_not1_saveexec_b32 s11, s11
; %bb.21388:                            ;   in Loop: Header=BB6_21110 Depth=2
	v_cmp_lt_i32_e32 vcc_lo, -1, v0
	v_cndmask_b32_e64 v20, -4, 0x7c, vcc_lo
; %bb.21389:                            ;   in Loop: Header=BB6_21110 Depth=2
	s_or_b32 exec_lo, exec_lo, s11
.LBB6_21390:                            ;   in Loop: Header=BB6_21110 Depth=2
	s_delay_alu instid0(SALU_CYCLE_1)
	s_or_b32 exec_lo, exec_lo, s10
	flat_load_i8 v0, v[10:11] offset:256 th:TH_LOAD_NT
	v_mov_b32_e32 v4, 0
	s_mov_b32 s10, exec_lo
	s_wait_loadcnt_dscnt 0x0
	v_cmpx_ne_u16_e32 0, v0
	s_cbranch_execz .LBB6_21400
; %bb.21391:                            ;   in Loop: Header=BB6_21110 Depth=2
	v_bfrev_b32_e32 v4, 1
	s_mov_b32 s11, exec_lo
	v_cmpx_ne_u16_e32 0xff80, v0
	s_cbranch_execz .LBB6_21399
; %bb.21392:                            ;   in Loop: Header=BB6_21110 Depth=2
	v_and_b32_e32 v4, 0x7c, v0
	v_and_b32_e32 v1, 3, v0
	s_delay_alu instid0(VALU_DEP_2) | instskip(SKIP_1) | instid1(SALU_CYCLE_1)
	v_cmp_ne_u32_e32 vcc_lo, 0x7c, v4
                                        ; implicit-def: $vgpr4
	s_and_saveexec_b32 s27, vcc_lo
	s_xor_b32 s27, exec_lo, s27
	s_cbranch_execz .LBB6_21396
; %bb.21393:                            ;   in Loop: Header=BB6_21110 Depth=2
	v_and_b32_e32 v4, 0xff, v0
	s_mov_b32 s28, exec_lo
	s_delay_alu instid0(VALU_DEP_1) | instskip(NEXT) | instid1(VALU_DEP_1)
	v_bfe_u32 v4, v4, 2, 5
	v_cmpx_eq_u32_e32 0, v4
	s_cbranch_execz .LBB6_21395
; %bb.21394:                            ;   in Loop: Header=BB6_21110 Depth=2
	v_clz_i32_u32_e32 v1, v1
	s_delay_alu instid0(VALU_DEP_1) | instskip(SKIP_1) | instid1(VALU_DEP_2)
	v_min_u32_e32 v4, 32, v1
	v_mov_b32_e32 v1, v55
	v_subrev_nc_u32_e32 v5, 29, v4
	v_sub_nc_u32_e32 v4, 30, v4
	s_delay_alu instid0(VALU_DEP_2) | instskip(NEXT) | instid1(VALU_DEP_1)
	v_lshlrev_b64_e32 v[22:23], v5, v[0:1]
	v_and_b32_e32 v1, 3, v22
.LBB6_21395:                            ;   in Loop: Header=BB6_21110 Depth=2
	s_or_b32 exec_lo, exec_lo, s28
	v_bfe_i32 v0, v0, 0, 16
	s_delay_alu instid0(VALU_DEP_1) | instskip(NEXT) | instid1(VALU_DEP_1)
	v_and_b32_e32 v0, 0x80000000, v0
	v_lshl_add_u32 v0, v4, 23, v0
	s_delay_alu instid0(VALU_DEP_1) | instskip(NEXT) | instid1(VALU_DEP_1)
	v_lshl_or_b32 v0, v1, 21, v0
                                        ; implicit-def: $vgpr1
	v_add_nc_u32_e32 v4, 0x38000000, v0
                                        ; implicit-def: $vgpr0
.LBB6_21396:                            ;   in Loop: Header=BB6_21110 Depth=2
	s_and_not1_saveexec_b32 s27, s27
; %bb.21397:                            ;   in Loop: Header=BB6_21110 Depth=2
	v_cmp_lt_i16_e32 vcc_lo, -1, v0
	v_cndmask_b32_e32 v0, 0xff800000, v29, vcc_lo
	v_cmp_eq_u32_e32 vcc_lo, 0, v1
	s_delay_alu instid0(VALU_DEP_2)
	v_cndmask_b32_e32 v4, 0x7f800001, v0, vcc_lo
; %bb.21398:                            ;   in Loop: Header=BB6_21110 Depth=2
	s_or_b32 exec_lo, exec_lo, s27
.LBB6_21399:                            ;   in Loop: Header=BB6_21110 Depth=2
	s_delay_alu instid0(SALU_CYCLE_1)
	s_or_b32 exec_lo, exec_lo, s11
.LBB6_21400:                            ;   in Loop: Header=BB6_21110 Depth=2
	s_delay_alu instid0(SALU_CYCLE_1) | instskip(NEXT) | instid1(VALU_DEP_1)
	s_or_b32 exec_lo, exec_lo, s10
	v_dual_mul_f32 v0, s26, v4 :: v_dual_mov_b32 v5, v55
                                        ; implicit-def: $vgpr21
	s_mov_b32 s10, exec_lo
	s_delay_alu instid0(VALU_DEP_1) | instskip(SKIP_1) | instid1(VALU_DEP_2)
	v_and_b32_e32 v4, 0x7f800000, v0
	v_and_b32_e32 v54, 0x7fffff, v0
	v_cmpx_ne_u64_e32 0x7f800000, v[4:5]
	s_xor_b32 s11, exec_lo, s10
	s_cbranch_execz .LBB6_21418
; %bb.21401:                            ;   in Loop: Header=BB6_21110 Depth=2
	v_dual_mov_b32 v5, v55 :: v_dual_lshrrev_b32 v1, 24, v0
	v_and_b32_e32 v4, 0x7fffffff, v0
                                        ; implicit-def: $vgpr21
	s_mov_b32 s10, exec_lo
	s_delay_alu instid0(VALU_DEP_2) | instskip(NEXT) | instid1(VALU_DEP_2)
	v_and_b32_e32 v22, 0x80, v1
	v_cmpx_gt_u64_e32 0x47600001, v[4:5]
	s_xor_b32 s27, exec_lo, s10
	s_cbranch_execz .LBB6_21415
; %bb.21402:                            ;   in Loop: Header=BB6_21110 Depth=2
	v_mov_b32_e32 v21, 0
	s_mov_b32 s28, exec_lo
	v_cmpx_ne_u32_e32 0, v0
	s_cbranch_execz .LBB6_21414
; %bb.21403:                            ;   in Loop: Header=BB6_21110 Depth=2
	v_bfe_u32 v21, v0, 23, 8
	v_or_b32_e32 v4, 0x800000, v54
	s_mov_b32 s29, exec_lo
	s_delay_alu instid0(VALU_DEP_2) | instskip(SKIP_1) | instid1(VALU_DEP_2)
	v_dual_mov_b32 v5, v55 :: v_dual_sub_nc_u32 v0, 0x71, v21
	v_cmp_gt_u32_e32 vcc_lo, 0x72, v21
	v_cndmask_b32_e32 v0, 0, v0, vcc_lo
	v_cmp_eq_u32_e32 vcc_lo, 0, v21
	s_delay_alu instid0(VALU_DEP_2) | instskip(NEXT) | instid1(VALU_DEP_1)
	v_cndmask_b32_e64 v23, v0, 0x70, vcc_lo
	v_dual_cndmask_b32 v4, v4, v54, vcc_lo :: v_dual_add_nc_u32 v0, 21, v23
	v_add_nc_u32_e32 v24, 20, v23
	s_delay_alu instid0(VALU_DEP_2) | instskip(NEXT) | instid1(VALU_DEP_2)
	v_lshlrev_b64_e64 v[0:1], v0, -1
	v_lshlrev_b64_e64 v[24:25], v24, 1
	s_delay_alu instid0(VALU_DEP_2) | instskip(NEXT) | instid1(VALU_DEP_3)
	v_bfi_b32 v27, v1, 0, 0
	v_bfi_b32 v26, v0, 0, v4
	v_lshrrev_b64 v[0:1], v23, v[4:5]
	s_delay_alu instid0(VALU_DEP_1) | instskip(NEXT) | instid1(VALU_DEP_3)
	v_mov_b64_e32 v[4:5], v[0:1]
	v_cmpx_eq_u64_e64 v[26:27], v[24:25]
; %bb.21404:                            ;   in Loop: Header=BB6_21110 Depth=2
	v_bfe_u32 v4, v0, 21, 1
	v_mov_b32_e32 v5, v55
	s_delay_alu instid0(VALU_DEP_1) | instskip(NEXT) | instid1(VALU_DEP_1)
	v_add_nc_u64_e32 v[4:5], v[0:1], v[4:5]
	v_add_nc_u64_e32 v[4:5], -1, v[4:5]
; %bb.21405:                            ;   in Loop: Header=BB6_21110 Depth=2
	s_or_b32 exec_lo, exec_lo, s29
	v_add_nc_u32_e32 v1, 0xffffff81, v21
	s_delay_alu instid0(VALU_DEP_2) | instskip(SKIP_2) | instid1(VALU_DEP_3)
	v_and_b32_e32 v4, 0x1fffff, v4
	v_lshrrev_b32_e32 v5, 23, v0
	s_mov_b32 s10, exec_lo
	v_cndmask_b32_e64 v1, v1, 0xffffff82, vcc_lo
	s_delay_alu instid0(VALU_DEP_3) | instskip(NEXT) | instid1(VALU_DEP_2)
	v_add_nc_u32_e32 v54, v4, v0
                                        ; implicit-def: $vgpr4
	v_add3_u32 v5, v23, v1, v5
                                        ; implicit-def: $vgpr0_vgpr1
	s_delay_alu instid0(VALU_DEP_1) | instskip(NEXT) | instid1(VALU_DEP_1)
	v_add_nc_u32_e32 v21, 14, v5
	v_cmpx_ne_u32_e32 0, v21
	s_xor_b32 s10, exec_lo, s10
; %bb.21406:                            ;   in Loop: Header=BB6_21110 Depth=2
	v_cmp_lt_u64_e32 vcc_lo, 0xffffff, v[54:55]
	v_add_nc_u32_e32 v0, 15, v5
	s_delay_alu instid0(VALU_DEP_1) | instskip(SKIP_1) | instid1(VALU_DEP_1)
	v_cndmask_b32_e32 v4, v21, v0, vcc_lo
	v_cndmask_b32_e64 v0, 0, 1, vcc_lo
	v_lshrrev_b64 v[0:1], v0, v[54:55]
; %bb.21407:                            ;   in Loop: Header=BB6_21110 Depth=2
	s_and_not1_saveexec_b32 s10, s10
; %bb.21408:                            ;   in Loop: Header=BB6_21110 Depth=2
	v_mov_b64_e32 v[0:1], v[54:55]
	v_bfe_u32 v4, v54, 23, 1
; %bb.21409:                            ;   in Loop: Header=BB6_21110 Depth=2
	s_or_b32 exec_lo, exec_lo, s10
	s_delay_alu instid0(VALU_DEP_2) | instskip(NEXT) | instid1(VALU_DEP_2)
	v_lshrrev_b64 v[0:1], 21, v[0:1]
	v_cmp_gt_i32_e32 vcc_lo, 32, v4
	v_cmp_ne_u32_e64 s10, 0, v4
                                        ; implicit-def: $vgpr21
	s_delay_alu instid0(VALU_DEP_3) | instskip(NEXT) | instid1(VALU_DEP_1)
	v_dual_cndmask_b32 v1, 0, v1 :: v_dual_cndmask_b32 v0, 3, v0
	v_cmp_ne_u64_e32 vcc_lo, 0, v[0:1]
	s_or_b32 s10, s10, vcc_lo
	s_delay_alu instid0(SALU_CYCLE_1) | instskip(NEXT) | instid1(SALU_CYCLE_1)
	s_and_saveexec_b32 s29, s10
	s_xor_b32 s10, exec_lo, s29
; %bb.21410:                            ;   in Loop: Header=BB6_21110 Depth=2
	v_min_i32_e32 v1, 31, v4
	s_delay_alu instid0(VALU_DEP_1) | instskip(NEXT) | instid1(VALU_DEP_1)
	v_lshl_or_b32 v1, v1, 2, v22
                                        ; implicit-def: $vgpr22
	v_and_or_b32 v21, v0, 3, v1
; %bb.21411:                            ;   in Loop: Header=BB6_21110 Depth=2
	s_and_not1_saveexec_b32 s10, s10
; %bb.21412:                            ;   in Loop: Header=BB6_21110 Depth=2
	v_mov_b32_e32 v21, v22
; %bb.21413:                            ;   in Loop: Header=BB6_21110 Depth=2
	s_or_b32 exec_lo, exec_lo, s10
.LBB6_21414:                            ;   in Loop: Header=BB6_21110 Depth=2
	s_delay_alu instid0(SALU_CYCLE_1)
	s_or_b32 exec_lo, exec_lo, s28
                                        ; implicit-def: $vgpr22
.LBB6_21415:                            ;   in Loop: Header=BB6_21110 Depth=2
	s_and_not1_saveexec_b32 s10, s27
; %bb.21416:                            ;   in Loop: Header=BB6_21110 Depth=2
	v_or_b32_e32 v21, 0x7b, v22
; %bb.21417:                            ;   in Loop: Header=BB6_21110 Depth=2
	s_or_b32 exec_lo, exec_lo, s10
                                        ; implicit-def: $vgpr0
.LBB6_21418:                            ;   in Loop: Header=BB6_21110 Depth=2
	s_and_not1_saveexec_b32 s10, s11
	s_cbranch_execz .LBB6_21424
; %bb.21419:                            ;   in Loop: Header=BB6_21110 Depth=2
	s_mov_b32 s11, exec_lo
                                        ; implicit-def: $vgpr21
	v_cmpx_ne_u64_e32 0, v[54:55]
	s_xor_b32 s11, exec_lo, s11
; %bb.21420:                            ;   in Loop: Header=BB6_21110 Depth=2
	v_lshrrev_b32_e32 v0, 24, v0
	s_delay_alu instid0(VALU_DEP_1)
	v_or_b32_e32 v21, 0x7f, v0
                                        ; implicit-def: $vgpr0
; %bb.21421:                            ;   in Loop: Header=BB6_21110 Depth=2
	s_and_not1_saveexec_b32 s11, s11
; %bb.21422:                            ;   in Loop: Header=BB6_21110 Depth=2
	v_cmp_lt_i32_e32 vcc_lo, -1, v0
	v_cndmask_b32_e64 v21, -4, 0x7c, vcc_lo
; %bb.21423:                            ;   in Loop: Header=BB6_21110 Depth=2
	s_or_b32 exec_lo, exec_lo, s11
.LBB6_21424:                            ;   in Loop: Header=BB6_21110 Depth=2
	s_delay_alu instid0(SALU_CYCLE_1)
	s_or_b32 exec_lo, exec_lo, s10
	flat_load_i8 v0, v[10:11] offset:288 th:TH_LOAD_NT
	v_mov_b32_e32 v4, 0
	s_mov_b32 s10, exec_lo
	s_wait_loadcnt_dscnt 0x0
	v_cmpx_ne_u16_e32 0, v0
	s_cbranch_execz .LBB6_21434
; %bb.21425:                            ;   in Loop: Header=BB6_21110 Depth=2
	v_bfrev_b32_e32 v4, 1
	s_mov_b32 s11, exec_lo
	v_cmpx_ne_u16_e32 0xff80, v0
	s_cbranch_execz .LBB6_21433
; %bb.21426:                            ;   in Loop: Header=BB6_21110 Depth=2
	v_and_b32_e32 v4, 0x7c, v0
	v_and_b32_e32 v1, 3, v0
	s_delay_alu instid0(VALU_DEP_2) | instskip(SKIP_1) | instid1(SALU_CYCLE_1)
	v_cmp_ne_u32_e32 vcc_lo, 0x7c, v4
                                        ; implicit-def: $vgpr4
	s_and_saveexec_b32 s27, vcc_lo
	s_xor_b32 s27, exec_lo, s27
	s_cbranch_execz .LBB6_21430
; %bb.21427:                            ;   in Loop: Header=BB6_21110 Depth=2
	v_and_b32_e32 v4, 0xff, v0
	s_mov_b32 s28, exec_lo
	s_delay_alu instid0(VALU_DEP_1) | instskip(NEXT) | instid1(VALU_DEP_1)
	v_bfe_u32 v4, v4, 2, 5
	v_cmpx_eq_u32_e32 0, v4
	s_cbranch_execz .LBB6_21429
; %bb.21428:                            ;   in Loop: Header=BB6_21110 Depth=2
	v_clz_i32_u32_e32 v1, v1
	s_delay_alu instid0(VALU_DEP_1) | instskip(SKIP_1) | instid1(VALU_DEP_2)
	v_min_u32_e32 v4, 32, v1
	v_mov_b32_e32 v1, v55
	v_subrev_nc_u32_e32 v5, 29, v4
	v_sub_nc_u32_e32 v4, 30, v4
	s_delay_alu instid0(VALU_DEP_2) | instskip(NEXT) | instid1(VALU_DEP_1)
	v_lshlrev_b64_e32 v[22:23], v5, v[0:1]
	v_and_b32_e32 v1, 3, v22
.LBB6_21429:                            ;   in Loop: Header=BB6_21110 Depth=2
	s_or_b32 exec_lo, exec_lo, s28
	v_bfe_i32 v0, v0, 0, 16
	s_delay_alu instid0(VALU_DEP_1) | instskip(NEXT) | instid1(VALU_DEP_1)
	v_and_b32_e32 v0, 0x80000000, v0
	v_lshl_add_u32 v0, v4, 23, v0
	s_delay_alu instid0(VALU_DEP_1) | instskip(NEXT) | instid1(VALU_DEP_1)
	v_lshl_or_b32 v0, v1, 21, v0
                                        ; implicit-def: $vgpr1
	v_add_nc_u32_e32 v4, 0x38000000, v0
                                        ; implicit-def: $vgpr0
.LBB6_21430:                            ;   in Loop: Header=BB6_21110 Depth=2
	s_and_not1_saveexec_b32 s27, s27
; %bb.21431:                            ;   in Loop: Header=BB6_21110 Depth=2
	v_cmp_lt_i16_e32 vcc_lo, -1, v0
	v_cndmask_b32_e32 v0, 0xff800000, v29, vcc_lo
	v_cmp_eq_u32_e32 vcc_lo, 0, v1
	s_delay_alu instid0(VALU_DEP_2)
	v_cndmask_b32_e32 v4, 0x7f800001, v0, vcc_lo
; %bb.21432:                            ;   in Loop: Header=BB6_21110 Depth=2
	s_or_b32 exec_lo, exec_lo, s27
.LBB6_21433:                            ;   in Loop: Header=BB6_21110 Depth=2
	s_delay_alu instid0(SALU_CYCLE_1)
	s_or_b32 exec_lo, exec_lo, s11
.LBB6_21434:                            ;   in Loop: Header=BB6_21110 Depth=2
	s_delay_alu instid0(SALU_CYCLE_1) | instskip(NEXT) | instid1(VALU_DEP_1)
	s_or_b32 exec_lo, exec_lo, s10
	v_dual_mul_f32 v0, s26, v4 :: v_dual_mov_b32 v5, v55
                                        ; implicit-def: $vgpr22
	s_mov_b32 s10, exec_lo
	s_delay_alu instid0(VALU_DEP_1) | instskip(SKIP_1) | instid1(VALU_DEP_2)
	v_and_b32_e32 v4, 0x7f800000, v0
	v_and_b32_e32 v54, 0x7fffff, v0
	v_cmpx_ne_u64_e32 0x7f800000, v[4:5]
	s_xor_b32 s11, exec_lo, s10
	s_cbranch_execz .LBB6_21452
; %bb.21435:                            ;   in Loop: Header=BB6_21110 Depth=2
	v_dual_mov_b32 v5, v55 :: v_dual_lshrrev_b32 v1, 24, v0
	v_and_b32_e32 v4, 0x7fffffff, v0
                                        ; implicit-def: $vgpr22
	s_mov_b32 s10, exec_lo
	s_delay_alu instid0(VALU_DEP_2) | instskip(NEXT) | instid1(VALU_DEP_2)
	v_and_b32_e32 v23, 0x80, v1
	v_cmpx_gt_u64_e32 0x47600001, v[4:5]
	s_xor_b32 s27, exec_lo, s10
	s_cbranch_execz .LBB6_21449
; %bb.21436:                            ;   in Loop: Header=BB6_21110 Depth=2
	v_mov_b32_e32 v22, 0
	s_mov_b32 s28, exec_lo
	v_cmpx_ne_u32_e32 0, v0
	s_cbranch_execz .LBB6_21448
; %bb.21437:                            ;   in Loop: Header=BB6_21110 Depth=2
	v_bfe_u32 v22, v0, 23, 8
	v_or_b32_e32 v4, 0x800000, v54
	s_mov_b32 s29, exec_lo
	s_delay_alu instid0(VALU_DEP_2) | instskip(SKIP_1) | instid1(VALU_DEP_2)
	v_dual_mov_b32 v5, v55 :: v_dual_sub_nc_u32 v0, 0x71, v22
	v_cmp_gt_u32_e32 vcc_lo, 0x72, v22
	v_cndmask_b32_e32 v0, 0, v0, vcc_lo
	v_cmp_eq_u32_e32 vcc_lo, 0, v22
	v_cndmask_b32_e32 v4, v4, v54, vcc_lo
	s_delay_alu instid0(VALU_DEP_3) | instskip(NEXT) | instid1(VALU_DEP_1)
	v_cndmask_b32_e64 v24, v0, 0x70, vcc_lo
	v_dual_add_nc_u32 v0, 21, v24 :: v_dual_add_nc_u32 v25, 20, v24
	s_delay_alu instid0(VALU_DEP_1) | instskip(NEXT) | instid1(VALU_DEP_2)
	v_lshlrev_b64_e64 v[0:1], v0, -1
	v_lshlrev_b64_e64 v[26:27], v25, 1
	s_delay_alu instid0(VALU_DEP_2) | instskip(NEXT) | instid1(VALU_DEP_3)
	v_bfi_b32 v33, v1, 0, 0
	v_bfi_b32 v32, v0, 0, v4
	v_lshrrev_b64 v[0:1], v24, v[4:5]
	s_delay_alu instid0(VALU_DEP_1) | instskip(NEXT) | instid1(VALU_DEP_3)
	v_mov_b64_e32 v[4:5], v[0:1]
	v_cmpx_eq_u64_e64 v[32:33], v[26:27]
; %bb.21438:                            ;   in Loop: Header=BB6_21110 Depth=2
	v_bfe_u32 v4, v0, 21, 1
	v_mov_b32_e32 v5, v55
	s_delay_alu instid0(VALU_DEP_1) | instskip(NEXT) | instid1(VALU_DEP_1)
	v_add_nc_u64_e32 v[4:5], v[0:1], v[4:5]
	v_add_nc_u64_e32 v[4:5], -1, v[4:5]
; %bb.21439:                            ;   in Loop: Header=BB6_21110 Depth=2
	s_or_b32 exec_lo, exec_lo, s29
	v_add_nc_u32_e32 v1, 0xffffff81, v22
	s_delay_alu instid0(VALU_DEP_2) | instskip(SKIP_2) | instid1(VALU_DEP_3)
	v_and_b32_e32 v4, 0x1fffff, v4
	v_lshrrev_b32_e32 v5, 23, v0
	s_mov_b32 s10, exec_lo
	v_cndmask_b32_e64 v1, v1, 0xffffff82, vcc_lo
	s_delay_alu instid0(VALU_DEP_3) | instskip(NEXT) | instid1(VALU_DEP_2)
	v_add_nc_u32_e32 v54, v4, v0
                                        ; implicit-def: $vgpr4
	v_add3_u32 v5, v24, v1, v5
                                        ; implicit-def: $vgpr0_vgpr1
	s_delay_alu instid0(VALU_DEP_1) | instskip(NEXT) | instid1(VALU_DEP_1)
	v_add_nc_u32_e32 v22, 14, v5
	v_cmpx_ne_u32_e32 0, v22
	s_xor_b32 s10, exec_lo, s10
; %bb.21440:                            ;   in Loop: Header=BB6_21110 Depth=2
	v_cmp_lt_u64_e32 vcc_lo, 0xffffff, v[54:55]
	v_add_nc_u32_e32 v0, 15, v5
	s_delay_alu instid0(VALU_DEP_1) | instskip(SKIP_1) | instid1(VALU_DEP_1)
	v_cndmask_b32_e32 v4, v22, v0, vcc_lo
	v_cndmask_b32_e64 v0, 0, 1, vcc_lo
	v_lshrrev_b64 v[0:1], v0, v[54:55]
; %bb.21441:                            ;   in Loop: Header=BB6_21110 Depth=2
	s_and_not1_saveexec_b32 s10, s10
; %bb.21442:                            ;   in Loop: Header=BB6_21110 Depth=2
	v_mov_b64_e32 v[0:1], v[54:55]
	v_bfe_u32 v4, v54, 23, 1
; %bb.21443:                            ;   in Loop: Header=BB6_21110 Depth=2
	s_or_b32 exec_lo, exec_lo, s10
	s_delay_alu instid0(VALU_DEP_2) | instskip(NEXT) | instid1(VALU_DEP_2)
	v_lshrrev_b64 v[0:1], 21, v[0:1]
	v_cmp_gt_i32_e32 vcc_lo, 32, v4
	v_cmp_ne_u32_e64 s10, 0, v4
                                        ; implicit-def: $vgpr22
	s_delay_alu instid0(VALU_DEP_3) | instskip(NEXT) | instid1(VALU_DEP_1)
	v_dual_cndmask_b32 v1, 0, v1 :: v_dual_cndmask_b32 v0, 3, v0
	v_cmp_ne_u64_e32 vcc_lo, 0, v[0:1]
	s_or_b32 s10, s10, vcc_lo
	s_delay_alu instid0(SALU_CYCLE_1) | instskip(NEXT) | instid1(SALU_CYCLE_1)
	s_and_saveexec_b32 s29, s10
	s_xor_b32 s10, exec_lo, s29
; %bb.21444:                            ;   in Loop: Header=BB6_21110 Depth=2
	v_min_i32_e32 v1, 31, v4
	s_delay_alu instid0(VALU_DEP_1) | instskip(NEXT) | instid1(VALU_DEP_1)
	v_lshl_or_b32 v1, v1, 2, v23
                                        ; implicit-def: $vgpr23
	v_and_or_b32 v22, v0, 3, v1
; %bb.21445:                            ;   in Loop: Header=BB6_21110 Depth=2
	s_and_not1_saveexec_b32 s10, s10
; %bb.21446:                            ;   in Loop: Header=BB6_21110 Depth=2
	v_mov_b32_e32 v22, v23
; %bb.21447:                            ;   in Loop: Header=BB6_21110 Depth=2
	s_or_b32 exec_lo, exec_lo, s10
.LBB6_21448:                            ;   in Loop: Header=BB6_21110 Depth=2
	s_delay_alu instid0(SALU_CYCLE_1)
	s_or_b32 exec_lo, exec_lo, s28
                                        ; implicit-def: $vgpr23
.LBB6_21449:                            ;   in Loop: Header=BB6_21110 Depth=2
	s_and_not1_saveexec_b32 s10, s27
; %bb.21450:                            ;   in Loop: Header=BB6_21110 Depth=2
	v_or_b32_e32 v22, 0x7b, v23
; %bb.21451:                            ;   in Loop: Header=BB6_21110 Depth=2
	s_or_b32 exec_lo, exec_lo, s10
                                        ; implicit-def: $vgpr0
.LBB6_21452:                            ;   in Loop: Header=BB6_21110 Depth=2
	s_and_not1_saveexec_b32 s10, s11
	s_cbranch_execz .LBB6_21458
; %bb.21453:                            ;   in Loop: Header=BB6_21110 Depth=2
	s_mov_b32 s11, exec_lo
                                        ; implicit-def: $vgpr22
	v_cmpx_ne_u64_e32 0, v[54:55]
	s_xor_b32 s11, exec_lo, s11
; %bb.21454:                            ;   in Loop: Header=BB6_21110 Depth=2
	v_lshrrev_b32_e32 v0, 24, v0
	s_delay_alu instid0(VALU_DEP_1)
	v_or_b32_e32 v22, 0x7f, v0
                                        ; implicit-def: $vgpr0
; %bb.21455:                            ;   in Loop: Header=BB6_21110 Depth=2
	s_and_not1_saveexec_b32 s11, s11
; %bb.21456:                            ;   in Loop: Header=BB6_21110 Depth=2
	v_cmp_lt_i32_e32 vcc_lo, -1, v0
	v_cndmask_b32_e64 v22, -4, 0x7c, vcc_lo
; %bb.21457:                            ;   in Loop: Header=BB6_21110 Depth=2
	s_or_b32 exec_lo, exec_lo, s11
.LBB6_21458:                            ;   in Loop: Header=BB6_21110 Depth=2
	s_delay_alu instid0(SALU_CYCLE_1)
	s_or_b32 exec_lo, exec_lo, s10
	flat_load_i8 v0, v[10:11] offset:320 th:TH_LOAD_NT
	v_mov_b32_e32 v4, 0
	s_mov_b32 s10, exec_lo
	s_wait_loadcnt_dscnt 0x0
	v_cmpx_ne_u16_e32 0, v0
	s_cbranch_execz .LBB6_21468
; %bb.21459:                            ;   in Loop: Header=BB6_21110 Depth=2
	v_bfrev_b32_e32 v4, 1
	s_mov_b32 s11, exec_lo
	v_cmpx_ne_u16_e32 0xff80, v0
	s_cbranch_execz .LBB6_21467
; %bb.21460:                            ;   in Loop: Header=BB6_21110 Depth=2
	v_and_b32_e32 v4, 0x7c, v0
	v_and_b32_e32 v1, 3, v0
	s_delay_alu instid0(VALU_DEP_2) | instskip(SKIP_1) | instid1(SALU_CYCLE_1)
	v_cmp_ne_u32_e32 vcc_lo, 0x7c, v4
                                        ; implicit-def: $vgpr4
	s_and_saveexec_b32 s27, vcc_lo
	s_xor_b32 s27, exec_lo, s27
	s_cbranch_execz .LBB6_21464
; %bb.21461:                            ;   in Loop: Header=BB6_21110 Depth=2
	v_and_b32_e32 v4, 0xff, v0
	s_mov_b32 s28, exec_lo
	s_delay_alu instid0(VALU_DEP_1) | instskip(NEXT) | instid1(VALU_DEP_1)
	v_bfe_u32 v4, v4, 2, 5
	v_cmpx_eq_u32_e32 0, v4
	s_cbranch_execz .LBB6_21463
; %bb.21462:                            ;   in Loop: Header=BB6_21110 Depth=2
	v_clz_i32_u32_e32 v1, v1
	s_delay_alu instid0(VALU_DEP_1) | instskip(SKIP_1) | instid1(VALU_DEP_2)
	v_min_u32_e32 v4, 32, v1
	v_mov_b32_e32 v1, v55
	v_subrev_nc_u32_e32 v5, 29, v4
	v_sub_nc_u32_e32 v4, 30, v4
	s_delay_alu instid0(VALU_DEP_2) | instskip(NEXT) | instid1(VALU_DEP_1)
	v_lshlrev_b64_e32 v[24:25], v5, v[0:1]
	v_and_b32_e32 v1, 3, v24
.LBB6_21463:                            ;   in Loop: Header=BB6_21110 Depth=2
	s_or_b32 exec_lo, exec_lo, s28
	v_bfe_i32 v0, v0, 0, 16
	s_delay_alu instid0(VALU_DEP_1) | instskip(NEXT) | instid1(VALU_DEP_1)
	v_and_b32_e32 v0, 0x80000000, v0
	v_lshl_add_u32 v0, v4, 23, v0
	s_delay_alu instid0(VALU_DEP_1) | instskip(NEXT) | instid1(VALU_DEP_1)
	v_lshl_or_b32 v0, v1, 21, v0
                                        ; implicit-def: $vgpr1
	v_add_nc_u32_e32 v4, 0x38000000, v0
                                        ; implicit-def: $vgpr0
.LBB6_21464:                            ;   in Loop: Header=BB6_21110 Depth=2
	s_and_not1_saveexec_b32 s27, s27
; %bb.21465:                            ;   in Loop: Header=BB6_21110 Depth=2
	v_cmp_lt_i16_e32 vcc_lo, -1, v0
	v_cndmask_b32_e32 v0, 0xff800000, v29, vcc_lo
	v_cmp_eq_u32_e32 vcc_lo, 0, v1
	s_delay_alu instid0(VALU_DEP_2)
	v_cndmask_b32_e32 v4, 0x7f800001, v0, vcc_lo
; %bb.21466:                            ;   in Loop: Header=BB6_21110 Depth=2
	s_or_b32 exec_lo, exec_lo, s27
.LBB6_21467:                            ;   in Loop: Header=BB6_21110 Depth=2
	s_delay_alu instid0(SALU_CYCLE_1)
	s_or_b32 exec_lo, exec_lo, s11
.LBB6_21468:                            ;   in Loop: Header=BB6_21110 Depth=2
	s_delay_alu instid0(SALU_CYCLE_1) | instskip(NEXT) | instid1(VALU_DEP_1)
	s_or_b32 exec_lo, exec_lo, s10
	v_dual_mul_f32 v0, s26, v4 :: v_dual_mov_b32 v5, v55
                                        ; implicit-def: $vgpr23
	s_mov_b32 s10, exec_lo
	s_delay_alu instid0(VALU_DEP_1) | instskip(SKIP_1) | instid1(VALU_DEP_2)
	v_and_b32_e32 v4, 0x7f800000, v0
	v_and_b32_e32 v54, 0x7fffff, v0
	v_cmpx_ne_u64_e32 0x7f800000, v[4:5]
	s_xor_b32 s11, exec_lo, s10
	s_cbranch_execz .LBB6_21486
; %bb.21469:                            ;   in Loop: Header=BB6_21110 Depth=2
	v_dual_mov_b32 v5, v55 :: v_dual_lshrrev_b32 v1, 24, v0
	v_and_b32_e32 v4, 0x7fffffff, v0
                                        ; implicit-def: $vgpr23
	s_mov_b32 s10, exec_lo
	s_delay_alu instid0(VALU_DEP_2) | instskip(NEXT) | instid1(VALU_DEP_2)
	v_and_b32_e32 v24, 0x80, v1
	v_cmpx_gt_u64_e32 0x47600001, v[4:5]
	s_xor_b32 s27, exec_lo, s10
	s_cbranch_execz .LBB6_21483
; %bb.21470:                            ;   in Loop: Header=BB6_21110 Depth=2
	v_mov_b32_e32 v23, 0
	s_mov_b32 s28, exec_lo
	v_cmpx_ne_u32_e32 0, v0
	s_cbranch_execz .LBB6_21482
; %bb.21471:                            ;   in Loop: Header=BB6_21110 Depth=2
	v_bfe_u32 v23, v0, 23, 8
	v_or_b32_e32 v4, 0x800000, v54
	s_mov_b32 s29, exec_lo
	s_delay_alu instid0(VALU_DEP_2) | instskip(SKIP_1) | instid1(VALU_DEP_2)
	v_dual_mov_b32 v5, v55 :: v_dual_sub_nc_u32 v0, 0x71, v23
	v_cmp_gt_u32_e32 vcc_lo, 0x72, v23
	v_cndmask_b32_e32 v0, 0, v0, vcc_lo
	v_cmp_eq_u32_e32 vcc_lo, 0, v23
	s_delay_alu instid0(VALU_DEP_2) | instskip(NEXT) | instid1(VALU_DEP_1)
	v_cndmask_b32_e64 v25, v0, 0x70, vcc_lo
	v_dual_cndmask_b32 v4, v4, v54, vcc_lo :: v_dual_add_nc_u32 v0, 21, v25
	v_add_nc_u32_e32 v26, 20, v25
	s_delay_alu instid0(VALU_DEP_2) | instskip(NEXT) | instid1(VALU_DEP_2)
	v_lshlrev_b64_e64 v[0:1], v0, -1
	v_lshlrev_b64_e64 v[26:27], v26, 1
	s_delay_alu instid0(VALU_DEP_2) | instskip(NEXT) | instid1(VALU_DEP_3)
	v_bfi_b32 v33, v1, 0, 0
	v_bfi_b32 v32, v0, 0, v4
	v_lshrrev_b64 v[0:1], v25, v[4:5]
	s_delay_alu instid0(VALU_DEP_1) | instskip(NEXT) | instid1(VALU_DEP_3)
	v_mov_b64_e32 v[4:5], v[0:1]
	v_cmpx_eq_u64_e64 v[32:33], v[26:27]
; %bb.21472:                            ;   in Loop: Header=BB6_21110 Depth=2
	v_bfe_u32 v4, v0, 21, 1
	v_mov_b32_e32 v5, v55
	s_delay_alu instid0(VALU_DEP_1) | instskip(NEXT) | instid1(VALU_DEP_1)
	v_add_nc_u64_e32 v[4:5], v[0:1], v[4:5]
	v_add_nc_u64_e32 v[4:5], -1, v[4:5]
; %bb.21473:                            ;   in Loop: Header=BB6_21110 Depth=2
	s_or_b32 exec_lo, exec_lo, s29
	v_add_nc_u32_e32 v1, 0xffffff81, v23
	s_delay_alu instid0(VALU_DEP_2) | instskip(SKIP_2) | instid1(VALU_DEP_3)
	v_and_b32_e32 v4, 0x1fffff, v4
	v_lshrrev_b32_e32 v5, 23, v0
	s_mov_b32 s10, exec_lo
	v_cndmask_b32_e64 v1, v1, 0xffffff82, vcc_lo
	s_delay_alu instid0(VALU_DEP_3) | instskip(NEXT) | instid1(VALU_DEP_2)
	v_add_nc_u32_e32 v54, v4, v0
                                        ; implicit-def: $vgpr4
	v_add3_u32 v5, v25, v1, v5
                                        ; implicit-def: $vgpr0_vgpr1
	s_delay_alu instid0(VALU_DEP_1) | instskip(NEXT) | instid1(VALU_DEP_1)
	v_add_nc_u32_e32 v23, 14, v5
	v_cmpx_ne_u32_e32 0, v23
	s_xor_b32 s10, exec_lo, s10
; %bb.21474:                            ;   in Loop: Header=BB6_21110 Depth=2
	v_cmp_lt_u64_e32 vcc_lo, 0xffffff, v[54:55]
	v_add_nc_u32_e32 v0, 15, v5
	s_delay_alu instid0(VALU_DEP_1) | instskip(SKIP_1) | instid1(VALU_DEP_1)
	v_cndmask_b32_e32 v4, v23, v0, vcc_lo
	v_cndmask_b32_e64 v0, 0, 1, vcc_lo
	v_lshrrev_b64 v[0:1], v0, v[54:55]
; %bb.21475:                            ;   in Loop: Header=BB6_21110 Depth=2
	s_and_not1_saveexec_b32 s10, s10
; %bb.21476:                            ;   in Loop: Header=BB6_21110 Depth=2
	v_mov_b64_e32 v[0:1], v[54:55]
	v_bfe_u32 v4, v54, 23, 1
; %bb.21477:                            ;   in Loop: Header=BB6_21110 Depth=2
	s_or_b32 exec_lo, exec_lo, s10
	s_delay_alu instid0(VALU_DEP_2) | instskip(NEXT) | instid1(VALU_DEP_2)
	v_lshrrev_b64 v[0:1], 21, v[0:1]
	v_cmp_gt_i32_e32 vcc_lo, 32, v4
	v_cmp_ne_u32_e64 s10, 0, v4
                                        ; implicit-def: $vgpr23
	s_delay_alu instid0(VALU_DEP_3) | instskip(NEXT) | instid1(VALU_DEP_1)
	v_dual_cndmask_b32 v1, 0, v1 :: v_dual_cndmask_b32 v0, 3, v0
	v_cmp_ne_u64_e32 vcc_lo, 0, v[0:1]
	s_or_b32 s10, s10, vcc_lo
	s_delay_alu instid0(SALU_CYCLE_1) | instskip(NEXT) | instid1(SALU_CYCLE_1)
	s_and_saveexec_b32 s29, s10
	s_xor_b32 s10, exec_lo, s29
; %bb.21478:                            ;   in Loop: Header=BB6_21110 Depth=2
	v_min_i32_e32 v1, 31, v4
	s_delay_alu instid0(VALU_DEP_1) | instskip(NEXT) | instid1(VALU_DEP_1)
	v_lshl_or_b32 v1, v1, 2, v24
                                        ; implicit-def: $vgpr24
	v_and_or_b32 v23, v0, 3, v1
; %bb.21479:                            ;   in Loop: Header=BB6_21110 Depth=2
	s_and_not1_saveexec_b32 s10, s10
; %bb.21480:                            ;   in Loop: Header=BB6_21110 Depth=2
	v_mov_b32_e32 v23, v24
; %bb.21481:                            ;   in Loop: Header=BB6_21110 Depth=2
	s_or_b32 exec_lo, exec_lo, s10
.LBB6_21482:                            ;   in Loop: Header=BB6_21110 Depth=2
	s_delay_alu instid0(SALU_CYCLE_1)
	s_or_b32 exec_lo, exec_lo, s28
                                        ; implicit-def: $vgpr24
.LBB6_21483:                            ;   in Loop: Header=BB6_21110 Depth=2
	s_and_not1_saveexec_b32 s10, s27
; %bb.21484:                            ;   in Loop: Header=BB6_21110 Depth=2
	v_or_b32_e32 v23, 0x7b, v24
; %bb.21485:                            ;   in Loop: Header=BB6_21110 Depth=2
	s_or_b32 exec_lo, exec_lo, s10
                                        ; implicit-def: $vgpr0
.LBB6_21486:                            ;   in Loop: Header=BB6_21110 Depth=2
	s_and_not1_saveexec_b32 s10, s11
	s_cbranch_execz .LBB6_21492
; %bb.21487:                            ;   in Loop: Header=BB6_21110 Depth=2
	s_mov_b32 s11, exec_lo
                                        ; implicit-def: $vgpr23
	v_cmpx_ne_u64_e32 0, v[54:55]
	s_xor_b32 s11, exec_lo, s11
; %bb.21488:                            ;   in Loop: Header=BB6_21110 Depth=2
	v_lshrrev_b32_e32 v0, 24, v0
	s_delay_alu instid0(VALU_DEP_1)
	v_or_b32_e32 v23, 0x7f, v0
                                        ; implicit-def: $vgpr0
; %bb.21489:                            ;   in Loop: Header=BB6_21110 Depth=2
	s_and_not1_saveexec_b32 s11, s11
; %bb.21490:                            ;   in Loop: Header=BB6_21110 Depth=2
	v_cmp_lt_i32_e32 vcc_lo, -1, v0
	v_cndmask_b32_e64 v23, -4, 0x7c, vcc_lo
; %bb.21491:                            ;   in Loop: Header=BB6_21110 Depth=2
	s_or_b32 exec_lo, exec_lo, s11
.LBB6_21492:                            ;   in Loop: Header=BB6_21110 Depth=2
	s_delay_alu instid0(SALU_CYCLE_1)
	s_or_b32 exec_lo, exec_lo, s10
	flat_load_i8 v0, v[10:11] offset:352 th:TH_LOAD_NT
	v_mov_b32_e32 v4, 0
	s_mov_b32 s10, exec_lo
	s_wait_loadcnt_dscnt 0x0
	v_cmpx_ne_u16_e32 0, v0
	s_cbranch_execz .LBB6_21502
; %bb.21493:                            ;   in Loop: Header=BB6_21110 Depth=2
	v_bfrev_b32_e32 v4, 1
	s_mov_b32 s11, exec_lo
	v_cmpx_ne_u16_e32 0xff80, v0
	s_cbranch_execz .LBB6_21501
; %bb.21494:                            ;   in Loop: Header=BB6_21110 Depth=2
	v_and_b32_e32 v4, 0x7c, v0
	v_and_b32_e32 v1, 3, v0
	s_delay_alu instid0(VALU_DEP_2) | instskip(SKIP_1) | instid1(SALU_CYCLE_1)
	v_cmp_ne_u32_e32 vcc_lo, 0x7c, v4
                                        ; implicit-def: $vgpr4
	s_and_saveexec_b32 s27, vcc_lo
	s_xor_b32 s27, exec_lo, s27
	s_cbranch_execz .LBB6_21498
; %bb.21495:                            ;   in Loop: Header=BB6_21110 Depth=2
	v_and_b32_e32 v4, 0xff, v0
	s_mov_b32 s28, exec_lo
	s_delay_alu instid0(VALU_DEP_1) | instskip(NEXT) | instid1(VALU_DEP_1)
	v_bfe_u32 v4, v4, 2, 5
	v_cmpx_eq_u32_e32 0, v4
	s_cbranch_execz .LBB6_21497
; %bb.21496:                            ;   in Loop: Header=BB6_21110 Depth=2
	v_clz_i32_u32_e32 v1, v1
	s_delay_alu instid0(VALU_DEP_1) | instskip(SKIP_1) | instid1(VALU_DEP_2)
	v_min_u32_e32 v4, 32, v1
	v_mov_b32_e32 v1, v55
	v_subrev_nc_u32_e32 v5, 29, v4
	v_sub_nc_u32_e32 v4, 30, v4
	s_delay_alu instid0(VALU_DEP_2) | instskip(NEXT) | instid1(VALU_DEP_1)
	v_lshlrev_b64_e32 v[24:25], v5, v[0:1]
	v_and_b32_e32 v1, 3, v24
.LBB6_21497:                            ;   in Loop: Header=BB6_21110 Depth=2
	s_or_b32 exec_lo, exec_lo, s28
	v_bfe_i32 v0, v0, 0, 16
	s_delay_alu instid0(VALU_DEP_1) | instskip(NEXT) | instid1(VALU_DEP_1)
	v_and_b32_e32 v0, 0x80000000, v0
	v_lshl_add_u32 v0, v4, 23, v0
	s_delay_alu instid0(VALU_DEP_1) | instskip(NEXT) | instid1(VALU_DEP_1)
	v_lshl_or_b32 v0, v1, 21, v0
                                        ; implicit-def: $vgpr1
	v_add_nc_u32_e32 v4, 0x38000000, v0
                                        ; implicit-def: $vgpr0
.LBB6_21498:                            ;   in Loop: Header=BB6_21110 Depth=2
	s_and_not1_saveexec_b32 s27, s27
; %bb.21499:                            ;   in Loop: Header=BB6_21110 Depth=2
	v_cmp_lt_i16_e32 vcc_lo, -1, v0
	v_cndmask_b32_e32 v0, 0xff800000, v29, vcc_lo
	v_cmp_eq_u32_e32 vcc_lo, 0, v1
	s_delay_alu instid0(VALU_DEP_2)
	v_cndmask_b32_e32 v4, 0x7f800001, v0, vcc_lo
; %bb.21500:                            ;   in Loop: Header=BB6_21110 Depth=2
	s_or_b32 exec_lo, exec_lo, s27
.LBB6_21501:                            ;   in Loop: Header=BB6_21110 Depth=2
	s_delay_alu instid0(SALU_CYCLE_1)
	s_or_b32 exec_lo, exec_lo, s11
.LBB6_21502:                            ;   in Loop: Header=BB6_21110 Depth=2
	s_delay_alu instid0(SALU_CYCLE_1) | instskip(NEXT) | instid1(VALU_DEP_1)
	s_or_b32 exec_lo, exec_lo, s10
	v_dual_mul_f32 v0, s26, v4 :: v_dual_mov_b32 v5, v55
                                        ; implicit-def: $vgpr24
	s_mov_b32 s10, exec_lo
	s_delay_alu instid0(VALU_DEP_1) | instskip(SKIP_1) | instid1(VALU_DEP_2)
	v_and_b32_e32 v4, 0x7f800000, v0
	v_and_b32_e32 v54, 0x7fffff, v0
	v_cmpx_ne_u64_e32 0x7f800000, v[4:5]
	s_xor_b32 s11, exec_lo, s10
	s_cbranch_execz .LBB6_21520
; %bb.21503:                            ;   in Loop: Header=BB6_21110 Depth=2
	v_dual_mov_b32 v5, v55 :: v_dual_lshrrev_b32 v1, 24, v0
	v_and_b32_e32 v4, 0x7fffffff, v0
                                        ; implicit-def: $vgpr24
	s_mov_b32 s10, exec_lo
	s_delay_alu instid0(VALU_DEP_2) | instskip(NEXT) | instid1(VALU_DEP_2)
	v_and_b32_e32 v25, 0x80, v1
	v_cmpx_gt_u64_e32 0x47600001, v[4:5]
	s_xor_b32 s27, exec_lo, s10
	s_cbranch_execz .LBB6_21517
; %bb.21504:                            ;   in Loop: Header=BB6_21110 Depth=2
	v_mov_b32_e32 v24, 0
	s_mov_b32 s28, exec_lo
	v_cmpx_ne_u32_e32 0, v0
	s_cbranch_execz .LBB6_21516
; %bb.21505:                            ;   in Loop: Header=BB6_21110 Depth=2
	v_bfe_u32 v24, v0, 23, 8
	v_or_b32_e32 v4, 0x800000, v54
	s_mov_b32 s29, exec_lo
	s_delay_alu instid0(VALU_DEP_2) | instskip(SKIP_1) | instid1(VALU_DEP_2)
	v_dual_mov_b32 v5, v55 :: v_dual_sub_nc_u32 v0, 0x71, v24
	v_cmp_gt_u32_e32 vcc_lo, 0x72, v24
	v_cndmask_b32_e32 v0, 0, v0, vcc_lo
	v_cmp_eq_u32_e32 vcc_lo, 0, v24
	s_delay_alu instid0(VALU_DEP_2) | instskip(SKIP_1) | instid1(VALU_DEP_2)
	v_cndmask_b32_e64 v26, v0, 0x70, vcc_lo
	v_cndmask_b32_e32 v4, v4, v54, vcc_lo
	v_dual_add_nc_u32 v0, 21, v26 :: v_dual_add_nc_u32 v27, 20, v26
	s_delay_alu instid0(VALU_DEP_1) | instskip(NEXT) | instid1(VALU_DEP_2)
	v_lshlrev_b64_e64 v[0:1], v0, -1
	v_lshlrev_b64_e64 v[32:33], v27, 1
	s_delay_alu instid0(VALU_DEP_2) | instskip(NEXT) | instid1(VALU_DEP_3)
	v_bfi_b32 v35, v1, 0, 0
	v_bfi_b32 v34, v0, 0, v4
	v_lshrrev_b64 v[0:1], v26, v[4:5]
	s_delay_alu instid0(VALU_DEP_1) | instskip(NEXT) | instid1(VALU_DEP_3)
	v_mov_b64_e32 v[4:5], v[0:1]
	v_cmpx_eq_u64_e64 v[34:35], v[32:33]
; %bb.21506:                            ;   in Loop: Header=BB6_21110 Depth=2
	v_bfe_u32 v4, v0, 21, 1
	v_mov_b32_e32 v5, v55
	s_delay_alu instid0(VALU_DEP_1) | instskip(NEXT) | instid1(VALU_DEP_1)
	v_add_nc_u64_e32 v[4:5], v[0:1], v[4:5]
	v_add_nc_u64_e32 v[4:5], -1, v[4:5]
; %bb.21507:                            ;   in Loop: Header=BB6_21110 Depth=2
	s_or_b32 exec_lo, exec_lo, s29
	v_add_nc_u32_e32 v1, 0xffffff81, v24
	s_delay_alu instid0(VALU_DEP_2) | instskip(SKIP_2) | instid1(VALU_DEP_3)
	v_and_b32_e32 v4, 0x1fffff, v4
	v_lshrrev_b32_e32 v5, 23, v0
	s_mov_b32 s10, exec_lo
	v_cndmask_b32_e64 v1, v1, 0xffffff82, vcc_lo
	s_delay_alu instid0(VALU_DEP_3) | instskip(NEXT) | instid1(VALU_DEP_2)
	v_add_nc_u32_e32 v54, v4, v0
                                        ; implicit-def: $vgpr4
	v_add3_u32 v5, v26, v1, v5
                                        ; implicit-def: $vgpr0_vgpr1
	s_delay_alu instid0(VALU_DEP_1) | instskip(NEXT) | instid1(VALU_DEP_1)
	v_add_nc_u32_e32 v24, 14, v5
	v_cmpx_ne_u32_e32 0, v24
	s_xor_b32 s10, exec_lo, s10
; %bb.21508:                            ;   in Loop: Header=BB6_21110 Depth=2
	v_cmp_lt_u64_e32 vcc_lo, 0xffffff, v[54:55]
	v_add_nc_u32_e32 v0, 15, v5
	s_delay_alu instid0(VALU_DEP_1) | instskip(SKIP_1) | instid1(VALU_DEP_1)
	v_cndmask_b32_e32 v4, v24, v0, vcc_lo
	v_cndmask_b32_e64 v0, 0, 1, vcc_lo
	v_lshrrev_b64 v[0:1], v0, v[54:55]
; %bb.21509:                            ;   in Loop: Header=BB6_21110 Depth=2
	s_and_not1_saveexec_b32 s10, s10
; %bb.21510:                            ;   in Loop: Header=BB6_21110 Depth=2
	v_mov_b64_e32 v[0:1], v[54:55]
	v_bfe_u32 v4, v54, 23, 1
; %bb.21511:                            ;   in Loop: Header=BB6_21110 Depth=2
	s_or_b32 exec_lo, exec_lo, s10
	s_delay_alu instid0(VALU_DEP_2) | instskip(NEXT) | instid1(VALU_DEP_2)
	v_lshrrev_b64 v[0:1], 21, v[0:1]
	v_cmp_gt_i32_e32 vcc_lo, 32, v4
	v_cmp_ne_u32_e64 s10, 0, v4
                                        ; implicit-def: $vgpr24
	s_delay_alu instid0(VALU_DEP_3) | instskip(NEXT) | instid1(VALU_DEP_1)
	v_dual_cndmask_b32 v1, 0, v1 :: v_dual_cndmask_b32 v0, 3, v0
	v_cmp_ne_u64_e32 vcc_lo, 0, v[0:1]
	s_or_b32 s10, s10, vcc_lo
	s_delay_alu instid0(SALU_CYCLE_1) | instskip(NEXT) | instid1(SALU_CYCLE_1)
	s_and_saveexec_b32 s29, s10
	s_xor_b32 s10, exec_lo, s29
; %bb.21512:                            ;   in Loop: Header=BB6_21110 Depth=2
	v_min_i32_e32 v1, 31, v4
	s_delay_alu instid0(VALU_DEP_1) | instskip(NEXT) | instid1(VALU_DEP_1)
	v_lshl_or_b32 v1, v1, 2, v25
                                        ; implicit-def: $vgpr25
	v_and_or_b32 v24, v0, 3, v1
; %bb.21513:                            ;   in Loop: Header=BB6_21110 Depth=2
	s_and_not1_saveexec_b32 s10, s10
; %bb.21514:                            ;   in Loop: Header=BB6_21110 Depth=2
	v_mov_b32_e32 v24, v25
; %bb.21515:                            ;   in Loop: Header=BB6_21110 Depth=2
	s_or_b32 exec_lo, exec_lo, s10
.LBB6_21516:                            ;   in Loop: Header=BB6_21110 Depth=2
	s_delay_alu instid0(SALU_CYCLE_1)
	s_or_b32 exec_lo, exec_lo, s28
                                        ; implicit-def: $vgpr25
.LBB6_21517:                            ;   in Loop: Header=BB6_21110 Depth=2
	s_and_not1_saveexec_b32 s10, s27
; %bb.21518:                            ;   in Loop: Header=BB6_21110 Depth=2
	v_or_b32_e32 v24, 0x7b, v25
; %bb.21519:                            ;   in Loop: Header=BB6_21110 Depth=2
	s_or_b32 exec_lo, exec_lo, s10
                                        ; implicit-def: $vgpr0
.LBB6_21520:                            ;   in Loop: Header=BB6_21110 Depth=2
	s_and_not1_saveexec_b32 s10, s11
	s_cbranch_execz .LBB6_21526
; %bb.21521:                            ;   in Loop: Header=BB6_21110 Depth=2
	s_mov_b32 s11, exec_lo
                                        ; implicit-def: $vgpr24
	v_cmpx_ne_u64_e32 0, v[54:55]
	s_xor_b32 s11, exec_lo, s11
; %bb.21522:                            ;   in Loop: Header=BB6_21110 Depth=2
	v_lshrrev_b32_e32 v0, 24, v0
	s_delay_alu instid0(VALU_DEP_1)
	v_or_b32_e32 v24, 0x7f, v0
                                        ; implicit-def: $vgpr0
; %bb.21523:                            ;   in Loop: Header=BB6_21110 Depth=2
	s_and_not1_saveexec_b32 s11, s11
; %bb.21524:                            ;   in Loop: Header=BB6_21110 Depth=2
	v_cmp_lt_i32_e32 vcc_lo, -1, v0
	v_cndmask_b32_e64 v24, -4, 0x7c, vcc_lo
; %bb.21525:                            ;   in Loop: Header=BB6_21110 Depth=2
	s_or_b32 exec_lo, exec_lo, s11
.LBB6_21526:                            ;   in Loop: Header=BB6_21110 Depth=2
	s_delay_alu instid0(SALU_CYCLE_1)
	s_or_b32 exec_lo, exec_lo, s10
	flat_load_i8 v0, v[10:11] offset:384 th:TH_LOAD_NT
	v_mov_b32_e32 v4, 0
	s_mov_b32 s10, exec_lo
	s_wait_loadcnt_dscnt 0x0
	v_cmpx_ne_u16_e32 0, v0
	s_cbranch_execz .LBB6_21536
; %bb.21527:                            ;   in Loop: Header=BB6_21110 Depth=2
	v_bfrev_b32_e32 v4, 1
	s_mov_b32 s11, exec_lo
	v_cmpx_ne_u16_e32 0xff80, v0
	s_cbranch_execz .LBB6_21535
; %bb.21528:                            ;   in Loop: Header=BB6_21110 Depth=2
	v_and_b32_e32 v4, 0x7c, v0
	v_and_b32_e32 v1, 3, v0
	s_delay_alu instid0(VALU_DEP_2) | instskip(SKIP_1) | instid1(SALU_CYCLE_1)
	v_cmp_ne_u32_e32 vcc_lo, 0x7c, v4
                                        ; implicit-def: $vgpr4
	s_and_saveexec_b32 s27, vcc_lo
	s_xor_b32 s27, exec_lo, s27
	s_cbranch_execz .LBB6_21532
; %bb.21529:                            ;   in Loop: Header=BB6_21110 Depth=2
	v_and_b32_e32 v4, 0xff, v0
	s_mov_b32 s28, exec_lo
	s_delay_alu instid0(VALU_DEP_1) | instskip(NEXT) | instid1(VALU_DEP_1)
	v_bfe_u32 v4, v4, 2, 5
	v_cmpx_eq_u32_e32 0, v4
	s_cbranch_execz .LBB6_21531
; %bb.21530:                            ;   in Loop: Header=BB6_21110 Depth=2
	v_clz_i32_u32_e32 v1, v1
	s_delay_alu instid0(VALU_DEP_1) | instskip(SKIP_1) | instid1(VALU_DEP_2)
	v_min_u32_e32 v4, 32, v1
	v_mov_b32_e32 v1, v55
	v_subrev_nc_u32_e32 v5, 29, v4
	v_sub_nc_u32_e32 v4, 30, v4
	s_delay_alu instid0(VALU_DEP_2) | instskip(NEXT) | instid1(VALU_DEP_1)
	v_lshlrev_b64_e32 v[26:27], v5, v[0:1]
	v_and_b32_e32 v1, 3, v26
.LBB6_21531:                            ;   in Loop: Header=BB6_21110 Depth=2
	s_or_b32 exec_lo, exec_lo, s28
	v_bfe_i32 v0, v0, 0, 16
	s_delay_alu instid0(VALU_DEP_1) | instskip(NEXT) | instid1(VALU_DEP_1)
	v_and_b32_e32 v0, 0x80000000, v0
	v_lshl_add_u32 v0, v4, 23, v0
	s_delay_alu instid0(VALU_DEP_1) | instskip(NEXT) | instid1(VALU_DEP_1)
	v_lshl_or_b32 v0, v1, 21, v0
                                        ; implicit-def: $vgpr1
	v_add_nc_u32_e32 v4, 0x38000000, v0
                                        ; implicit-def: $vgpr0
.LBB6_21532:                            ;   in Loop: Header=BB6_21110 Depth=2
	s_and_not1_saveexec_b32 s27, s27
; %bb.21533:                            ;   in Loop: Header=BB6_21110 Depth=2
	v_cmp_lt_i16_e32 vcc_lo, -1, v0
	v_cndmask_b32_e32 v0, 0xff800000, v29, vcc_lo
	v_cmp_eq_u32_e32 vcc_lo, 0, v1
	s_delay_alu instid0(VALU_DEP_2)
	v_cndmask_b32_e32 v4, 0x7f800001, v0, vcc_lo
; %bb.21534:                            ;   in Loop: Header=BB6_21110 Depth=2
	s_or_b32 exec_lo, exec_lo, s27
.LBB6_21535:                            ;   in Loop: Header=BB6_21110 Depth=2
	s_delay_alu instid0(SALU_CYCLE_1)
	s_or_b32 exec_lo, exec_lo, s11
.LBB6_21536:                            ;   in Loop: Header=BB6_21110 Depth=2
	s_delay_alu instid0(SALU_CYCLE_1) | instskip(NEXT) | instid1(VALU_DEP_1)
	s_or_b32 exec_lo, exec_lo, s10
	v_dual_mul_f32 v0, s26, v4 :: v_dual_mov_b32 v5, v55
                                        ; implicit-def: $vgpr25
	s_mov_b32 s10, exec_lo
	s_delay_alu instid0(VALU_DEP_1) | instskip(SKIP_1) | instid1(VALU_DEP_2)
	v_and_b32_e32 v4, 0x7f800000, v0
	v_and_b32_e32 v54, 0x7fffff, v0
	v_cmpx_ne_u64_e32 0x7f800000, v[4:5]
	s_xor_b32 s11, exec_lo, s10
	s_cbranch_execz .LBB6_21554
; %bb.21537:                            ;   in Loop: Header=BB6_21110 Depth=2
	v_dual_mov_b32 v5, v55 :: v_dual_lshrrev_b32 v1, 24, v0
	v_and_b32_e32 v4, 0x7fffffff, v0
                                        ; implicit-def: $vgpr25
	s_mov_b32 s10, exec_lo
	s_delay_alu instid0(VALU_DEP_2) | instskip(NEXT) | instid1(VALU_DEP_2)
	v_and_b32_e32 v26, 0x80, v1
	v_cmpx_gt_u64_e32 0x47600001, v[4:5]
	s_xor_b32 s27, exec_lo, s10
	s_cbranch_execz .LBB6_21551
; %bb.21538:                            ;   in Loop: Header=BB6_21110 Depth=2
	v_mov_b32_e32 v25, 0
	s_mov_b32 s28, exec_lo
	v_cmpx_ne_u32_e32 0, v0
	s_cbranch_execz .LBB6_21550
; %bb.21539:                            ;   in Loop: Header=BB6_21110 Depth=2
	v_bfe_u32 v25, v0, 23, 8
	v_or_b32_e32 v4, 0x800000, v54
	s_mov_b32 s29, exec_lo
	s_delay_alu instid0(VALU_DEP_2) | instskip(SKIP_1) | instid1(VALU_DEP_2)
	v_dual_mov_b32 v5, v55 :: v_dual_sub_nc_u32 v0, 0x71, v25
	v_cmp_gt_u32_e32 vcc_lo, 0x72, v25
	v_cndmask_b32_e32 v0, 0, v0, vcc_lo
	v_cmp_eq_u32_e32 vcc_lo, 0, v25
	s_delay_alu instid0(VALU_DEP_2) | instskip(NEXT) | instid1(VALU_DEP_1)
	v_cndmask_b32_e64 v27, v0, 0x70, vcc_lo
	v_dual_cndmask_b32 v4, v4, v54, vcc_lo :: v_dual_add_nc_u32 v0, 21, v27
	v_add_nc_u32_e32 v28, 20, v27
	s_delay_alu instid0(VALU_DEP_2) | instskip(NEXT) | instid1(VALU_DEP_2)
	v_lshlrev_b64_e64 v[0:1], v0, -1
	v_lshlrev_b64_e64 v[32:33], v28, 1
	s_delay_alu instid0(VALU_DEP_2) | instskip(NEXT) | instid1(VALU_DEP_3)
	v_bfi_b32 v35, v1, 0, 0
	v_bfi_b32 v34, v0, 0, v4
	v_lshrrev_b64 v[0:1], v27, v[4:5]
	s_delay_alu instid0(VALU_DEP_1) | instskip(NEXT) | instid1(VALU_DEP_3)
	v_mov_b64_e32 v[4:5], v[0:1]
	v_cmpx_eq_u64_e64 v[34:35], v[32:33]
; %bb.21540:                            ;   in Loop: Header=BB6_21110 Depth=2
	v_bfe_u32 v4, v0, 21, 1
	v_mov_b32_e32 v5, v55
	s_delay_alu instid0(VALU_DEP_1) | instskip(NEXT) | instid1(VALU_DEP_1)
	v_add_nc_u64_e32 v[4:5], v[0:1], v[4:5]
	v_add_nc_u64_e32 v[4:5], -1, v[4:5]
; %bb.21541:                            ;   in Loop: Header=BB6_21110 Depth=2
	s_or_b32 exec_lo, exec_lo, s29
	v_add_nc_u32_e32 v1, 0xffffff81, v25
	s_delay_alu instid0(VALU_DEP_2) | instskip(SKIP_2) | instid1(VALU_DEP_3)
	v_and_b32_e32 v4, 0x1fffff, v4
	v_lshrrev_b32_e32 v5, 23, v0
	s_mov_b32 s10, exec_lo
	v_cndmask_b32_e64 v1, v1, 0xffffff82, vcc_lo
	s_delay_alu instid0(VALU_DEP_3) | instskip(NEXT) | instid1(VALU_DEP_2)
	v_add_nc_u32_e32 v54, v4, v0
                                        ; implicit-def: $vgpr4
	v_add3_u32 v5, v27, v1, v5
                                        ; implicit-def: $vgpr0_vgpr1
	s_delay_alu instid0(VALU_DEP_1) | instskip(NEXT) | instid1(VALU_DEP_1)
	v_add_nc_u32_e32 v25, 14, v5
	v_cmpx_ne_u32_e32 0, v25
	s_xor_b32 s10, exec_lo, s10
; %bb.21542:                            ;   in Loop: Header=BB6_21110 Depth=2
	v_cmp_lt_u64_e32 vcc_lo, 0xffffff, v[54:55]
	v_add_nc_u32_e32 v0, 15, v5
	s_delay_alu instid0(VALU_DEP_1) | instskip(SKIP_1) | instid1(VALU_DEP_1)
	v_cndmask_b32_e32 v4, v25, v0, vcc_lo
	v_cndmask_b32_e64 v0, 0, 1, vcc_lo
	v_lshrrev_b64 v[0:1], v0, v[54:55]
; %bb.21543:                            ;   in Loop: Header=BB6_21110 Depth=2
	s_and_not1_saveexec_b32 s10, s10
; %bb.21544:                            ;   in Loop: Header=BB6_21110 Depth=2
	v_mov_b64_e32 v[0:1], v[54:55]
	v_bfe_u32 v4, v54, 23, 1
; %bb.21545:                            ;   in Loop: Header=BB6_21110 Depth=2
	s_or_b32 exec_lo, exec_lo, s10
	s_delay_alu instid0(VALU_DEP_2) | instskip(NEXT) | instid1(VALU_DEP_2)
	v_lshrrev_b64 v[0:1], 21, v[0:1]
	v_cmp_gt_i32_e32 vcc_lo, 32, v4
	v_cmp_ne_u32_e64 s10, 0, v4
                                        ; implicit-def: $vgpr25
	s_delay_alu instid0(VALU_DEP_3) | instskip(NEXT) | instid1(VALU_DEP_1)
	v_dual_cndmask_b32 v1, 0, v1 :: v_dual_cndmask_b32 v0, 3, v0
	v_cmp_ne_u64_e32 vcc_lo, 0, v[0:1]
	s_or_b32 s10, s10, vcc_lo
	s_delay_alu instid0(SALU_CYCLE_1) | instskip(NEXT) | instid1(SALU_CYCLE_1)
	s_and_saveexec_b32 s29, s10
	s_xor_b32 s10, exec_lo, s29
; %bb.21546:                            ;   in Loop: Header=BB6_21110 Depth=2
	v_min_i32_e32 v1, 31, v4
	s_delay_alu instid0(VALU_DEP_1) | instskip(NEXT) | instid1(VALU_DEP_1)
	v_lshl_or_b32 v1, v1, 2, v26
                                        ; implicit-def: $vgpr26
	v_and_or_b32 v25, v0, 3, v1
; %bb.21547:                            ;   in Loop: Header=BB6_21110 Depth=2
	s_and_not1_saveexec_b32 s10, s10
; %bb.21548:                            ;   in Loop: Header=BB6_21110 Depth=2
	v_mov_b32_e32 v25, v26
; %bb.21549:                            ;   in Loop: Header=BB6_21110 Depth=2
	s_or_b32 exec_lo, exec_lo, s10
.LBB6_21550:                            ;   in Loop: Header=BB6_21110 Depth=2
	s_delay_alu instid0(SALU_CYCLE_1)
	s_or_b32 exec_lo, exec_lo, s28
                                        ; implicit-def: $vgpr26
.LBB6_21551:                            ;   in Loop: Header=BB6_21110 Depth=2
	s_and_not1_saveexec_b32 s10, s27
; %bb.21552:                            ;   in Loop: Header=BB6_21110 Depth=2
	v_or_b32_e32 v25, 0x7b, v26
; %bb.21553:                            ;   in Loop: Header=BB6_21110 Depth=2
	s_or_b32 exec_lo, exec_lo, s10
                                        ; implicit-def: $vgpr0
.LBB6_21554:                            ;   in Loop: Header=BB6_21110 Depth=2
	s_and_not1_saveexec_b32 s10, s11
	s_cbranch_execz .LBB6_21560
; %bb.21555:                            ;   in Loop: Header=BB6_21110 Depth=2
	s_mov_b32 s11, exec_lo
                                        ; implicit-def: $vgpr25
	v_cmpx_ne_u64_e32 0, v[54:55]
	s_xor_b32 s11, exec_lo, s11
; %bb.21556:                            ;   in Loop: Header=BB6_21110 Depth=2
	v_lshrrev_b32_e32 v0, 24, v0
	s_delay_alu instid0(VALU_DEP_1)
	v_or_b32_e32 v25, 0x7f, v0
                                        ; implicit-def: $vgpr0
; %bb.21557:                            ;   in Loop: Header=BB6_21110 Depth=2
	s_and_not1_saveexec_b32 s11, s11
; %bb.21558:                            ;   in Loop: Header=BB6_21110 Depth=2
	v_cmp_lt_i32_e32 vcc_lo, -1, v0
	v_cndmask_b32_e64 v25, -4, 0x7c, vcc_lo
; %bb.21559:                            ;   in Loop: Header=BB6_21110 Depth=2
	s_or_b32 exec_lo, exec_lo, s11
.LBB6_21560:                            ;   in Loop: Header=BB6_21110 Depth=2
	s_delay_alu instid0(SALU_CYCLE_1)
	s_or_b32 exec_lo, exec_lo, s10
	flat_load_i8 v0, v[10:11] offset:416 th:TH_LOAD_NT
	v_mov_b32_e32 v4, 0
	s_mov_b32 s10, exec_lo
	s_wait_loadcnt_dscnt 0x0
	v_cmpx_ne_u16_e32 0, v0
	s_cbranch_execz .LBB6_21570
; %bb.21561:                            ;   in Loop: Header=BB6_21110 Depth=2
	v_bfrev_b32_e32 v4, 1
	s_mov_b32 s11, exec_lo
	v_cmpx_ne_u16_e32 0xff80, v0
	s_cbranch_execz .LBB6_21569
; %bb.21562:                            ;   in Loop: Header=BB6_21110 Depth=2
	v_and_b32_e32 v4, 0x7c, v0
	v_and_b32_e32 v1, 3, v0
	s_delay_alu instid0(VALU_DEP_2) | instskip(SKIP_1) | instid1(SALU_CYCLE_1)
	v_cmp_ne_u32_e32 vcc_lo, 0x7c, v4
                                        ; implicit-def: $vgpr4
	s_and_saveexec_b32 s27, vcc_lo
	s_xor_b32 s27, exec_lo, s27
	s_cbranch_execz .LBB6_21566
; %bb.21563:                            ;   in Loop: Header=BB6_21110 Depth=2
	v_and_b32_e32 v4, 0xff, v0
	s_mov_b32 s28, exec_lo
	s_delay_alu instid0(VALU_DEP_1) | instskip(NEXT) | instid1(VALU_DEP_1)
	v_bfe_u32 v4, v4, 2, 5
	v_cmpx_eq_u32_e32 0, v4
	s_cbranch_execz .LBB6_21565
; %bb.21564:                            ;   in Loop: Header=BB6_21110 Depth=2
	v_clz_i32_u32_e32 v1, v1
	s_delay_alu instid0(VALU_DEP_1) | instskip(SKIP_1) | instid1(VALU_DEP_2)
	v_min_u32_e32 v4, 32, v1
	v_mov_b32_e32 v1, v55
	v_subrev_nc_u32_e32 v5, 29, v4
	v_sub_nc_u32_e32 v4, 30, v4
	s_delay_alu instid0(VALU_DEP_2) | instskip(NEXT) | instid1(VALU_DEP_1)
	v_lshlrev_b64_e32 v[26:27], v5, v[0:1]
	v_and_b32_e32 v1, 3, v26
.LBB6_21565:                            ;   in Loop: Header=BB6_21110 Depth=2
	s_or_b32 exec_lo, exec_lo, s28
	v_bfe_i32 v0, v0, 0, 16
	s_delay_alu instid0(VALU_DEP_1) | instskip(NEXT) | instid1(VALU_DEP_1)
	v_and_b32_e32 v0, 0x80000000, v0
	v_lshl_add_u32 v0, v4, 23, v0
	s_delay_alu instid0(VALU_DEP_1) | instskip(NEXT) | instid1(VALU_DEP_1)
	v_lshl_or_b32 v0, v1, 21, v0
                                        ; implicit-def: $vgpr1
	v_add_nc_u32_e32 v4, 0x38000000, v0
                                        ; implicit-def: $vgpr0
.LBB6_21566:                            ;   in Loop: Header=BB6_21110 Depth=2
	s_and_not1_saveexec_b32 s27, s27
; %bb.21567:                            ;   in Loop: Header=BB6_21110 Depth=2
	v_cmp_lt_i16_e32 vcc_lo, -1, v0
	v_cndmask_b32_e32 v0, 0xff800000, v29, vcc_lo
	v_cmp_eq_u32_e32 vcc_lo, 0, v1
	s_delay_alu instid0(VALU_DEP_2)
	v_cndmask_b32_e32 v4, 0x7f800001, v0, vcc_lo
; %bb.21568:                            ;   in Loop: Header=BB6_21110 Depth=2
	s_or_b32 exec_lo, exec_lo, s27
.LBB6_21569:                            ;   in Loop: Header=BB6_21110 Depth=2
	s_delay_alu instid0(SALU_CYCLE_1)
	s_or_b32 exec_lo, exec_lo, s11
.LBB6_21570:                            ;   in Loop: Header=BB6_21110 Depth=2
	s_delay_alu instid0(SALU_CYCLE_1) | instskip(NEXT) | instid1(VALU_DEP_1)
	s_or_b32 exec_lo, exec_lo, s10
	v_dual_mul_f32 v0, s26, v4 :: v_dual_mov_b32 v5, v55
                                        ; implicit-def: $vgpr26
	s_mov_b32 s10, exec_lo
	s_delay_alu instid0(VALU_DEP_1) | instskip(SKIP_1) | instid1(VALU_DEP_2)
	v_and_b32_e32 v4, 0x7f800000, v0
	v_and_b32_e32 v54, 0x7fffff, v0
	v_cmpx_ne_u64_e32 0x7f800000, v[4:5]
	s_xor_b32 s11, exec_lo, s10
	s_cbranch_execz .LBB6_21588
; %bb.21571:                            ;   in Loop: Header=BB6_21110 Depth=2
	v_dual_mov_b32 v5, v55 :: v_dual_lshrrev_b32 v1, 24, v0
	v_and_b32_e32 v4, 0x7fffffff, v0
                                        ; implicit-def: $vgpr26
	s_mov_b32 s10, exec_lo
	s_delay_alu instid0(VALU_DEP_2) | instskip(NEXT) | instid1(VALU_DEP_2)
	v_and_b32_e32 v27, 0x80, v1
	v_cmpx_gt_u64_e32 0x47600001, v[4:5]
	s_xor_b32 s27, exec_lo, s10
	s_cbranch_execz .LBB6_21585
; %bb.21572:                            ;   in Loop: Header=BB6_21110 Depth=2
	v_mov_b32_e32 v26, 0
	s_mov_b32 s28, exec_lo
	v_cmpx_ne_u32_e32 0, v0
	s_cbranch_execz .LBB6_21584
; %bb.21573:                            ;   in Loop: Header=BB6_21110 Depth=2
	v_bfe_u32 v26, v0, 23, 8
	v_or_b32_e32 v4, 0x800000, v54
	s_mov_b32 s29, exec_lo
	s_delay_alu instid0(VALU_DEP_2) | instskip(SKIP_1) | instid1(VALU_DEP_2)
	v_dual_mov_b32 v5, v55 :: v_dual_sub_nc_u32 v0, 0x71, v26
	v_cmp_gt_u32_e32 vcc_lo, 0x72, v26
	v_cndmask_b32_e32 v0, 0, v0, vcc_lo
	v_cmp_eq_u32_e32 vcc_lo, 0, v26
	v_cndmask_b32_e32 v4, v4, v54, vcc_lo
	s_delay_alu instid0(VALU_DEP_3) | instskip(NEXT) | instid1(VALU_DEP_1)
	v_cndmask_b32_e64 v28, v0, 0x70, vcc_lo
	v_dual_add_nc_u32 v0, 21, v28 :: v_dual_add_nc_u32 v31, 20, v28
	s_delay_alu instid0(VALU_DEP_1) | instskip(NEXT) | instid1(VALU_DEP_2)
	v_lshlrev_b64_e64 v[0:1], v0, -1
	v_lshlrev_b64_e64 v[32:33], v31, 1
	s_delay_alu instid0(VALU_DEP_2) | instskip(NEXT) | instid1(VALU_DEP_3)
	v_bfi_b32 v35, v1, 0, 0
	v_bfi_b32 v34, v0, 0, v4
	v_lshrrev_b64 v[0:1], v28, v[4:5]
	s_delay_alu instid0(VALU_DEP_1) | instskip(NEXT) | instid1(VALU_DEP_3)
	v_mov_b64_e32 v[4:5], v[0:1]
	v_cmpx_eq_u64_e64 v[34:35], v[32:33]
; %bb.21574:                            ;   in Loop: Header=BB6_21110 Depth=2
	v_bfe_u32 v4, v0, 21, 1
	v_mov_b32_e32 v5, v55
	s_delay_alu instid0(VALU_DEP_1) | instskip(NEXT) | instid1(VALU_DEP_1)
	v_add_nc_u64_e32 v[4:5], v[0:1], v[4:5]
	v_add_nc_u64_e32 v[4:5], -1, v[4:5]
; %bb.21575:                            ;   in Loop: Header=BB6_21110 Depth=2
	s_or_b32 exec_lo, exec_lo, s29
	v_add_nc_u32_e32 v1, 0xffffff81, v26
	s_delay_alu instid0(VALU_DEP_2) | instskip(SKIP_2) | instid1(VALU_DEP_3)
	v_and_b32_e32 v4, 0x1fffff, v4
	v_lshrrev_b32_e32 v5, 23, v0
	s_mov_b32 s10, exec_lo
	v_cndmask_b32_e64 v1, v1, 0xffffff82, vcc_lo
	s_delay_alu instid0(VALU_DEP_3) | instskip(NEXT) | instid1(VALU_DEP_2)
	v_add_nc_u32_e32 v54, v4, v0
                                        ; implicit-def: $vgpr4
	v_add3_u32 v5, v28, v1, v5
                                        ; implicit-def: $vgpr0_vgpr1
	s_delay_alu instid0(VALU_DEP_1) | instskip(NEXT) | instid1(VALU_DEP_1)
	v_add_nc_u32_e32 v26, 14, v5
	v_cmpx_ne_u32_e32 0, v26
	s_xor_b32 s10, exec_lo, s10
; %bb.21576:                            ;   in Loop: Header=BB6_21110 Depth=2
	v_cmp_lt_u64_e32 vcc_lo, 0xffffff, v[54:55]
	v_add_nc_u32_e32 v0, 15, v5
	s_delay_alu instid0(VALU_DEP_1) | instskip(SKIP_1) | instid1(VALU_DEP_1)
	v_cndmask_b32_e32 v4, v26, v0, vcc_lo
	v_cndmask_b32_e64 v0, 0, 1, vcc_lo
	v_lshrrev_b64 v[0:1], v0, v[54:55]
; %bb.21577:                            ;   in Loop: Header=BB6_21110 Depth=2
	s_and_not1_saveexec_b32 s10, s10
; %bb.21578:                            ;   in Loop: Header=BB6_21110 Depth=2
	v_mov_b64_e32 v[0:1], v[54:55]
	v_bfe_u32 v4, v54, 23, 1
; %bb.21579:                            ;   in Loop: Header=BB6_21110 Depth=2
	s_or_b32 exec_lo, exec_lo, s10
	s_delay_alu instid0(VALU_DEP_2) | instskip(NEXT) | instid1(VALU_DEP_2)
	v_lshrrev_b64 v[0:1], 21, v[0:1]
	v_cmp_gt_i32_e32 vcc_lo, 32, v4
	v_cmp_ne_u32_e64 s10, 0, v4
                                        ; implicit-def: $vgpr26
	s_delay_alu instid0(VALU_DEP_3) | instskip(NEXT) | instid1(VALU_DEP_1)
	v_dual_cndmask_b32 v1, 0, v1 :: v_dual_cndmask_b32 v0, 3, v0
	v_cmp_ne_u64_e32 vcc_lo, 0, v[0:1]
	s_or_b32 s10, s10, vcc_lo
	s_delay_alu instid0(SALU_CYCLE_1) | instskip(NEXT) | instid1(SALU_CYCLE_1)
	s_and_saveexec_b32 s29, s10
	s_xor_b32 s10, exec_lo, s29
; %bb.21580:                            ;   in Loop: Header=BB6_21110 Depth=2
	v_min_i32_e32 v1, 31, v4
	s_delay_alu instid0(VALU_DEP_1) | instskip(NEXT) | instid1(VALU_DEP_1)
	v_lshl_or_b32 v1, v1, 2, v27
                                        ; implicit-def: $vgpr27
	v_and_or_b32 v26, v0, 3, v1
; %bb.21581:                            ;   in Loop: Header=BB6_21110 Depth=2
	s_and_not1_saveexec_b32 s10, s10
; %bb.21582:                            ;   in Loop: Header=BB6_21110 Depth=2
	v_mov_b32_e32 v26, v27
; %bb.21583:                            ;   in Loop: Header=BB6_21110 Depth=2
	s_or_b32 exec_lo, exec_lo, s10
.LBB6_21584:                            ;   in Loop: Header=BB6_21110 Depth=2
	s_delay_alu instid0(SALU_CYCLE_1)
	s_or_b32 exec_lo, exec_lo, s28
                                        ; implicit-def: $vgpr27
.LBB6_21585:                            ;   in Loop: Header=BB6_21110 Depth=2
	s_and_not1_saveexec_b32 s10, s27
; %bb.21586:                            ;   in Loop: Header=BB6_21110 Depth=2
	v_or_b32_e32 v26, 0x7b, v27
; %bb.21587:                            ;   in Loop: Header=BB6_21110 Depth=2
	s_or_b32 exec_lo, exec_lo, s10
                                        ; implicit-def: $vgpr0
.LBB6_21588:                            ;   in Loop: Header=BB6_21110 Depth=2
	s_and_not1_saveexec_b32 s10, s11
	s_cbranch_execz .LBB6_21594
; %bb.21589:                            ;   in Loop: Header=BB6_21110 Depth=2
	s_mov_b32 s11, exec_lo
                                        ; implicit-def: $vgpr26
	v_cmpx_ne_u64_e32 0, v[54:55]
	s_xor_b32 s11, exec_lo, s11
; %bb.21590:                            ;   in Loop: Header=BB6_21110 Depth=2
	v_lshrrev_b32_e32 v0, 24, v0
	s_delay_alu instid0(VALU_DEP_1)
	v_or_b32_e32 v26, 0x7f, v0
                                        ; implicit-def: $vgpr0
; %bb.21591:                            ;   in Loop: Header=BB6_21110 Depth=2
	s_and_not1_saveexec_b32 s11, s11
; %bb.21592:                            ;   in Loop: Header=BB6_21110 Depth=2
	v_cmp_lt_i32_e32 vcc_lo, -1, v0
	v_cndmask_b32_e64 v26, -4, 0x7c, vcc_lo
; %bb.21593:                            ;   in Loop: Header=BB6_21110 Depth=2
	s_or_b32 exec_lo, exec_lo, s11
.LBB6_21594:                            ;   in Loop: Header=BB6_21110 Depth=2
	s_delay_alu instid0(SALU_CYCLE_1)
	s_or_b32 exec_lo, exec_lo, s10
	flat_load_i8 v0, v[10:11] offset:448 th:TH_LOAD_NT
	v_mov_b32_e32 v4, 0
	s_mov_b32 s10, exec_lo
	s_wait_loadcnt_dscnt 0x0
	v_cmpx_ne_u16_e32 0, v0
	s_cbranch_execz .LBB6_21604
; %bb.21595:                            ;   in Loop: Header=BB6_21110 Depth=2
	v_bfrev_b32_e32 v4, 1
	s_mov_b32 s11, exec_lo
	v_cmpx_ne_u16_e32 0xff80, v0
	s_cbranch_execz .LBB6_21603
; %bb.21596:                            ;   in Loop: Header=BB6_21110 Depth=2
	v_and_b32_e32 v4, 0x7c, v0
	v_and_b32_e32 v1, 3, v0
	s_delay_alu instid0(VALU_DEP_2) | instskip(SKIP_1) | instid1(SALU_CYCLE_1)
	v_cmp_ne_u32_e32 vcc_lo, 0x7c, v4
                                        ; implicit-def: $vgpr4
	s_and_saveexec_b32 s27, vcc_lo
	s_xor_b32 s27, exec_lo, s27
	s_cbranch_execz .LBB6_21600
; %bb.21597:                            ;   in Loop: Header=BB6_21110 Depth=2
	v_and_b32_e32 v4, 0xff, v0
	s_mov_b32 s28, exec_lo
	s_delay_alu instid0(VALU_DEP_1) | instskip(NEXT) | instid1(VALU_DEP_1)
	v_bfe_u32 v4, v4, 2, 5
	v_cmpx_eq_u32_e32 0, v4
	s_cbranch_execz .LBB6_21599
; %bb.21598:                            ;   in Loop: Header=BB6_21110 Depth=2
	v_clz_i32_u32_e32 v1, v1
	s_delay_alu instid0(VALU_DEP_1) | instskip(SKIP_1) | instid1(VALU_DEP_2)
	v_min_u32_e32 v4, 32, v1
	v_mov_b32_e32 v1, v55
	v_subrev_nc_u32_e32 v5, 29, v4
	v_sub_nc_u32_e32 v4, 30, v4
	s_delay_alu instid0(VALU_DEP_2) | instskip(NEXT) | instid1(VALU_DEP_1)
	v_lshlrev_b64_e32 v[32:33], v5, v[0:1]
	v_and_b32_e32 v1, 3, v32
.LBB6_21599:                            ;   in Loop: Header=BB6_21110 Depth=2
	s_or_b32 exec_lo, exec_lo, s28
	v_bfe_i32 v0, v0, 0, 16
	s_delay_alu instid0(VALU_DEP_1) | instskip(NEXT) | instid1(VALU_DEP_1)
	v_and_b32_e32 v0, 0x80000000, v0
	v_lshl_add_u32 v0, v4, 23, v0
	s_delay_alu instid0(VALU_DEP_1) | instskip(NEXT) | instid1(VALU_DEP_1)
	v_lshl_or_b32 v0, v1, 21, v0
                                        ; implicit-def: $vgpr1
	v_add_nc_u32_e32 v4, 0x38000000, v0
                                        ; implicit-def: $vgpr0
.LBB6_21600:                            ;   in Loop: Header=BB6_21110 Depth=2
	s_and_not1_saveexec_b32 s27, s27
; %bb.21601:                            ;   in Loop: Header=BB6_21110 Depth=2
	v_cmp_lt_i16_e32 vcc_lo, -1, v0
	v_cndmask_b32_e32 v0, 0xff800000, v29, vcc_lo
	v_cmp_eq_u32_e32 vcc_lo, 0, v1
	s_delay_alu instid0(VALU_DEP_2)
	v_cndmask_b32_e32 v4, 0x7f800001, v0, vcc_lo
; %bb.21602:                            ;   in Loop: Header=BB6_21110 Depth=2
	s_or_b32 exec_lo, exec_lo, s27
.LBB6_21603:                            ;   in Loop: Header=BB6_21110 Depth=2
	s_delay_alu instid0(SALU_CYCLE_1)
	s_or_b32 exec_lo, exec_lo, s11
.LBB6_21604:                            ;   in Loop: Header=BB6_21110 Depth=2
	s_delay_alu instid0(SALU_CYCLE_1) | instskip(NEXT) | instid1(VALU_DEP_1)
	s_or_b32 exec_lo, exec_lo, s10
	v_dual_mul_f32 v0, s26, v4 :: v_dual_mov_b32 v5, v55
                                        ; implicit-def: $vgpr27
	s_mov_b32 s10, exec_lo
	s_delay_alu instid0(VALU_DEP_1) | instskip(SKIP_1) | instid1(VALU_DEP_2)
	v_and_b32_e32 v4, 0x7f800000, v0
	v_and_b32_e32 v54, 0x7fffff, v0
	v_cmpx_ne_u64_e32 0x7f800000, v[4:5]
	s_xor_b32 s11, exec_lo, s10
	s_cbranch_execz .LBB6_21622
; %bb.21605:                            ;   in Loop: Header=BB6_21110 Depth=2
	v_dual_mov_b32 v5, v55 :: v_dual_lshrrev_b32 v1, 24, v0
	v_and_b32_e32 v4, 0x7fffffff, v0
                                        ; implicit-def: $vgpr27
	s_mov_b32 s10, exec_lo
	s_delay_alu instid0(VALU_DEP_2) | instskip(NEXT) | instid1(VALU_DEP_2)
	v_and_b32_e32 v28, 0x80, v1
	v_cmpx_gt_u64_e32 0x47600001, v[4:5]
	s_xor_b32 s27, exec_lo, s10
	s_cbranch_execz .LBB6_21619
; %bb.21606:                            ;   in Loop: Header=BB6_21110 Depth=2
	v_mov_b32_e32 v27, 0
	s_mov_b32 s28, exec_lo
	v_cmpx_ne_u32_e32 0, v0
	s_cbranch_execz .LBB6_21618
; %bb.21607:                            ;   in Loop: Header=BB6_21110 Depth=2
	v_bfe_u32 v27, v0, 23, 8
	v_or_b32_e32 v4, 0x800000, v54
	s_mov_b32 s29, exec_lo
	s_delay_alu instid0(VALU_DEP_2) | instskip(SKIP_1) | instid1(VALU_DEP_2)
	v_dual_mov_b32 v5, v55 :: v_dual_sub_nc_u32 v0, 0x71, v27
	v_cmp_gt_u32_e32 vcc_lo, 0x72, v27
	v_cndmask_b32_e32 v0, 0, v0, vcc_lo
	v_cmp_eq_u32_e32 vcc_lo, 0, v27
	s_delay_alu instid0(VALU_DEP_2) | instskip(NEXT) | instid1(VALU_DEP_1)
	v_cndmask_b32_e64 v31, v0, 0x70, vcc_lo
	v_dual_cndmask_b32 v4, v4, v54, vcc_lo :: v_dual_add_nc_u32 v0, 21, v31
	v_add_nc_u32_e32 v32, 20, v31
	s_delay_alu instid0(VALU_DEP_2) | instskip(NEXT) | instid1(VALU_DEP_2)
	v_lshlrev_b64_e64 v[0:1], v0, -1
	v_lshlrev_b64_e64 v[32:33], v32, 1
	s_delay_alu instid0(VALU_DEP_2) | instskip(NEXT) | instid1(VALU_DEP_3)
	v_bfi_b32 v35, v1, 0, 0
	v_bfi_b32 v34, v0, 0, v4
	v_lshrrev_b64 v[0:1], v31, v[4:5]
	s_delay_alu instid0(VALU_DEP_1) | instskip(NEXT) | instid1(VALU_DEP_3)
	v_mov_b64_e32 v[4:5], v[0:1]
	v_cmpx_eq_u64_e64 v[34:35], v[32:33]
; %bb.21608:                            ;   in Loop: Header=BB6_21110 Depth=2
	v_bfe_u32 v4, v0, 21, 1
	v_mov_b32_e32 v5, v55
	s_delay_alu instid0(VALU_DEP_1) | instskip(NEXT) | instid1(VALU_DEP_1)
	v_add_nc_u64_e32 v[4:5], v[0:1], v[4:5]
	v_add_nc_u64_e32 v[4:5], -1, v[4:5]
; %bb.21609:                            ;   in Loop: Header=BB6_21110 Depth=2
	s_or_b32 exec_lo, exec_lo, s29
	v_add_nc_u32_e32 v1, 0xffffff81, v27
	s_delay_alu instid0(VALU_DEP_2) | instskip(SKIP_2) | instid1(VALU_DEP_3)
	v_and_b32_e32 v4, 0x1fffff, v4
	v_lshrrev_b32_e32 v5, 23, v0
	s_mov_b32 s10, exec_lo
	v_cndmask_b32_e64 v1, v1, 0xffffff82, vcc_lo
	s_delay_alu instid0(VALU_DEP_3) | instskip(NEXT) | instid1(VALU_DEP_2)
	v_add_nc_u32_e32 v54, v4, v0
                                        ; implicit-def: $vgpr4
	v_add3_u32 v5, v31, v1, v5
                                        ; implicit-def: $vgpr0_vgpr1
	s_delay_alu instid0(VALU_DEP_1) | instskip(NEXT) | instid1(VALU_DEP_1)
	v_add_nc_u32_e32 v27, 14, v5
	v_cmpx_ne_u32_e32 0, v27
	s_xor_b32 s10, exec_lo, s10
; %bb.21610:                            ;   in Loop: Header=BB6_21110 Depth=2
	v_cmp_lt_u64_e32 vcc_lo, 0xffffff, v[54:55]
	v_add_nc_u32_e32 v0, 15, v5
	s_delay_alu instid0(VALU_DEP_1) | instskip(SKIP_1) | instid1(VALU_DEP_1)
	v_cndmask_b32_e32 v4, v27, v0, vcc_lo
	v_cndmask_b32_e64 v0, 0, 1, vcc_lo
	v_lshrrev_b64 v[0:1], v0, v[54:55]
; %bb.21611:                            ;   in Loop: Header=BB6_21110 Depth=2
	s_and_not1_saveexec_b32 s10, s10
; %bb.21612:                            ;   in Loop: Header=BB6_21110 Depth=2
	v_mov_b64_e32 v[0:1], v[54:55]
	v_bfe_u32 v4, v54, 23, 1
; %bb.21613:                            ;   in Loop: Header=BB6_21110 Depth=2
	s_or_b32 exec_lo, exec_lo, s10
	s_delay_alu instid0(VALU_DEP_2) | instskip(NEXT) | instid1(VALU_DEP_2)
	v_lshrrev_b64 v[0:1], 21, v[0:1]
	v_cmp_gt_i32_e32 vcc_lo, 32, v4
	v_cmp_ne_u32_e64 s10, 0, v4
                                        ; implicit-def: $vgpr27
	s_delay_alu instid0(VALU_DEP_3) | instskip(NEXT) | instid1(VALU_DEP_1)
	v_dual_cndmask_b32 v1, 0, v1 :: v_dual_cndmask_b32 v0, 3, v0
	v_cmp_ne_u64_e32 vcc_lo, 0, v[0:1]
	s_or_b32 s10, s10, vcc_lo
	s_delay_alu instid0(SALU_CYCLE_1) | instskip(NEXT) | instid1(SALU_CYCLE_1)
	s_and_saveexec_b32 s29, s10
	s_xor_b32 s10, exec_lo, s29
; %bb.21614:                            ;   in Loop: Header=BB6_21110 Depth=2
	v_min_i32_e32 v1, 31, v4
	s_delay_alu instid0(VALU_DEP_1) | instskip(NEXT) | instid1(VALU_DEP_1)
	v_lshl_or_b32 v1, v1, 2, v28
                                        ; implicit-def: $vgpr28
	v_and_or_b32 v27, v0, 3, v1
; %bb.21615:                            ;   in Loop: Header=BB6_21110 Depth=2
	s_and_not1_saveexec_b32 s10, s10
; %bb.21616:                            ;   in Loop: Header=BB6_21110 Depth=2
	v_mov_b32_e32 v27, v28
; %bb.21617:                            ;   in Loop: Header=BB6_21110 Depth=2
	s_or_b32 exec_lo, exec_lo, s10
.LBB6_21618:                            ;   in Loop: Header=BB6_21110 Depth=2
	s_delay_alu instid0(SALU_CYCLE_1)
	s_or_b32 exec_lo, exec_lo, s28
                                        ; implicit-def: $vgpr28
.LBB6_21619:                            ;   in Loop: Header=BB6_21110 Depth=2
	s_and_not1_saveexec_b32 s10, s27
; %bb.21620:                            ;   in Loop: Header=BB6_21110 Depth=2
	v_or_b32_e32 v27, 0x7b, v28
; %bb.21621:                            ;   in Loop: Header=BB6_21110 Depth=2
	s_or_b32 exec_lo, exec_lo, s10
                                        ; implicit-def: $vgpr0
.LBB6_21622:                            ;   in Loop: Header=BB6_21110 Depth=2
	s_and_not1_saveexec_b32 s10, s11
	s_cbranch_execz .LBB6_21628
; %bb.21623:                            ;   in Loop: Header=BB6_21110 Depth=2
	s_mov_b32 s11, exec_lo
                                        ; implicit-def: $vgpr27
	v_cmpx_ne_u64_e32 0, v[54:55]
	s_xor_b32 s11, exec_lo, s11
; %bb.21624:                            ;   in Loop: Header=BB6_21110 Depth=2
	v_lshrrev_b32_e32 v0, 24, v0
	s_delay_alu instid0(VALU_DEP_1)
	v_or_b32_e32 v27, 0x7f, v0
                                        ; implicit-def: $vgpr0
; %bb.21625:                            ;   in Loop: Header=BB6_21110 Depth=2
	s_and_not1_saveexec_b32 s11, s11
; %bb.21626:                            ;   in Loop: Header=BB6_21110 Depth=2
	v_cmp_lt_i32_e32 vcc_lo, -1, v0
	v_cndmask_b32_e64 v27, -4, 0x7c, vcc_lo
; %bb.21627:                            ;   in Loop: Header=BB6_21110 Depth=2
	s_or_b32 exec_lo, exec_lo, s11
.LBB6_21628:                            ;   in Loop: Header=BB6_21110 Depth=2
	s_delay_alu instid0(SALU_CYCLE_1)
	s_or_b32 exec_lo, exec_lo, s10
	flat_load_i8 v0, v[10:11] offset:480 th:TH_LOAD_NT
	v_mov_b32_e32 v4, 0
	s_mov_b32 s10, exec_lo
	s_wait_loadcnt_dscnt 0x0
	v_cmpx_ne_u16_e32 0, v0
	s_cbranch_execz .LBB6_21638
; %bb.21629:                            ;   in Loop: Header=BB6_21110 Depth=2
	v_bfrev_b32_e32 v4, 1
	s_mov_b32 s11, exec_lo
	v_cmpx_ne_u16_e32 0xff80, v0
	s_cbranch_execz .LBB6_21637
; %bb.21630:                            ;   in Loop: Header=BB6_21110 Depth=2
	v_and_b32_e32 v4, 0x7c, v0
	v_and_b32_e32 v1, 3, v0
	s_delay_alu instid0(VALU_DEP_2) | instskip(SKIP_1) | instid1(SALU_CYCLE_1)
	v_cmp_ne_u32_e32 vcc_lo, 0x7c, v4
                                        ; implicit-def: $vgpr4
	s_and_saveexec_b32 s27, vcc_lo
	s_xor_b32 s27, exec_lo, s27
	s_cbranch_execz .LBB6_21634
; %bb.21631:                            ;   in Loop: Header=BB6_21110 Depth=2
	v_and_b32_e32 v4, 0xff, v0
	s_mov_b32 s28, exec_lo
	s_delay_alu instid0(VALU_DEP_1) | instskip(NEXT) | instid1(VALU_DEP_1)
	v_bfe_u32 v4, v4, 2, 5
	v_cmpx_eq_u32_e32 0, v4
	s_cbranch_execz .LBB6_21633
; %bb.21632:                            ;   in Loop: Header=BB6_21110 Depth=2
	v_clz_i32_u32_e32 v1, v1
	s_delay_alu instid0(VALU_DEP_1) | instskip(SKIP_1) | instid1(VALU_DEP_2)
	v_min_u32_e32 v4, 32, v1
	v_mov_b32_e32 v1, v55
	v_subrev_nc_u32_e32 v5, 29, v4
	v_sub_nc_u32_e32 v4, 30, v4
	s_delay_alu instid0(VALU_DEP_2) | instskip(NEXT) | instid1(VALU_DEP_1)
	v_lshlrev_b64_e32 v[32:33], v5, v[0:1]
	v_and_b32_e32 v1, 3, v32
.LBB6_21633:                            ;   in Loop: Header=BB6_21110 Depth=2
	s_or_b32 exec_lo, exec_lo, s28
	v_bfe_i32 v0, v0, 0, 16
	s_delay_alu instid0(VALU_DEP_1) | instskip(NEXT) | instid1(VALU_DEP_1)
	v_and_b32_e32 v0, 0x80000000, v0
	v_lshl_add_u32 v0, v4, 23, v0
	s_delay_alu instid0(VALU_DEP_1) | instskip(NEXT) | instid1(VALU_DEP_1)
	v_lshl_or_b32 v0, v1, 21, v0
                                        ; implicit-def: $vgpr1
	v_add_nc_u32_e32 v4, 0x38000000, v0
                                        ; implicit-def: $vgpr0
.LBB6_21634:                            ;   in Loop: Header=BB6_21110 Depth=2
	s_and_not1_saveexec_b32 s27, s27
; %bb.21635:                            ;   in Loop: Header=BB6_21110 Depth=2
	v_cmp_lt_i16_e32 vcc_lo, -1, v0
	v_cndmask_b32_e32 v0, 0xff800000, v29, vcc_lo
	v_cmp_eq_u32_e32 vcc_lo, 0, v1
	s_delay_alu instid0(VALU_DEP_2)
	v_cndmask_b32_e32 v4, 0x7f800001, v0, vcc_lo
; %bb.21636:                            ;   in Loop: Header=BB6_21110 Depth=2
	s_or_b32 exec_lo, exec_lo, s27
.LBB6_21637:                            ;   in Loop: Header=BB6_21110 Depth=2
	s_delay_alu instid0(SALU_CYCLE_1)
	s_or_b32 exec_lo, exec_lo, s11
.LBB6_21638:                            ;   in Loop: Header=BB6_21110 Depth=2
	s_delay_alu instid0(SALU_CYCLE_1) | instskip(NEXT) | instid1(VALU_DEP_1)
	s_or_b32 exec_lo, exec_lo, s10
	v_dual_mul_f32 v0, s26, v4 :: v_dual_mov_b32 v5, v55
                                        ; implicit-def: $vgpr28
	s_mov_b32 s10, exec_lo
	s_delay_alu instid0(VALU_DEP_1) | instskip(SKIP_1) | instid1(VALU_DEP_2)
	v_and_b32_e32 v4, 0x7f800000, v0
	v_and_b32_e32 v54, 0x7fffff, v0
	v_cmpx_ne_u64_e32 0x7f800000, v[4:5]
	s_xor_b32 s11, exec_lo, s10
	s_cbranch_execz .LBB6_21656
; %bb.21639:                            ;   in Loop: Header=BB6_21110 Depth=2
	v_dual_mov_b32 v5, v55 :: v_dual_lshrrev_b32 v1, 24, v0
	v_and_b32_e32 v4, 0x7fffffff, v0
                                        ; implicit-def: $vgpr28
	s_mov_b32 s10, exec_lo
	s_delay_alu instid0(VALU_DEP_2) | instskip(NEXT) | instid1(VALU_DEP_2)
	v_and_b32_e32 v31, 0x80, v1
	v_cmpx_gt_u64_e32 0x47600001, v[4:5]
	s_xor_b32 s27, exec_lo, s10
	s_cbranch_execz .LBB6_21653
; %bb.21640:                            ;   in Loop: Header=BB6_21110 Depth=2
	v_mov_b32_e32 v28, 0
	s_mov_b32 s28, exec_lo
	v_cmpx_ne_u32_e32 0, v0
	s_cbranch_execz .LBB6_21652
; %bb.21641:                            ;   in Loop: Header=BB6_21110 Depth=2
	v_bfe_u32 v28, v0, 23, 8
	v_or_b32_e32 v4, 0x800000, v54
	s_mov_b32 s29, exec_lo
	s_delay_alu instid0(VALU_DEP_2) | instskip(SKIP_1) | instid1(VALU_DEP_2)
	v_dual_mov_b32 v5, v55 :: v_dual_sub_nc_u32 v0, 0x71, v28
	v_cmp_gt_u32_e32 vcc_lo, 0x72, v28
	v_cndmask_b32_e32 v0, 0, v0, vcc_lo
	v_cmp_eq_u32_e32 vcc_lo, 0, v28
	v_cndmask_b32_e32 v4, v4, v54, vcc_lo
	s_delay_alu instid0(VALU_DEP_3) | instskip(NEXT) | instid1(VALU_DEP_1)
	v_cndmask_b32_e64 v32, v0, 0x70, vcc_lo
	v_dual_add_nc_u32 v0, 21, v32 :: v_dual_add_nc_u32 v33, 20, v32
	s_delay_alu instid0(VALU_DEP_1) | instskip(NEXT) | instid1(VALU_DEP_2)
	v_lshlrev_b64_e64 v[0:1], v0, -1
	v_lshlrev_b64_e64 v[34:35], v33, 1
	s_delay_alu instid0(VALU_DEP_2) | instskip(NEXT) | instid1(VALU_DEP_3)
	v_bfi_b32 v37, v1, 0, 0
	v_bfi_b32 v36, v0, 0, v4
	v_lshrrev_b64 v[0:1], v32, v[4:5]
	s_delay_alu instid0(VALU_DEP_1) | instskip(NEXT) | instid1(VALU_DEP_3)
	v_mov_b64_e32 v[4:5], v[0:1]
	v_cmpx_eq_u64_e64 v[36:37], v[34:35]
; %bb.21642:                            ;   in Loop: Header=BB6_21110 Depth=2
	v_bfe_u32 v4, v0, 21, 1
	v_mov_b32_e32 v5, v55
	s_delay_alu instid0(VALU_DEP_1) | instskip(NEXT) | instid1(VALU_DEP_1)
	v_add_nc_u64_e32 v[4:5], v[0:1], v[4:5]
	v_add_nc_u64_e32 v[4:5], -1, v[4:5]
; %bb.21643:                            ;   in Loop: Header=BB6_21110 Depth=2
	s_or_b32 exec_lo, exec_lo, s29
	v_add_nc_u32_e32 v1, 0xffffff81, v28
	s_delay_alu instid0(VALU_DEP_2) | instskip(SKIP_2) | instid1(VALU_DEP_3)
	v_and_b32_e32 v4, 0x1fffff, v4
	v_lshrrev_b32_e32 v5, 23, v0
	s_mov_b32 s10, exec_lo
	v_cndmask_b32_e64 v1, v1, 0xffffff82, vcc_lo
	s_delay_alu instid0(VALU_DEP_3) | instskip(NEXT) | instid1(VALU_DEP_2)
	v_add_nc_u32_e32 v54, v4, v0
                                        ; implicit-def: $vgpr4
	v_add3_u32 v5, v32, v1, v5
                                        ; implicit-def: $vgpr0_vgpr1
	s_delay_alu instid0(VALU_DEP_1) | instskip(NEXT) | instid1(VALU_DEP_1)
	v_add_nc_u32_e32 v28, 14, v5
	v_cmpx_ne_u32_e32 0, v28
	s_xor_b32 s10, exec_lo, s10
; %bb.21644:                            ;   in Loop: Header=BB6_21110 Depth=2
	v_cmp_lt_u64_e32 vcc_lo, 0xffffff, v[54:55]
	v_add_nc_u32_e32 v0, 15, v5
	s_delay_alu instid0(VALU_DEP_1) | instskip(SKIP_1) | instid1(VALU_DEP_1)
	v_cndmask_b32_e32 v4, v28, v0, vcc_lo
	v_cndmask_b32_e64 v0, 0, 1, vcc_lo
	v_lshrrev_b64 v[0:1], v0, v[54:55]
; %bb.21645:                            ;   in Loop: Header=BB6_21110 Depth=2
	s_and_not1_saveexec_b32 s10, s10
; %bb.21646:                            ;   in Loop: Header=BB6_21110 Depth=2
	v_mov_b64_e32 v[0:1], v[54:55]
	v_bfe_u32 v4, v54, 23, 1
; %bb.21647:                            ;   in Loop: Header=BB6_21110 Depth=2
	s_or_b32 exec_lo, exec_lo, s10
	s_delay_alu instid0(VALU_DEP_2) | instskip(NEXT) | instid1(VALU_DEP_2)
	v_lshrrev_b64 v[0:1], 21, v[0:1]
	v_cmp_gt_i32_e32 vcc_lo, 32, v4
	v_cmp_ne_u32_e64 s10, 0, v4
                                        ; implicit-def: $vgpr28
	s_delay_alu instid0(VALU_DEP_3) | instskip(NEXT) | instid1(VALU_DEP_1)
	v_dual_cndmask_b32 v1, 0, v1 :: v_dual_cndmask_b32 v0, 3, v0
	v_cmp_ne_u64_e32 vcc_lo, 0, v[0:1]
	s_or_b32 s10, s10, vcc_lo
	s_delay_alu instid0(SALU_CYCLE_1) | instskip(NEXT) | instid1(SALU_CYCLE_1)
	s_and_saveexec_b32 s29, s10
	s_xor_b32 s10, exec_lo, s29
; %bb.21648:                            ;   in Loop: Header=BB6_21110 Depth=2
	v_min_i32_e32 v1, 31, v4
	s_delay_alu instid0(VALU_DEP_1) | instskip(NEXT) | instid1(VALU_DEP_1)
	v_lshl_or_b32 v1, v1, 2, v31
                                        ; implicit-def: $vgpr31
	v_and_or_b32 v28, v0, 3, v1
; %bb.21649:                            ;   in Loop: Header=BB6_21110 Depth=2
	s_and_not1_saveexec_b32 s10, s10
; %bb.21650:                            ;   in Loop: Header=BB6_21110 Depth=2
	v_mov_b32_e32 v28, v31
; %bb.21651:                            ;   in Loop: Header=BB6_21110 Depth=2
	s_or_b32 exec_lo, exec_lo, s10
.LBB6_21652:                            ;   in Loop: Header=BB6_21110 Depth=2
	s_delay_alu instid0(SALU_CYCLE_1)
	s_or_b32 exec_lo, exec_lo, s28
                                        ; implicit-def: $vgpr31
.LBB6_21653:                            ;   in Loop: Header=BB6_21110 Depth=2
	s_and_not1_saveexec_b32 s10, s27
; %bb.21654:                            ;   in Loop: Header=BB6_21110 Depth=2
	v_or_b32_e32 v28, 0x7b, v31
; %bb.21655:                            ;   in Loop: Header=BB6_21110 Depth=2
	s_or_b32 exec_lo, exec_lo, s10
                                        ; implicit-def: $vgpr0
.LBB6_21656:                            ;   in Loop: Header=BB6_21110 Depth=2
	s_and_not1_saveexec_b32 s10, s11
	s_cbranch_execz .LBB6_21662
; %bb.21657:                            ;   in Loop: Header=BB6_21110 Depth=2
	s_mov_b32 s11, exec_lo
                                        ; implicit-def: $vgpr28
	v_cmpx_ne_u64_e32 0, v[54:55]
	s_xor_b32 s11, exec_lo, s11
; %bb.21658:                            ;   in Loop: Header=BB6_21110 Depth=2
	v_lshrrev_b32_e32 v0, 24, v0
	s_delay_alu instid0(VALU_DEP_1)
	v_or_b32_e32 v28, 0x7f, v0
                                        ; implicit-def: $vgpr0
; %bb.21659:                            ;   in Loop: Header=BB6_21110 Depth=2
	s_and_not1_saveexec_b32 s11, s11
; %bb.21660:                            ;   in Loop: Header=BB6_21110 Depth=2
	v_cmp_lt_i32_e32 vcc_lo, -1, v0
	v_cndmask_b32_e64 v28, -4, 0x7c, vcc_lo
; %bb.21661:                            ;   in Loop: Header=BB6_21110 Depth=2
	s_or_b32 exec_lo, exec_lo, s11
.LBB6_21662:                            ;   in Loop: Header=BB6_21110 Depth=2
	s_delay_alu instid0(SALU_CYCLE_1)
	s_or_b32 exec_lo, exec_lo, s10
	flat_load_i8 v0, v[10:11] offset:512 th:TH_LOAD_NT
	v_mov_b32_e32 v4, 0
	s_mov_b32 s10, exec_lo
	s_wait_loadcnt_dscnt 0x0
	v_cmpx_ne_u16_e32 0, v0
	s_cbranch_execz .LBB6_21672
; %bb.21663:                            ;   in Loop: Header=BB6_21110 Depth=2
	v_bfrev_b32_e32 v4, 1
	s_mov_b32 s11, exec_lo
	v_cmpx_ne_u16_e32 0xff80, v0
	s_cbranch_execz .LBB6_21671
; %bb.21664:                            ;   in Loop: Header=BB6_21110 Depth=2
	v_and_b32_e32 v4, 0x7c, v0
	v_and_b32_e32 v1, 3, v0
	s_delay_alu instid0(VALU_DEP_2) | instskip(SKIP_1) | instid1(SALU_CYCLE_1)
	v_cmp_ne_u32_e32 vcc_lo, 0x7c, v4
                                        ; implicit-def: $vgpr4
	s_and_saveexec_b32 s27, vcc_lo
	s_xor_b32 s27, exec_lo, s27
	s_cbranch_execz .LBB6_21668
; %bb.21665:                            ;   in Loop: Header=BB6_21110 Depth=2
	v_and_b32_e32 v4, 0xff, v0
	s_mov_b32 s28, exec_lo
	s_delay_alu instid0(VALU_DEP_1) | instskip(NEXT) | instid1(VALU_DEP_1)
	v_bfe_u32 v4, v4, 2, 5
	v_cmpx_eq_u32_e32 0, v4
	s_cbranch_execz .LBB6_21667
; %bb.21666:                            ;   in Loop: Header=BB6_21110 Depth=2
	v_clz_i32_u32_e32 v1, v1
	s_delay_alu instid0(VALU_DEP_1) | instskip(SKIP_1) | instid1(VALU_DEP_2)
	v_min_u32_e32 v4, 32, v1
	v_mov_b32_e32 v1, v55
	v_subrev_nc_u32_e32 v5, 29, v4
	v_sub_nc_u32_e32 v4, 30, v4
	s_delay_alu instid0(VALU_DEP_2) | instskip(NEXT) | instid1(VALU_DEP_1)
	v_lshlrev_b64_e32 v[32:33], v5, v[0:1]
	v_and_b32_e32 v1, 3, v32
.LBB6_21667:                            ;   in Loop: Header=BB6_21110 Depth=2
	s_or_b32 exec_lo, exec_lo, s28
	v_bfe_i32 v0, v0, 0, 16
	s_delay_alu instid0(VALU_DEP_1) | instskip(NEXT) | instid1(VALU_DEP_1)
	v_and_b32_e32 v0, 0x80000000, v0
	v_lshl_add_u32 v0, v4, 23, v0
	s_delay_alu instid0(VALU_DEP_1) | instskip(NEXT) | instid1(VALU_DEP_1)
	v_lshl_or_b32 v0, v1, 21, v0
                                        ; implicit-def: $vgpr1
	v_add_nc_u32_e32 v4, 0x38000000, v0
                                        ; implicit-def: $vgpr0
.LBB6_21668:                            ;   in Loop: Header=BB6_21110 Depth=2
	s_and_not1_saveexec_b32 s27, s27
; %bb.21669:                            ;   in Loop: Header=BB6_21110 Depth=2
	v_cmp_lt_i16_e32 vcc_lo, -1, v0
	v_cndmask_b32_e32 v0, 0xff800000, v29, vcc_lo
	v_cmp_eq_u32_e32 vcc_lo, 0, v1
	s_delay_alu instid0(VALU_DEP_2)
	v_cndmask_b32_e32 v4, 0x7f800001, v0, vcc_lo
; %bb.21670:                            ;   in Loop: Header=BB6_21110 Depth=2
	s_or_b32 exec_lo, exec_lo, s27
.LBB6_21671:                            ;   in Loop: Header=BB6_21110 Depth=2
	s_delay_alu instid0(SALU_CYCLE_1)
	s_or_b32 exec_lo, exec_lo, s11
.LBB6_21672:                            ;   in Loop: Header=BB6_21110 Depth=2
	s_delay_alu instid0(SALU_CYCLE_1) | instskip(NEXT) | instid1(VALU_DEP_1)
	s_or_b32 exec_lo, exec_lo, s10
	v_dual_mul_f32 v0, s26, v4 :: v_dual_mov_b32 v5, v55
                                        ; implicit-def: $vgpr31
	s_mov_b32 s10, exec_lo
	s_delay_alu instid0(VALU_DEP_1) | instskip(SKIP_1) | instid1(VALU_DEP_2)
	v_and_b32_e32 v4, 0x7f800000, v0
	v_and_b32_e32 v54, 0x7fffff, v0
	v_cmpx_ne_u64_e32 0x7f800000, v[4:5]
	s_xor_b32 s11, exec_lo, s10
	s_cbranch_execz .LBB6_21690
; %bb.21673:                            ;   in Loop: Header=BB6_21110 Depth=2
	v_dual_mov_b32 v5, v55 :: v_dual_lshrrev_b32 v1, 24, v0
	v_and_b32_e32 v4, 0x7fffffff, v0
                                        ; implicit-def: $vgpr31
	s_mov_b32 s10, exec_lo
	s_delay_alu instid0(VALU_DEP_2) | instskip(NEXT) | instid1(VALU_DEP_2)
	v_and_b32_e32 v32, 0x80, v1
	v_cmpx_gt_u64_e32 0x47600001, v[4:5]
	s_xor_b32 s27, exec_lo, s10
	s_cbranch_execz .LBB6_21687
; %bb.21674:                            ;   in Loop: Header=BB6_21110 Depth=2
	v_mov_b32_e32 v31, 0
	s_mov_b32 s28, exec_lo
	v_cmpx_ne_u32_e32 0, v0
	s_cbranch_execz .LBB6_21686
; %bb.21675:                            ;   in Loop: Header=BB6_21110 Depth=2
	v_bfe_u32 v31, v0, 23, 8
	v_or_b32_e32 v4, 0x800000, v54
	s_mov_b32 s29, exec_lo
	s_delay_alu instid0(VALU_DEP_2) | instskip(SKIP_1) | instid1(VALU_DEP_2)
	v_dual_mov_b32 v5, v55 :: v_dual_sub_nc_u32 v0, 0x71, v31
	v_cmp_gt_u32_e32 vcc_lo, 0x72, v31
	v_cndmask_b32_e32 v0, 0, v0, vcc_lo
	v_cmp_eq_u32_e32 vcc_lo, 0, v31
	s_delay_alu instid0(VALU_DEP_2) | instskip(NEXT) | instid1(VALU_DEP_1)
	v_cndmask_b32_e64 v33, v0, 0x70, vcc_lo
	v_dual_cndmask_b32 v4, v4, v54, vcc_lo :: v_dual_add_nc_u32 v0, 21, v33
	v_add_nc_u32_e32 v34, 20, v33
	s_delay_alu instid0(VALU_DEP_2) | instskip(NEXT) | instid1(VALU_DEP_2)
	v_lshlrev_b64_e64 v[0:1], v0, -1
	v_lshlrev_b64_e64 v[34:35], v34, 1
	s_delay_alu instid0(VALU_DEP_2) | instskip(NEXT) | instid1(VALU_DEP_3)
	v_bfi_b32 v37, v1, 0, 0
	v_bfi_b32 v36, v0, 0, v4
	v_lshrrev_b64 v[0:1], v33, v[4:5]
	s_delay_alu instid0(VALU_DEP_1) | instskip(NEXT) | instid1(VALU_DEP_3)
	v_mov_b64_e32 v[4:5], v[0:1]
	v_cmpx_eq_u64_e64 v[36:37], v[34:35]
; %bb.21676:                            ;   in Loop: Header=BB6_21110 Depth=2
	v_bfe_u32 v4, v0, 21, 1
	v_mov_b32_e32 v5, v55
	s_delay_alu instid0(VALU_DEP_1) | instskip(NEXT) | instid1(VALU_DEP_1)
	v_add_nc_u64_e32 v[4:5], v[0:1], v[4:5]
	v_add_nc_u64_e32 v[4:5], -1, v[4:5]
; %bb.21677:                            ;   in Loop: Header=BB6_21110 Depth=2
	s_or_b32 exec_lo, exec_lo, s29
	v_add_nc_u32_e32 v1, 0xffffff81, v31
	s_delay_alu instid0(VALU_DEP_2) | instskip(SKIP_2) | instid1(VALU_DEP_3)
	v_and_b32_e32 v4, 0x1fffff, v4
	v_lshrrev_b32_e32 v5, 23, v0
	s_mov_b32 s10, exec_lo
	v_cndmask_b32_e64 v1, v1, 0xffffff82, vcc_lo
	s_delay_alu instid0(VALU_DEP_3) | instskip(NEXT) | instid1(VALU_DEP_2)
	v_add_nc_u32_e32 v54, v4, v0
                                        ; implicit-def: $vgpr4
	v_add3_u32 v5, v33, v1, v5
                                        ; implicit-def: $vgpr0_vgpr1
	s_delay_alu instid0(VALU_DEP_1) | instskip(NEXT) | instid1(VALU_DEP_1)
	v_add_nc_u32_e32 v31, 14, v5
	v_cmpx_ne_u32_e32 0, v31
	s_xor_b32 s10, exec_lo, s10
; %bb.21678:                            ;   in Loop: Header=BB6_21110 Depth=2
	v_cmp_lt_u64_e32 vcc_lo, 0xffffff, v[54:55]
	v_add_nc_u32_e32 v0, 15, v5
	s_delay_alu instid0(VALU_DEP_1) | instskip(SKIP_1) | instid1(VALU_DEP_1)
	v_cndmask_b32_e32 v4, v31, v0, vcc_lo
	v_cndmask_b32_e64 v0, 0, 1, vcc_lo
	v_lshrrev_b64 v[0:1], v0, v[54:55]
; %bb.21679:                            ;   in Loop: Header=BB6_21110 Depth=2
	s_and_not1_saveexec_b32 s10, s10
; %bb.21680:                            ;   in Loop: Header=BB6_21110 Depth=2
	v_mov_b64_e32 v[0:1], v[54:55]
	v_bfe_u32 v4, v54, 23, 1
; %bb.21681:                            ;   in Loop: Header=BB6_21110 Depth=2
	s_or_b32 exec_lo, exec_lo, s10
	s_delay_alu instid0(VALU_DEP_2) | instskip(NEXT) | instid1(VALU_DEP_2)
	v_lshrrev_b64 v[0:1], 21, v[0:1]
	v_cmp_gt_i32_e32 vcc_lo, 32, v4
	v_cmp_ne_u32_e64 s10, 0, v4
                                        ; implicit-def: $vgpr31
	s_delay_alu instid0(VALU_DEP_3) | instskip(NEXT) | instid1(VALU_DEP_1)
	v_dual_cndmask_b32 v1, 0, v1 :: v_dual_cndmask_b32 v0, 3, v0
	v_cmp_ne_u64_e32 vcc_lo, 0, v[0:1]
	s_or_b32 s10, s10, vcc_lo
	s_delay_alu instid0(SALU_CYCLE_1) | instskip(NEXT) | instid1(SALU_CYCLE_1)
	s_and_saveexec_b32 s29, s10
	s_xor_b32 s10, exec_lo, s29
; %bb.21682:                            ;   in Loop: Header=BB6_21110 Depth=2
	v_min_i32_e32 v1, 31, v4
	s_delay_alu instid0(VALU_DEP_1) | instskip(NEXT) | instid1(VALU_DEP_1)
	v_lshl_or_b32 v1, v1, 2, v32
                                        ; implicit-def: $vgpr32
	v_and_or_b32 v31, v0, 3, v1
; %bb.21683:                            ;   in Loop: Header=BB6_21110 Depth=2
	s_and_not1_saveexec_b32 s10, s10
; %bb.21684:                            ;   in Loop: Header=BB6_21110 Depth=2
	v_mov_b32_e32 v31, v32
; %bb.21685:                            ;   in Loop: Header=BB6_21110 Depth=2
	s_or_b32 exec_lo, exec_lo, s10
.LBB6_21686:                            ;   in Loop: Header=BB6_21110 Depth=2
	s_delay_alu instid0(SALU_CYCLE_1)
	s_or_b32 exec_lo, exec_lo, s28
                                        ; implicit-def: $vgpr32
.LBB6_21687:                            ;   in Loop: Header=BB6_21110 Depth=2
	s_and_not1_saveexec_b32 s10, s27
; %bb.21688:                            ;   in Loop: Header=BB6_21110 Depth=2
	v_or_b32_e32 v31, 0x7b, v32
; %bb.21689:                            ;   in Loop: Header=BB6_21110 Depth=2
	s_or_b32 exec_lo, exec_lo, s10
                                        ; implicit-def: $vgpr0
.LBB6_21690:                            ;   in Loop: Header=BB6_21110 Depth=2
	s_and_not1_saveexec_b32 s10, s11
	s_cbranch_execz .LBB6_21696
; %bb.21691:                            ;   in Loop: Header=BB6_21110 Depth=2
	s_mov_b32 s11, exec_lo
                                        ; implicit-def: $vgpr31
	v_cmpx_ne_u64_e32 0, v[54:55]
	s_xor_b32 s11, exec_lo, s11
; %bb.21692:                            ;   in Loop: Header=BB6_21110 Depth=2
	v_lshrrev_b32_e32 v0, 24, v0
	s_delay_alu instid0(VALU_DEP_1)
	v_or_b32_e32 v31, 0x7f, v0
                                        ; implicit-def: $vgpr0
; %bb.21693:                            ;   in Loop: Header=BB6_21110 Depth=2
	s_and_not1_saveexec_b32 s11, s11
; %bb.21694:                            ;   in Loop: Header=BB6_21110 Depth=2
	v_cmp_lt_i32_e32 vcc_lo, -1, v0
	v_cndmask_b32_e64 v31, -4, 0x7c, vcc_lo
; %bb.21695:                            ;   in Loop: Header=BB6_21110 Depth=2
	s_or_b32 exec_lo, exec_lo, s11
.LBB6_21696:                            ;   in Loop: Header=BB6_21110 Depth=2
	s_delay_alu instid0(SALU_CYCLE_1)
	s_or_b32 exec_lo, exec_lo, s10
	flat_load_i8 v0, v[10:11] offset:544 th:TH_LOAD_NT
	v_mov_b32_e32 v4, 0
	s_mov_b32 s10, exec_lo
	s_wait_loadcnt_dscnt 0x0
	v_cmpx_ne_u16_e32 0, v0
	s_cbranch_execz .LBB6_21706
; %bb.21697:                            ;   in Loop: Header=BB6_21110 Depth=2
	v_bfrev_b32_e32 v4, 1
	s_mov_b32 s11, exec_lo
	v_cmpx_ne_u16_e32 0xff80, v0
	s_cbranch_execz .LBB6_21705
; %bb.21698:                            ;   in Loop: Header=BB6_21110 Depth=2
	v_and_b32_e32 v4, 0x7c, v0
	v_and_b32_e32 v1, 3, v0
	s_delay_alu instid0(VALU_DEP_2) | instskip(SKIP_1) | instid1(SALU_CYCLE_1)
	v_cmp_ne_u32_e32 vcc_lo, 0x7c, v4
                                        ; implicit-def: $vgpr4
	s_and_saveexec_b32 s27, vcc_lo
	s_xor_b32 s27, exec_lo, s27
	s_cbranch_execz .LBB6_21702
; %bb.21699:                            ;   in Loop: Header=BB6_21110 Depth=2
	v_and_b32_e32 v4, 0xff, v0
	s_mov_b32 s28, exec_lo
	s_delay_alu instid0(VALU_DEP_1) | instskip(NEXT) | instid1(VALU_DEP_1)
	v_bfe_u32 v4, v4, 2, 5
	v_cmpx_eq_u32_e32 0, v4
	s_cbranch_execz .LBB6_21701
; %bb.21700:                            ;   in Loop: Header=BB6_21110 Depth=2
	v_clz_i32_u32_e32 v1, v1
	s_delay_alu instid0(VALU_DEP_1) | instskip(SKIP_1) | instid1(VALU_DEP_2)
	v_min_u32_e32 v4, 32, v1
	v_mov_b32_e32 v1, v55
	v_subrev_nc_u32_e32 v5, 29, v4
	v_sub_nc_u32_e32 v4, 30, v4
	s_delay_alu instid0(VALU_DEP_2) | instskip(NEXT) | instid1(VALU_DEP_1)
	v_lshlrev_b64_e32 v[32:33], v5, v[0:1]
	v_and_b32_e32 v1, 3, v32
.LBB6_21701:                            ;   in Loop: Header=BB6_21110 Depth=2
	s_or_b32 exec_lo, exec_lo, s28
	v_bfe_i32 v0, v0, 0, 16
	s_delay_alu instid0(VALU_DEP_1) | instskip(NEXT) | instid1(VALU_DEP_1)
	v_and_b32_e32 v0, 0x80000000, v0
	v_lshl_add_u32 v0, v4, 23, v0
	s_delay_alu instid0(VALU_DEP_1) | instskip(NEXT) | instid1(VALU_DEP_1)
	v_lshl_or_b32 v0, v1, 21, v0
                                        ; implicit-def: $vgpr1
	v_add_nc_u32_e32 v4, 0x38000000, v0
                                        ; implicit-def: $vgpr0
.LBB6_21702:                            ;   in Loop: Header=BB6_21110 Depth=2
	s_and_not1_saveexec_b32 s27, s27
; %bb.21703:                            ;   in Loop: Header=BB6_21110 Depth=2
	v_cmp_lt_i16_e32 vcc_lo, -1, v0
	v_cndmask_b32_e32 v0, 0xff800000, v29, vcc_lo
	v_cmp_eq_u32_e32 vcc_lo, 0, v1
	s_delay_alu instid0(VALU_DEP_2)
	v_cndmask_b32_e32 v4, 0x7f800001, v0, vcc_lo
; %bb.21704:                            ;   in Loop: Header=BB6_21110 Depth=2
	s_or_b32 exec_lo, exec_lo, s27
.LBB6_21705:                            ;   in Loop: Header=BB6_21110 Depth=2
	s_delay_alu instid0(SALU_CYCLE_1)
	s_or_b32 exec_lo, exec_lo, s11
.LBB6_21706:                            ;   in Loop: Header=BB6_21110 Depth=2
	s_delay_alu instid0(SALU_CYCLE_1) | instskip(NEXT) | instid1(VALU_DEP_1)
	s_or_b32 exec_lo, exec_lo, s10
	v_dual_mul_f32 v0, s26, v4 :: v_dual_mov_b32 v5, v55
                                        ; implicit-def: $vgpr32
	s_mov_b32 s10, exec_lo
	s_delay_alu instid0(VALU_DEP_1) | instskip(SKIP_1) | instid1(VALU_DEP_2)
	v_and_b32_e32 v4, 0x7f800000, v0
	v_and_b32_e32 v54, 0x7fffff, v0
	v_cmpx_ne_u64_e32 0x7f800000, v[4:5]
	s_xor_b32 s11, exec_lo, s10
	s_cbranch_execz .LBB6_21724
; %bb.21707:                            ;   in Loop: Header=BB6_21110 Depth=2
	v_dual_mov_b32 v5, v55 :: v_dual_lshrrev_b32 v1, 24, v0
	v_and_b32_e32 v4, 0x7fffffff, v0
                                        ; implicit-def: $vgpr32
	s_mov_b32 s10, exec_lo
	s_delay_alu instid0(VALU_DEP_2) | instskip(NEXT) | instid1(VALU_DEP_2)
	v_and_b32_e32 v33, 0x80, v1
	v_cmpx_gt_u64_e32 0x47600001, v[4:5]
	s_xor_b32 s27, exec_lo, s10
	s_cbranch_execz .LBB6_21721
; %bb.21708:                            ;   in Loop: Header=BB6_21110 Depth=2
	v_mov_b32_e32 v32, 0
	s_mov_b32 s28, exec_lo
	v_cmpx_ne_u32_e32 0, v0
	s_cbranch_execz .LBB6_21720
; %bb.21709:                            ;   in Loop: Header=BB6_21110 Depth=2
	v_bfe_u32 v32, v0, 23, 8
	v_or_b32_e32 v4, 0x800000, v54
	s_mov_b32 s29, exec_lo
	s_delay_alu instid0(VALU_DEP_2) | instskip(SKIP_1) | instid1(VALU_DEP_2)
	v_dual_mov_b32 v5, v55 :: v_dual_sub_nc_u32 v0, 0x71, v32
	v_cmp_gt_u32_e32 vcc_lo, 0x72, v32
	v_cndmask_b32_e32 v0, 0, v0, vcc_lo
	v_cmp_eq_u32_e32 vcc_lo, 0, v32
	s_delay_alu instid0(VALU_DEP_2) | instskip(SKIP_1) | instid1(VALU_DEP_2)
	v_cndmask_b32_e64 v34, v0, 0x70, vcc_lo
	v_cndmask_b32_e32 v4, v4, v54, vcc_lo
	v_dual_add_nc_u32 v0, 21, v34 :: v_dual_add_nc_u32 v35, 20, v34
	s_delay_alu instid0(VALU_DEP_1) | instskip(NEXT) | instid1(VALU_DEP_2)
	v_lshlrev_b64_e64 v[0:1], v0, -1
	v_lshlrev_b64_e64 v[36:37], v35, 1
	s_delay_alu instid0(VALU_DEP_2) | instskip(NEXT) | instid1(VALU_DEP_3)
	v_bfi_b32 v39, v1, 0, 0
	v_bfi_b32 v38, v0, 0, v4
	v_lshrrev_b64 v[0:1], v34, v[4:5]
	s_delay_alu instid0(VALU_DEP_1) | instskip(NEXT) | instid1(VALU_DEP_3)
	v_mov_b64_e32 v[4:5], v[0:1]
	v_cmpx_eq_u64_e64 v[38:39], v[36:37]
; %bb.21710:                            ;   in Loop: Header=BB6_21110 Depth=2
	v_bfe_u32 v4, v0, 21, 1
	v_mov_b32_e32 v5, v55
	s_delay_alu instid0(VALU_DEP_1) | instskip(NEXT) | instid1(VALU_DEP_1)
	v_add_nc_u64_e32 v[4:5], v[0:1], v[4:5]
	v_add_nc_u64_e32 v[4:5], -1, v[4:5]
; %bb.21711:                            ;   in Loop: Header=BB6_21110 Depth=2
	s_or_b32 exec_lo, exec_lo, s29
	v_add_nc_u32_e32 v1, 0xffffff81, v32
	s_delay_alu instid0(VALU_DEP_2) | instskip(SKIP_2) | instid1(VALU_DEP_3)
	v_and_b32_e32 v4, 0x1fffff, v4
	v_lshrrev_b32_e32 v5, 23, v0
	s_mov_b32 s10, exec_lo
	v_cndmask_b32_e64 v1, v1, 0xffffff82, vcc_lo
	s_delay_alu instid0(VALU_DEP_3) | instskip(NEXT) | instid1(VALU_DEP_2)
	v_add_nc_u32_e32 v54, v4, v0
                                        ; implicit-def: $vgpr4
	v_add3_u32 v5, v34, v1, v5
                                        ; implicit-def: $vgpr0_vgpr1
	s_delay_alu instid0(VALU_DEP_1) | instskip(NEXT) | instid1(VALU_DEP_1)
	v_add_nc_u32_e32 v32, 14, v5
	v_cmpx_ne_u32_e32 0, v32
	s_xor_b32 s10, exec_lo, s10
; %bb.21712:                            ;   in Loop: Header=BB6_21110 Depth=2
	v_cmp_lt_u64_e32 vcc_lo, 0xffffff, v[54:55]
	v_add_nc_u32_e32 v0, 15, v5
	s_delay_alu instid0(VALU_DEP_1) | instskip(SKIP_1) | instid1(VALU_DEP_1)
	v_cndmask_b32_e32 v4, v32, v0, vcc_lo
	v_cndmask_b32_e64 v0, 0, 1, vcc_lo
	v_lshrrev_b64 v[0:1], v0, v[54:55]
; %bb.21713:                            ;   in Loop: Header=BB6_21110 Depth=2
	s_and_not1_saveexec_b32 s10, s10
; %bb.21714:                            ;   in Loop: Header=BB6_21110 Depth=2
	v_mov_b64_e32 v[0:1], v[54:55]
	v_bfe_u32 v4, v54, 23, 1
; %bb.21715:                            ;   in Loop: Header=BB6_21110 Depth=2
	s_or_b32 exec_lo, exec_lo, s10
	s_delay_alu instid0(VALU_DEP_2) | instskip(NEXT) | instid1(VALU_DEP_2)
	v_lshrrev_b64 v[0:1], 21, v[0:1]
	v_cmp_gt_i32_e32 vcc_lo, 32, v4
	v_cmp_ne_u32_e64 s10, 0, v4
                                        ; implicit-def: $vgpr32
	s_delay_alu instid0(VALU_DEP_3) | instskip(NEXT) | instid1(VALU_DEP_1)
	v_dual_cndmask_b32 v1, 0, v1 :: v_dual_cndmask_b32 v0, 3, v0
	v_cmp_ne_u64_e32 vcc_lo, 0, v[0:1]
	s_or_b32 s10, s10, vcc_lo
	s_delay_alu instid0(SALU_CYCLE_1) | instskip(NEXT) | instid1(SALU_CYCLE_1)
	s_and_saveexec_b32 s29, s10
	s_xor_b32 s10, exec_lo, s29
; %bb.21716:                            ;   in Loop: Header=BB6_21110 Depth=2
	v_min_i32_e32 v1, 31, v4
	s_delay_alu instid0(VALU_DEP_1) | instskip(NEXT) | instid1(VALU_DEP_1)
	v_lshl_or_b32 v1, v1, 2, v33
                                        ; implicit-def: $vgpr33
	v_and_or_b32 v32, v0, 3, v1
; %bb.21717:                            ;   in Loop: Header=BB6_21110 Depth=2
	s_and_not1_saveexec_b32 s10, s10
; %bb.21718:                            ;   in Loop: Header=BB6_21110 Depth=2
	v_mov_b32_e32 v32, v33
; %bb.21719:                            ;   in Loop: Header=BB6_21110 Depth=2
	s_or_b32 exec_lo, exec_lo, s10
.LBB6_21720:                            ;   in Loop: Header=BB6_21110 Depth=2
	s_delay_alu instid0(SALU_CYCLE_1)
	s_or_b32 exec_lo, exec_lo, s28
                                        ; implicit-def: $vgpr33
.LBB6_21721:                            ;   in Loop: Header=BB6_21110 Depth=2
	s_and_not1_saveexec_b32 s10, s27
; %bb.21722:                            ;   in Loop: Header=BB6_21110 Depth=2
	v_or_b32_e32 v32, 0x7b, v33
; %bb.21723:                            ;   in Loop: Header=BB6_21110 Depth=2
	s_or_b32 exec_lo, exec_lo, s10
                                        ; implicit-def: $vgpr0
.LBB6_21724:                            ;   in Loop: Header=BB6_21110 Depth=2
	s_and_not1_saveexec_b32 s10, s11
	s_cbranch_execz .LBB6_21730
; %bb.21725:                            ;   in Loop: Header=BB6_21110 Depth=2
	s_mov_b32 s11, exec_lo
                                        ; implicit-def: $vgpr32
	v_cmpx_ne_u64_e32 0, v[54:55]
	s_xor_b32 s11, exec_lo, s11
; %bb.21726:                            ;   in Loop: Header=BB6_21110 Depth=2
	v_lshrrev_b32_e32 v0, 24, v0
	s_delay_alu instid0(VALU_DEP_1)
	v_or_b32_e32 v32, 0x7f, v0
                                        ; implicit-def: $vgpr0
; %bb.21727:                            ;   in Loop: Header=BB6_21110 Depth=2
	s_and_not1_saveexec_b32 s11, s11
; %bb.21728:                            ;   in Loop: Header=BB6_21110 Depth=2
	v_cmp_lt_i32_e32 vcc_lo, -1, v0
	v_cndmask_b32_e64 v32, -4, 0x7c, vcc_lo
; %bb.21729:                            ;   in Loop: Header=BB6_21110 Depth=2
	s_or_b32 exec_lo, exec_lo, s11
.LBB6_21730:                            ;   in Loop: Header=BB6_21110 Depth=2
	s_delay_alu instid0(SALU_CYCLE_1)
	s_or_b32 exec_lo, exec_lo, s10
	flat_load_i8 v0, v[10:11] offset:576 th:TH_LOAD_NT
	v_mov_b32_e32 v4, 0
	s_mov_b32 s10, exec_lo
	s_wait_loadcnt_dscnt 0x0
	v_cmpx_ne_u16_e32 0, v0
	s_cbranch_execz .LBB6_21740
; %bb.21731:                            ;   in Loop: Header=BB6_21110 Depth=2
	v_bfrev_b32_e32 v4, 1
	s_mov_b32 s11, exec_lo
	v_cmpx_ne_u16_e32 0xff80, v0
	s_cbranch_execz .LBB6_21739
; %bb.21732:                            ;   in Loop: Header=BB6_21110 Depth=2
	v_and_b32_e32 v4, 0x7c, v0
	v_and_b32_e32 v1, 3, v0
	s_delay_alu instid0(VALU_DEP_2) | instskip(SKIP_1) | instid1(SALU_CYCLE_1)
	v_cmp_ne_u32_e32 vcc_lo, 0x7c, v4
                                        ; implicit-def: $vgpr4
	s_and_saveexec_b32 s27, vcc_lo
	s_xor_b32 s27, exec_lo, s27
	s_cbranch_execz .LBB6_21736
; %bb.21733:                            ;   in Loop: Header=BB6_21110 Depth=2
	v_and_b32_e32 v4, 0xff, v0
	s_mov_b32 s28, exec_lo
	s_delay_alu instid0(VALU_DEP_1) | instskip(NEXT) | instid1(VALU_DEP_1)
	v_bfe_u32 v4, v4, 2, 5
	v_cmpx_eq_u32_e32 0, v4
	s_cbranch_execz .LBB6_21735
; %bb.21734:                            ;   in Loop: Header=BB6_21110 Depth=2
	v_clz_i32_u32_e32 v1, v1
	s_delay_alu instid0(VALU_DEP_1) | instskip(SKIP_1) | instid1(VALU_DEP_2)
	v_min_u32_e32 v4, 32, v1
	v_mov_b32_e32 v1, v55
	v_subrev_nc_u32_e32 v5, 29, v4
	v_sub_nc_u32_e32 v4, 30, v4
	s_delay_alu instid0(VALU_DEP_2) | instskip(NEXT) | instid1(VALU_DEP_1)
	v_lshlrev_b64_e32 v[34:35], v5, v[0:1]
	v_and_b32_e32 v1, 3, v34
.LBB6_21735:                            ;   in Loop: Header=BB6_21110 Depth=2
	s_or_b32 exec_lo, exec_lo, s28
	v_bfe_i32 v0, v0, 0, 16
	s_delay_alu instid0(VALU_DEP_1) | instskip(NEXT) | instid1(VALU_DEP_1)
	v_and_b32_e32 v0, 0x80000000, v0
	v_lshl_add_u32 v0, v4, 23, v0
	s_delay_alu instid0(VALU_DEP_1) | instskip(NEXT) | instid1(VALU_DEP_1)
	v_lshl_or_b32 v0, v1, 21, v0
                                        ; implicit-def: $vgpr1
	v_add_nc_u32_e32 v4, 0x38000000, v0
                                        ; implicit-def: $vgpr0
.LBB6_21736:                            ;   in Loop: Header=BB6_21110 Depth=2
	s_and_not1_saveexec_b32 s27, s27
; %bb.21737:                            ;   in Loop: Header=BB6_21110 Depth=2
	v_cmp_lt_i16_e32 vcc_lo, -1, v0
	v_cndmask_b32_e32 v0, 0xff800000, v29, vcc_lo
	v_cmp_eq_u32_e32 vcc_lo, 0, v1
	s_delay_alu instid0(VALU_DEP_2)
	v_cndmask_b32_e32 v4, 0x7f800001, v0, vcc_lo
; %bb.21738:                            ;   in Loop: Header=BB6_21110 Depth=2
	s_or_b32 exec_lo, exec_lo, s27
.LBB6_21739:                            ;   in Loop: Header=BB6_21110 Depth=2
	s_delay_alu instid0(SALU_CYCLE_1)
	s_or_b32 exec_lo, exec_lo, s11
.LBB6_21740:                            ;   in Loop: Header=BB6_21110 Depth=2
	s_delay_alu instid0(SALU_CYCLE_1) | instskip(NEXT) | instid1(VALU_DEP_1)
	s_or_b32 exec_lo, exec_lo, s10
	v_dual_mul_f32 v0, s26, v4 :: v_dual_mov_b32 v5, v55
                                        ; implicit-def: $vgpr33
	s_mov_b32 s10, exec_lo
	s_delay_alu instid0(VALU_DEP_1) | instskip(SKIP_1) | instid1(VALU_DEP_2)
	v_and_b32_e32 v4, 0x7f800000, v0
	v_and_b32_e32 v54, 0x7fffff, v0
	v_cmpx_ne_u64_e32 0x7f800000, v[4:5]
	s_xor_b32 s11, exec_lo, s10
	s_cbranch_execz .LBB6_21758
; %bb.21741:                            ;   in Loop: Header=BB6_21110 Depth=2
	v_dual_mov_b32 v5, v55 :: v_dual_lshrrev_b32 v1, 24, v0
	v_and_b32_e32 v4, 0x7fffffff, v0
                                        ; implicit-def: $vgpr33
	s_mov_b32 s10, exec_lo
	s_delay_alu instid0(VALU_DEP_2) | instskip(NEXT) | instid1(VALU_DEP_2)
	v_and_b32_e32 v34, 0x80, v1
	v_cmpx_gt_u64_e32 0x47600001, v[4:5]
	s_xor_b32 s27, exec_lo, s10
	s_cbranch_execz .LBB6_21755
; %bb.21742:                            ;   in Loop: Header=BB6_21110 Depth=2
	v_mov_b32_e32 v33, 0
	s_mov_b32 s28, exec_lo
	v_cmpx_ne_u32_e32 0, v0
	s_cbranch_execz .LBB6_21754
; %bb.21743:                            ;   in Loop: Header=BB6_21110 Depth=2
	v_bfe_u32 v33, v0, 23, 8
	v_or_b32_e32 v4, 0x800000, v54
	s_mov_b32 s29, exec_lo
	s_delay_alu instid0(VALU_DEP_2) | instskip(SKIP_1) | instid1(VALU_DEP_2)
	v_dual_mov_b32 v5, v55 :: v_dual_sub_nc_u32 v0, 0x71, v33
	v_cmp_gt_u32_e32 vcc_lo, 0x72, v33
	v_cndmask_b32_e32 v0, 0, v0, vcc_lo
	v_cmp_eq_u32_e32 vcc_lo, 0, v33
	s_delay_alu instid0(VALU_DEP_2) | instskip(NEXT) | instid1(VALU_DEP_1)
	v_cndmask_b32_e64 v35, v0, 0x70, vcc_lo
	v_dual_cndmask_b32 v4, v4, v54, vcc_lo :: v_dual_add_nc_u32 v0, 21, v35
	v_add_nc_u32_e32 v36, 20, v35
	s_delay_alu instid0(VALU_DEP_2) | instskip(NEXT) | instid1(VALU_DEP_2)
	v_lshlrev_b64_e64 v[0:1], v0, -1
	v_lshlrev_b64_e64 v[36:37], v36, 1
	s_delay_alu instid0(VALU_DEP_2) | instskip(NEXT) | instid1(VALU_DEP_3)
	v_bfi_b32 v39, v1, 0, 0
	v_bfi_b32 v38, v0, 0, v4
	v_lshrrev_b64 v[0:1], v35, v[4:5]
	s_delay_alu instid0(VALU_DEP_1) | instskip(NEXT) | instid1(VALU_DEP_3)
	v_mov_b64_e32 v[4:5], v[0:1]
	v_cmpx_eq_u64_e64 v[38:39], v[36:37]
; %bb.21744:                            ;   in Loop: Header=BB6_21110 Depth=2
	v_bfe_u32 v4, v0, 21, 1
	v_mov_b32_e32 v5, v55
	s_delay_alu instid0(VALU_DEP_1) | instskip(NEXT) | instid1(VALU_DEP_1)
	v_add_nc_u64_e32 v[4:5], v[0:1], v[4:5]
	v_add_nc_u64_e32 v[4:5], -1, v[4:5]
; %bb.21745:                            ;   in Loop: Header=BB6_21110 Depth=2
	s_or_b32 exec_lo, exec_lo, s29
	v_add_nc_u32_e32 v1, 0xffffff81, v33
	s_delay_alu instid0(VALU_DEP_2) | instskip(SKIP_2) | instid1(VALU_DEP_3)
	v_and_b32_e32 v4, 0x1fffff, v4
	v_lshrrev_b32_e32 v5, 23, v0
	s_mov_b32 s10, exec_lo
	v_cndmask_b32_e64 v1, v1, 0xffffff82, vcc_lo
	s_delay_alu instid0(VALU_DEP_3) | instskip(NEXT) | instid1(VALU_DEP_2)
	v_add_nc_u32_e32 v54, v4, v0
                                        ; implicit-def: $vgpr4
	v_add3_u32 v5, v35, v1, v5
                                        ; implicit-def: $vgpr0_vgpr1
	s_delay_alu instid0(VALU_DEP_1) | instskip(NEXT) | instid1(VALU_DEP_1)
	v_add_nc_u32_e32 v33, 14, v5
	v_cmpx_ne_u32_e32 0, v33
	s_xor_b32 s10, exec_lo, s10
; %bb.21746:                            ;   in Loop: Header=BB6_21110 Depth=2
	v_cmp_lt_u64_e32 vcc_lo, 0xffffff, v[54:55]
	v_add_nc_u32_e32 v0, 15, v5
	s_delay_alu instid0(VALU_DEP_1) | instskip(SKIP_1) | instid1(VALU_DEP_1)
	v_cndmask_b32_e32 v4, v33, v0, vcc_lo
	v_cndmask_b32_e64 v0, 0, 1, vcc_lo
	v_lshrrev_b64 v[0:1], v0, v[54:55]
; %bb.21747:                            ;   in Loop: Header=BB6_21110 Depth=2
	s_and_not1_saveexec_b32 s10, s10
; %bb.21748:                            ;   in Loop: Header=BB6_21110 Depth=2
	v_mov_b64_e32 v[0:1], v[54:55]
	v_bfe_u32 v4, v54, 23, 1
; %bb.21749:                            ;   in Loop: Header=BB6_21110 Depth=2
	s_or_b32 exec_lo, exec_lo, s10
	s_delay_alu instid0(VALU_DEP_2) | instskip(NEXT) | instid1(VALU_DEP_2)
	v_lshrrev_b64 v[0:1], 21, v[0:1]
	v_cmp_gt_i32_e32 vcc_lo, 32, v4
	v_cmp_ne_u32_e64 s10, 0, v4
                                        ; implicit-def: $vgpr33
	s_delay_alu instid0(VALU_DEP_3) | instskip(NEXT) | instid1(VALU_DEP_1)
	v_dual_cndmask_b32 v1, 0, v1 :: v_dual_cndmask_b32 v0, 3, v0
	v_cmp_ne_u64_e32 vcc_lo, 0, v[0:1]
	s_or_b32 s10, s10, vcc_lo
	s_delay_alu instid0(SALU_CYCLE_1) | instskip(NEXT) | instid1(SALU_CYCLE_1)
	s_and_saveexec_b32 s29, s10
	s_xor_b32 s10, exec_lo, s29
; %bb.21750:                            ;   in Loop: Header=BB6_21110 Depth=2
	v_min_i32_e32 v1, 31, v4
	s_delay_alu instid0(VALU_DEP_1) | instskip(NEXT) | instid1(VALU_DEP_1)
	v_lshl_or_b32 v1, v1, 2, v34
                                        ; implicit-def: $vgpr34
	v_and_or_b32 v33, v0, 3, v1
; %bb.21751:                            ;   in Loop: Header=BB6_21110 Depth=2
	s_and_not1_saveexec_b32 s10, s10
; %bb.21752:                            ;   in Loop: Header=BB6_21110 Depth=2
	v_mov_b32_e32 v33, v34
; %bb.21753:                            ;   in Loop: Header=BB6_21110 Depth=2
	s_or_b32 exec_lo, exec_lo, s10
.LBB6_21754:                            ;   in Loop: Header=BB6_21110 Depth=2
	s_delay_alu instid0(SALU_CYCLE_1)
	s_or_b32 exec_lo, exec_lo, s28
                                        ; implicit-def: $vgpr34
.LBB6_21755:                            ;   in Loop: Header=BB6_21110 Depth=2
	s_and_not1_saveexec_b32 s10, s27
; %bb.21756:                            ;   in Loop: Header=BB6_21110 Depth=2
	v_or_b32_e32 v33, 0x7b, v34
; %bb.21757:                            ;   in Loop: Header=BB6_21110 Depth=2
	s_or_b32 exec_lo, exec_lo, s10
                                        ; implicit-def: $vgpr0
.LBB6_21758:                            ;   in Loop: Header=BB6_21110 Depth=2
	s_and_not1_saveexec_b32 s10, s11
	s_cbranch_execz .LBB6_21764
; %bb.21759:                            ;   in Loop: Header=BB6_21110 Depth=2
	s_mov_b32 s11, exec_lo
                                        ; implicit-def: $vgpr33
	v_cmpx_ne_u64_e32 0, v[54:55]
	s_xor_b32 s11, exec_lo, s11
; %bb.21760:                            ;   in Loop: Header=BB6_21110 Depth=2
	v_lshrrev_b32_e32 v0, 24, v0
	s_delay_alu instid0(VALU_DEP_1)
	v_or_b32_e32 v33, 0x7f, v0
                                        ; implicit-def: $vgpr0
; %bb.21761:                            ;   in Loop: Header=BB6_21110 Depth=2
	s_and_not1_saveexec_b32 s11, s11
; %bb.21762:                            ;   in Loop: Header=BB6_21110 Depth=2
	v_cmp_lt_i32_e32 vcc_lo, -1, v0
	v_cndmask_b32_e64 v33, -4, 0x7c, vcc_lo
; %bb.21763:                            ;   in Loop: Header=BB6_21110 Depth=2
	s_or_b32 exec_lo, exec_lo, s11
.LBB6_21764:                            ;   in Loop: Header=BB6_21110 Depth=2
	s_delay_alu instid0(SALU_CYCLE_1)
	s_or_b32 exec_lo, exec_lo, s10
	flat_load_i8 v0, v[10:11] offset:608 th:TH_LOAD_NT
	v_mov_b32_e32 v4, 0
	s_mov_b32 s10, exec_lo
	s_wait_loadcnt_dscnt 0x0
	v_cmpx_ne_u16_e32 0, v0
	s_cbranch_execz .LBB6_21774
; %bb.21765:                            ;   in Loop: Header=BB6_21110 Depth=2
	v_bfrev_b32_e32 v4, 1
	s_mov_b32 s11, exec_lo
	v_cmpx_ne_u16_e32 0xff80, v0
	s_cbranch_execz .LBB6_21773
; %bb.21766:                            ;   in Loop: Header=BB6_21110 Depth=2
	v_and_b32_e32 v4, 0x7c, v0
	v_and_b32_e32 v1, 3, v0
	s_delay_alu instid0(VALU_DEP_2) | instskip(SKIP_1) | instid1(SALU_CYCLE_1)
	v_cmp_ne_u32_e32 vcc_lo, 0x7c, v4
                                        ; implicit-def: $vgpr4
	s_and_saveexec_b32 s27, vcc_lo
	s_xor_b32 s27, exec_lo, s27
	s_cbranch_execz .LBB6_21770
; %bb.21767:                            ;   in Loop: Header=BB6_21110 Depth=2
	v_and_b32_e32 v4, 0xff, v0
	s_mov_b32 s28, exec_lo
	s_delay_alu instid0(VALU_DEP_1) | instskip(NEXT) | instid1(VALU_DEP_1)
	v_bfe_u32 v4, v4, 2, 5
	v_cmpx_eq_u32_e32 0, v4
	s_cbranch_execz .LBB6_21769
; %bb.21768:                            ;   in Loop: Header=BB6_21110 Depth=2
	v_clz_i32_u32_e32 v1, v1
	s_delay_alu instid0(VALU_DEP_1) | instskip(SKIP_1) | instid1(VALU_DEP_2)
	v_min_u32_e32 v4, 32, v1
	v_mov_b32_e32 v1, v55
	v_subrev_nc_u32_e32 v5, 29, v4
	v_sub_nc_u32_e32 v4, 30, v4
	s_delay_alu instid0(VALU_DEP_2) | instskip(NEXT) | instid1(VALU_DEP_1)
	v_lshlrev_b64_e32 v[34:35], v5, v[0:1]
	v_and_b32_e32 v1, 3, v34
.LBB6_21769:                            ;   in Loop: Header=BB6_21110 Depth=2
	s_or_b32 exec_lo, exec_lo, s28
	v_bfe_i32 v0, v0, 0, 16
	s_delay_alu instid0(VALU_DEP_1) | instskip(NEXT) | instid1(VALU_DEP_1)
	v_and_b32_e32 v0, 0x80000000, v0
	v_lshl_add_u32 v0, v4, 23, v0
	s_delay_alu instid0(VALU_DEP_1) | instskip(NEXT) | instid1(VALU_DEP_1)
	v_lshl_or_b32 v0, v1, 21, v0
                                        ; implicit-def: $vgpr1
	v_add_nc_u32_e32 v4, 0x38000000, v0
                                        ; implicit-def: $vgpr0
.LBB6_21770:                            ;   in Loop: Header=BB6_21110 Depth=2
	s_and_not1_saveexec_b32 s27, s27
; %bb.21771:                            ;   in Loop: Header=BB6_21110 Depth=2
	v_cmp_lt_i16_e32 vcc_lo, -1, v0
	v_cndmask_b32_e32 v0, 0xff800000, v29, vcc_lo
	v_cmp_eq_u32_e32 vcc_lo, 0, v1
	s_delay_alu instid0(VALU_DEP_2)
	v_cndmask_b32_e32 v4, 0x7f800001, v0, vcc_lo
; %bb.21772:                            ;   in Loop: Header=BB6_21110 Depth=2
	s_or_b32 exec_lo, exec_lo, s27
.LBB6_21773:                            ;   in Loop: Header=BB6_21110 Depth=2
	s_delay_alu instid0(SALU_CYCLE_1)
	s_or_b32 exec_lo, exec_lo, s11
.LBB6_21774:                            ;   in Loop: Header=BB6_21110 Depth=2
	s_delay_alu instid0(SALU_CYCLE_1) | instskip(NEXT) | instid1(VALU_DEP_1)
	s_or_b32 exec_lo, exec_lo, s10
	v_dual_mul_f32 v0, s26, v4 :: v_dual_mov_b32 v5, v55
                                        ; implicit-def: $vgpr34
	s_mov_b32 s10, exec_lo
	s_delay_alu instid0(VALU_DEP_1) | instskip(SKIP_1) | instid1(VALU_DEP_2)
	v_and_b32_e32 v4, 0x7f800000, v0
	v_and_b32_e32 v54, 0x7fffff, v0
	v_cmpx_ne_u64_e32 0x7f800000, v[4:5]
	s_xor_b32 s11, exec_lo, s10
	s_cbranch_execz .LBB6_21792
; %bb.21775:                            ;   in Loop: Header=BB6_21110 Depth=2
	v_dual_mov_b32 v5, v55 :: v_dual_lshrrev_b32 v1, 24, v0
	v_and_b32_e32 v4, 0x7fffffff, v0
                                        ; implicit-def: $vgpr34
	s_mov_b32 s10, exec_lo
	s_delay_alu instid0(VALU_DEP_2) | instskip(NEXT) | instid1(VALU_DEP_2)
	v_and_b32_e32 v35, 0x80, v1
	v_cmpx_gt_u64_e32 0x47600001, v[4:5]
	s_xor_b32 s27, exec_lo, s10
	s_cbranch_execz .LBB6_21789
; %bb.21776:                            ;   in Loop: Header=BB6_21110 Depth=2
	v_mov_b32_e32 v34, 0
	s_mov_b32 s28, exec_lo
	v_cmpx_ne_u32_e32 0, v0
	s_cbranch_execz .LBB6_21788
; %bb.21777:                            ;   in Loop: Header=BB6_21110 Depth=2
	v_bfe_u32 v34, v0, 23, 8
	v_or_b32_e32 v4, 0x800000, v54
	s_mov_b32 s29, exec_lo
	s_delay_alu instid0(VALU_DEP_2) | instskip(SKIP_1) | instid1(VALU_DEP_2)
	v_dual_mov_b32 v5, v55 :: v_dual_sub_nc_u32 v0, 0x71, v34
	v_cmp_gt_u32_e32 vcc_lo, 0x72, v34
	v_cndmask_b32_e32 v0, 0, v0, vcc_lo
	v_cmp_eq_u32_e32 vcc_lo, 0, v34
	v_cndmask_b32_e32 v4, v4, v54, vcc_lo
	s_delay_alu instid0(VALU_DEP_3) | instskip(NEXT) | instid1(VALU_DEP_1)
	v_cndmask_b32_e64 v36, v0, 0x70, vcc_lo
	v_dual_add_nc_u32 v0, 21, v36 :: v_dual_add_nc_u32 v37, 20, v36
	s_delay_alu instid0(VALU_DEP_1) | instskip(NEXT) | instid1(VALU_DEP_2)
	v_lshlrev_b64_e64 v[0:1], v0, -1
	v_lshlrev_b64_e64 v[38:39], v37, 1
	s_delay_alu instid0(VALU_DEP_2) | instskip(NEXT) | instid1(VALU_DEP_3)
	v_bfi_b32 v49, v1, 0, 0
	v_bfi_b32 v48, v0, 0, v4
	v_lshrrev_b64 v[0:1], v36, v[4:5]
	s_delay_alu instid0(VALU_DEP_1) | instskip(NEXT) | instid1(VALU_DEP_3)
	v_mov_b64_e32 v[4:5], v[0:1]
	v_cmpx_eq_u64_e64 v[48:49], v[38:39]
; %bb.21778:                            ;   in Loop: Header=BB6_21110 Depth=2
	v_bfe_u32 v4, v0, 21, 1
	v_mov_b32_e32 v5, v55
	s_delay_alu instid0(VALU_DEP_1) | instskip(NEXT) | instid1(VALU_DEP_1)
	v_add_nc_u64_e32 v[4:5], v[0:1], v[4:5]
	v_add_nc_u64_e32 v[4:5], -1, v[4:5]
; %bb.21779:                            ;   in Loop: Header=BB6_21110 Depth=2
	s_or_b32 exec_lo, exec_lo, s29
	v_add_nc_u32_e32 v1, 0xffffff81, v34
	s_delay_alu instid0(VALU_DEP_2) | instskip(SKIP_2) | instid1(VALU_DEP_3)
	v_and_b32_e32 v4, 0x1fffff, v4
	v_lshrrev_b32_e32 v5, 23, v0
	s_mov_b32 s10, exec_lo
	v_cndmask_b32_e64 v1, v1, 0xffffff82, vcc_lo
	s_delay_alu instid0(VALU_DEP_3) | instskip(NEXT) | instid1(VALU_DEP_2)
	v_add_nc_u32_e32 v54, v4, v0
                                        ; implicit-def: $vgpr4
	v_add3_u32 v5, v36, v1, v5
                                        ; implicit-def: $vgpr0_vgpr1
	s_delay_alu instid0(VALU_DEP_1) | instskip(NEXT) | instid1(VALU_DEP_1)
	v_add_nc_u32_e32 v34, 14, v5
	v_cmpx_ne_u32_e32 0, v34
	s_xor_b32 s10, exec_lo, s10
; %bb.21780:                            ;   in Loop: Header=BB6_21110 Depth=2
	v_cmp_lt_u64_e32 vcc_lo, 0xffffff, v[54:55]
	v_add_nc_u32_e32 v0, 15, v5
	s_delay_alu instid0(VALU_DEP_1) | instskip(SKIP_1) | instid1(VALU_DEP_1)
	v_cndmask_b32_e32 v4, v34, v0, vcc_lo
	v_cndmask_b32_e64 v0, 0, 1, vcc_lo
	v_lshrrev_b64 v[0:1], v0, v[54:55]
; %bb.21781:                            ;   in Loop: Header=BB6_21110 Depth=2
	s_and_not1_saveexec_b32 s10, s10
; %bb.21782:                            ;   in Loop: Header=BB6_21110 Depth=2
	v_mov_b64_e32 v[0:1], v[54:55]
	v_bfe_u32 v4, v54, 23, 1
; %bb.21783:                            ;   in Loop: Header=BB6_21110 Depth=2
	s_or_b32 exec_lo, exec_lo, s10
	s_delay_alu instid0(VALU_DEP_2) | instskip(NEXT) | instid1(VALU_DEP_2)
	v_lshrrev_b64 v[0:1], 21, v[0:1]
	v_cmp_gt_i32_e32 vcc_lo, 32, v4
	v_cmp_ne_u32_e64 s10, 0, v4
                                        ; implicit-def: $vgpr34
	s_delay_alu instid0(VALU_DEP_3) | instskip(NEXT) | instid1(VALU_DEP_1)
	v_dual_cndmask_b32 v1, 0, v1 :: v_dual_cndmask_b32 v0, 3, v0
	v_cmp_ne_u64_e32 vcc_lo, 0, v[0:1]
	s_or_b32 s10, s10, vcc_lo
	s_delay_alu instid0(SALU_CYCLE_1) | instskip(NEXT) | instid1(SALU_CYCLE_1)
	s_and_saveexec_b32 s29, s10
	s_xor_b32 s10, exec_lo, s29
; %bb.21784:                            ;   in Loop: Header=BB6_21110 Depth=2
	v_min_i32_e32 v1, 31, v4
	s_delay_alu instid0(VALU_DEP_1) | instskip(NEXT) | instid1(VALU_DEP_1)
	v_lshl_or_b32 v1, v1, 2, v35
                                        ; implicit-def: $vgpr35
	v_and_or_b32 v34, v0, 3, v1
; %bb.21785:                            ;   in Loop: Header=BB6_21110 Depth=2
	s_and_not1_saveexec_b32 s10, s10
; %bb.21786:                            ;   in Loop: Header=BB6_21110 Depth=2
	v_mov_b32_e32 v34, v35
; %bb.21787:                            ;   in Loop: Header=BB6_21110 Depth=2
	s_or_b32 exec_lo, exec_lo, s10
.LBB6_21788:                            ;   in Loop: Header=BB6_21110 Depth=2
	s_delay_alu instid0(SALU_CYCLE_1)
	s_or_b32 exec_lo, exec_lo, s28
                                        ; implicit-def: $vgpr35
.LBB6_21789:                            ;   in Loop: Header=BB6_21110 Depth=2
	s_and_not1_saveexec_b32 s10, s27
; %bb.21790:                            ;   in Loop: Header=BB6_21110 Depth=2
	v_or_b32_e32 v34, 0x7b, v35
; %bb.21791:                            ;   in Loop: Header=BB6_21110 Depth=2
	s_or_b32 exec_lo, exec_lo, s10
                                        ; implicit-def: $vgpr0
.LBB6_21792:                            ;   in Loop: Header=BB6_21110 Depth=2
	s_and_not1_saveexec_b32 s10, s11
	s_cbranch_execz .LBB6_21798
; %bb.21793:                            ;   in Loop: Header=BB6_21110 Depth=2
	s_mov_b32 s11, exec_lo
                                        ; implicit-def: $vgpr34
	v_cmpx_ne_u64_e32 0, v[54:55]
	s_xor_b32 s11, exec_lo, s11
; %bb.21794:                            ;   in Loop: Header=BB6_21110 Depth=2
	v_lshrrev_b32_e32 v0, 24, v0
	s_delay_alu instid0(VALU_DEP_1)
	v_or_b32_e32 v34, 0x7f, v0
                                        ; implicit-def: $vgpr0
; %bb.21795:                            ;   in Loop: Header=BB6_21110 Depth=2
	s_and_not1_saveexec_b32 s11, s11
; %bb.21796:                            ;   in Loop: Header=BB6_21110 Depth=2
	v_cmp_lt_i32_e32 vcc_lo, -1, v0
	v_cndmask_b32_e64 v34, -4, 0x7c, vcc_lo
; %bb.21797:                            ;   in Loop: Header=BB6_21110 Depth=2
	s_or_b32 exec_lo, exec_lo, s11
.LBB6_21798:                            ;   in Loop: Header=BB6_21110 Depth=2
	s_delay_alu instid0(SALU_CYCLE_1)
	s_or_b32 exec_lo, exec_lo, s10
	flat_load_i8 v0, v[10:11] offset:640 th:TH_LOAD_NT
	v_mov_b32_e32 v4, 0
	s_mov_b32 s10, exec_lo
	s_wait_loadcnt_dscnt 0x0
	v_cmpx_ne_u16_e32 0, v0
	s_cbranch_execz .LBB6_21808
; %bb.21799:                            ;   in Loop: Header=BB6_21110 Depth=2
	v_bfrev_b32_e32 v4, 1
	s_mov_b32 s11, exec_lo
	v_cmpx_ne_u16_e32 0xff80, v0
	s_cbranch_execz .LBB6_21807
; %bb.21800:                            ;   in Loop: Header=BB6_21110 Depth=2
	v_and_b32_e32 v4, 0x7c, v0
	v_and_b32_e32 v1, 3, v0
	s_delay_alu instid0(VALU_DEP_2) | instskip(SKIP_1) | instid1(SALU_CYCLE_1)
	v_cmp_ne_u32_e32 vcc_lo, 0x7c, v4
                                        ; implicit-def: $vgpr4
	s_and_saveexec_b32 s27, vcc_lo
	s_xor_b32 s27, exec_lo, s27
	s_cbranch_execz .LBB6_21804
; %bb.21801:                            ;   in Loop: Header=BB6_21110 Depth=2
	v_and_b32_e32 v4, 0xff, v0
	s_mov_b32 s28, exec_lo
	s_delay_alu instid0(VALU_DEP_1) | instskip(NEXT) | instid1(VALU_DEP_1)
	v_bfe_u32 v4, v4, 2, 5
	v_cmpx_eq_u32_e32 0, v4
	s_cbranch_execz .LBB6_21803
; %bb.21802:                            ;   in Loop: Header=BB6_21110 Depth=2
	v_clz_i32_u32_e32 v1, v1
	s_delay_alu instid0(VALU_DEP_1) | instskip(SKIP_1) | instid1(VALU_DEP_2)
	v_min_u32_e32 v4, 32, v1
	v_mov_b32_e32 v1, v55
	v_subrev_nc_u32_e32 v5, 29, v4
	v_sub_nc_u32_e32 v4, 30, v4
	s_delay_alu instid0(VALU_DEP_2) | instskip(NEXT) | instid1(VALU_DEP_1)
	v_lshlrev_b64_e32 v[36:37], v5, v[0:1]
	v_and_b32_e32 v1, 3, v36
.LBB6_21803:                            ;   in Loop: Header=BB6_21110 Depth=2
	s_or_b32 exec_lo, exec_lo, s28
	v_bfe_i32 v0, v0, 0, 16
	s_delay_alu instid0(VALU_DEP_1) | instskip(NEXT) | instid1(VALU_DEP_1)
	v_and_b32_e32 v0, 0x80000000, v0
	v_lshl_add_u32 v0, v4, 23, v0
	s_delay_alu instid0(VALU_DEP_1) | instskip(NEXT) | instid1(VALU_DEP_1)
	v_lshl_or_b32 v0, v1, 21, v0
                                        ; implicit-def: $vgpr1
	v_add_nc_u32_e32 v4, 0x38000000, v0
                                        ; implicit-def: $vgpr0
.LBB6_21804:                            ;   in Loop: Header=BB6_21110 Depth=2
	s_and_not1_saveexec_b32 s27, s27
; %bb.21805:                            ;   in Loop: Header=BB6_21110 Depth=2
	v_cmp_lt_i16_e32 vcc_lo, -1, v0
	v_cndmask_b32_e32 v0, 0xff800000, v29, vcc_lo
	v_cmp_eq_u32_e32 vcc_lo, 0, v1
	s_delay_alu instid0(VALU_DEP_2)
	v_cndmask_b32_e32 v4, 0x7f800001, v0, vcc_lo
; %bb.21806:                            ;   in Loop: Header=BB6_21110 Depth=2
	s_or_b32 exec_lo, exec_lo, s27
.LBB6_21807:                            ;   in Loop: Header=BB6_21110 Depth=2
	s_delay_alu instid0(SALU_CYCLE_1)
	s_or_b32 exec_lo, exec_lo, s11
.LBB6_21808:                            ;   in Loop: Header=BB6_21110 Depth=2
	s_delay_alu instid0(SALU_CYCLE_1) | instskip(NEXT) | instid1(VALU_DEP_1)
	s_or_b32 exec_lo, exec_lo, s10
	v_dual_mul_f32 v0, s26, v4 :: v_dual_mov_b32 v5, v55
                                        ; implicit-def: $vgpr35
	s_mov_b32 s10, exec_lo
	s_delay_alu instid0(VALU_DEP_1) | instskip(SKIP_1) | instid1(VALU_DEP_2)
	v_and_b32_e32 v4, 0x7f800000, v0
	v_and_b32_e32 v54, 0x7fffff, v0
	v_cmpx_ne_u64_e32 0x7f800000, v[4:5]
	s_xor_b32 s11, exec_lo, s10
	s_cbranch_execz .LBB6_21826
; %bb.21809:                            ;   in Loop: Header=BB6_21110 Depth=2
	v_dual_mov_b32 v5, v55 :: v_dual_lshrrev_b32 v1, 24, v0
	v_and_b32_e32 v4, 0x7fffffff, v0
                                        ; implicit-def: $vgpr35
	s_mov_b32 s10, exec_lo
	s_delay_alu instid0(VALU_DEP_2) | instskip(NEXT) | instid1(VALU_DEP_2)
	v_and_b32_e32 v36, 0x80, v1
	v_cmpx_gt_u64_e32 0x47600001, v[4:5]
	s_xor_b32 s27, exec_lo, s10
	s_cbranch_execz .LBB6_21823
; %bb.21810:                            ;   in Loop: Header=BB6_21110 Depth=2
	v_mov_b32_e32 v35, 0
	s_mov_b32 s28, exec_lo
	v_cmpx_ne_u32_e32 0, v0
	s_cbranch_execz .LBB6_21822
; %bb.21811:                            ;   in Loop: Header=BB6_21110 Depth=2
	v_bfe_u32 v35, v0, 23, 8
	v_or_b32_e32 v4, 0x800000, v54
	s_mov_b32 s29, exec_lo
	s_delay_alu instid0(VALU_DEP_2) | instskip(SKIP_1) | instid1(VALU_DEP_2)
	v_dual_mov_b32 v5, v55 :: v_dual_sub_nc_u32 v0, 0x71, v35
	v_cmp_gt_u32_e32 vcc_lo, 0x72, v35
	v_cndmask_b32_e32 v0, 0, v0, vcc_lo
	v_cmp_eq_u32_e32 vcc_lo, 0, v35
	s_delay_alu instid0(VALU_DEP_2) | instskip(NEXT) | instid1(VALU_DEP_1)
	v_cndmask_b32_e64 v37, v0, 0x70, vcc_lo
	v_dual_cndmask_b32 v4, v4, v54, vcc_lo :: v_dual_add_nc_u32 v0, 21, v37
	v_add_nc_u32_e32 v38, 20, v37
	s_delay_alu instid0(VALU_DEP_2) | instskip(NEXT) | instid1(VALU_DEP_2)
	v_lshlrev_b64_e64 v[0:1], v0, -1
	v_lshlrev_b64_e64 v[38:39], v38, 1
	s_delay_alu instid0(VALU_DEP_2) | instskip(NEXT) | instid1(VALU_DEP_3)
	v_bfi_b32 v49, v1, 0, 0
	v_bfi_b32 v48, v0, 0, v4
	v_lshrrev_b64 v[0:1], v37, v[4:5]
	s_delay_alu instid0(VALU_DEP_1) | instskip(NEXT) | instid1(VALU_DEP_3)
	v_mov_b64_e32 v[4:5], v[0:1]
	v_cmpx_eq_u64_e64 v[48:49], v[38:39]
; %bb.21812:                            ;   in Loop: Header=BB6_21110 Depth=2
	v_bfe_u32 v4, v0, 21, 1
	v_mov_b32_e32 v5, v55
	s_delay_alu instid0(VALU_DEP_1) | instskip(NEXT) | instid1(VALU_DEP_1)
	v_add_nc_u64_e32 v[4:5], v[0:1], v[4:5]
	v_add_nc_u64_e32 v[4:5], -1, v[4:5]
; %bb.21813:                            ;   in Loop: Header=BB6_21110 Depth=2
	s_or_b32 exec_lo, exec_lo, s29
	v_add_nc_u32_e32 v1, 0xffffff81, v35
	s_delay_alu instid0(VALU_DEP_2) | instskip(SKIP_2) | instid1(VALU_DEP_3)
	v_and_b32_e32 v4, 0x1fffff, v4
	v_lshrrev_b32_e32 v5, 23, v0
	s_mov_b32 s10, exec_lo
	v_cndmask_b32_e64 v1, v1, 0xffffff82, vcc_lo
	s_delay_alu instid0(VALU_DEP_3) | instskip(NEXT) | instid1(VALU_DEP_2)
	v_add_nc_u32_e32 v54, v4, v0
                                        ; implicit-def: $vgpr4
	v_add3_u32 v5, v37, v1, v5
                                        ; implicit-def: $vgpr0_vgpr1
	s_delay_alu instid0(VALU_DEP_1) | instskip(NEXT) | instid1(VALU_DEP_1)
	v_add_nc_u32_e32 v35, 14, v5
	v_cmpx_ne_u32_e32 0, v35
	s_xor_b32 s10, exec_lo, s10
; %bb.21814:                            ;   in Loop: Header=BB6_21110 Depth=2
	v_cmp_lt_u64_e32 vcc_lo, 0xffffff, v[54:55]
	v_add_nc_u32_e32 v0, 15, v5
	s_delay_alu instid0(VALU_DEP_1) | instskip(SKIP_1) | instid1(VALU_DEP_1)
	v_cndmask_b32_e32 v4, v35, v0, vcc_lo
	v_cndmask_b32_e64 v0, 0, 1, vcc_lo
	v_lshrrev_b64 v[0:1], v0, v[54:55]
; %bb.21815:                            ;   in Loop: Header=BB6_21110 Depth=2
	s_and_not1_saveexec_b32 s10, s10
; %bb.21816:                            ;   in Loop: Header=BB6_21110 Depth=2
	v_mov_b64_e32 v[0:1], v[54:55]
	v_bfe_u32 v4, v54, 23, 1
; %bb.21817:                            ;   in Loop: Header=BB6_21110 Depth=2
	s_or_b32 exec_lo, exec_lo, s10
	s_delay_alu instid0(VALU_DEP_2) | instskip(NEXT) | instid1(VALU_DEP_2)
	v_lshrrev_b64 v[0:1], 21, v[0:1]
	v_cmp_gt_i32_e32 vcc_lo, 32, v4
	v_cmp_ne_u32_e64 s10, 0, v4
                                        ; implicit-def: $vgpr35
	s_delay_alu instid0(VALU_DEP_3) | instskip(NEXT) | instid1(VALU_DEP_1)
	v_dual_cndmask_b32 v1, 0, v1 :: v_dual_cndmask_b32 v0, 3, v0
	v_cmp_ne_u64_e32 vcc_lo, 0, v[0:1]
	s_or_b32 s10, s10, vcc_lo
	s_delay_alu instid0(SALU_CYCLE_1) | instskip(NEXT) | instid1(SALU_CYCLE_1)
	s_and_saveexec_b32 s29, s10
	s_xor_b32 s10, exec_lo, s29
; %bb.21818:                            ;   in Loop: Header=BB6_21110 Depth=2
	v_min_i32_e32 v1, 31, v4
	s_delay_alu instid0(VALU_DEP_1) | instskip(NEXT) | instid1(VALU_DEP_1)
	v_lshl_or_b32 v1, v1, 2, v36
                                        ; implicit-def: $vgpr36
	v_and_or_b32 v35, v0, 3, v1
; %bb.21819:                            ;   in Loop: Header=BB6_21110 Depth=2
	s_and_not1_saveexec_b32 s10, s10
; %bb.21820:                            ;   in Loop: Header=BB6_21110 Depth=2
	v_mov_b32_e32 v35, v36
; %bb.21821:                            ;   in Loop: Header=BB6_21110 Depth=2
	s_or_b32 exec_lo, exec_lo, s10
.LBB6_21822:                            ;   in Loop: Header=BB6_21110 Depth=2
	s_delay_alu instid0(SALU_CYCLE_1)
	s_or_b32 exec_lo, exec_lo, s28
                                        ; implicit-def: $vgpr36
.LBB6_21823:                            ;   in Loop: Header=BB6_21110 Depth=2
	s_and_not1_saveexec_b32 s10, s27
; %bb.21824:                            ;   in Loop: Header=BB6_21110 Depth=2
	v_or_b32_e32 v35, 0x7b, v36
; %bb.21825:                            ;   in Loop: Header=BB6_21110 Depth=2
	s_or_b32 exec_lo, exec_lo, s10
                                        ; implicit-def: $vgpr0
.LBB6_21826:                            ;   in Loop: Header=BB6_21110 Depth=2
	s_and_not1_saveexec_b32 s10, s11
	s_cbranch_execz .LBB6_21832
; %bb.21827:                            ;   in Loop: Header=BB6_21110 Depth=2
	s_mov_b32 s11, exec_lo
                                        ; implicit-def: $vgpr35
	v_cmpx_ne_u64_e32 0, v[54:55]
	s_xor_b32 s11, exec_lo, s11
; %bb.21828:                            ;   in Loop: Header=BB6_21110 Depth=2
	v_lshrrev_b32_e32 v0, 24, v0
	s_delay_alu instid0(VALU_DEP_1)
	v_or_b32_e32 v35, 0x7f, v0
                                        ; implicit-def: $vgpr0
; %bb.21829:                            ;   in Loop: Header=BB6_21110 Depth=2
	s_and_not1_saveexec_b32 s11, s11
; %bb.21830:                            ;   in Loop: Header=BB6_21110 Depth=2
	v_cmp_lt_i32_e32 vcc_lo, -1, v0
	v_cndmask_b32_e64 v35, -4, 0x7c, vcc_lo
; %bb.21831:                            ;   in Loop: Header=BB6_21110 Depth=2
	s_or_b32 exec_lo, exec_lo, s11
.LBB6_21832:                            ;   in Loop: Header=BB6_21110 Depth=2
	s_delay_alu instid0(SALU_CYCLE_1)
	s_or_b32 exec_lo, exec_lo, s10
	flat_load_i8 v0, v[10:11] offset:672 th:TH_LOAD_NT
	v_mov_b32_e32 v4, 0
	s_mov_b32 s10, exec_lo
	s_wait_loadcnt_dscnt 0x0
	v_cmpx_ne_u16_e32 0, v0
	s_cbranch_execz .LBB6_21842
; %bb.21833:                            ;   in Loop: Header=BB6_21110 Depth=2
	v_bfrev_b32_e32 v4, 1
	s_mov_b32 s11, exec_lo
	v_cmpx_ne_u16_e32 0xff80, v0
	s_cbranch_execz .LBB6_21841
; %bb.21834:                            ;   in Loop: Header=BB6_21110 Depth=2
	v_and_b32_e32 v4, 0x7c, v0
	v_and_b32_e32 v1, 3, v0
	s_delay_alu instid0(VALU_DEP_2) | instskip(SKIP_1) | instid1(SALU_CYCLE_1)
	v_cmp_ne_u32_e32 vcc_lo, 0x7c, v4
                                        ; implicit-def: $vgpr4
	s_and_saveexec_b32 s27, vcc_lo
	s_xor_b32 s27, exec_lo, s27
	s_cbranch_execz .LBB6_21838
; %bb.21835:                            ;   in Loop: Header=BB6_21110 Depth=2
	v_and_b32_e32 v4, 0xff, v0
	s_mov_b32 s28, exec_lo
	s_delay_alu instid0(VALU_DEP_1) | instskip(NEXT) | instid1(VALU_DEP_1)
	v_bfe_u32 v4, v4, 2, 5
	v_cmpx_eq_u32_e32 0, v4
	s_cbranch_execz .LBB6_21837
; %bb.21836:                            ;   in Loop: Header=BB6_21110 Depth=2
	v_clz_i32_u32_e32 v1, v1
	s_delay_alu instid0(VALU_DEP_1) | instskip(SKIP_1) | instid1(VALU_DEP_2)
	v_min_u32_e32 v4, 32, v1
	v_mov_b32_e32 v1, v55
	v_subrev_nc_u32_e32 v5, 29, v4
	v_sub_nc_u32_e32 v4, 30, v4
	s_delay_alu instid0(VALU_DEP_2) | instskip(NEXT) | instid1(VALU_DEP_1)
	v_lshlrev_b64_e32 v[36:37], v5, v[0:1]
	v_and_b32_e32 v1, 3, v36
.LBB6_21837:                            ;   in Loop: Header=BB6_21110 Depth=2
	s_or_b32 exec_lo, exec_lo, s28
	v_bfe_i32 v0, v0, 0, 16
	s_delay_alu instid0(VALU_DEP_1) | instskip(NEXT) | instid1(VALU_DEP_1)
	v_and_b32_e32 v0, 0x80000000, v0
	v_lshl_add_u32 v0, v4, 23, v0
	s_delay_alu instid0(VALU_DEP_1) | instskip(NEXT) | instid1(VALU_DEP_1)
	v_lshl_or_b32 v0, v1, 21, v0
                                        ; implicit-def: $vgpr1
	v_add_nc_u32_e32 v4, 0x38000000, v0
                                        ; implicit-def: $vgpr0
.LBB6_21838:                            ;   in Loop: Header=BB6_21110 Depth=2
	s_and_not1_saveexec_b32 s27, s27
; %bb.21839:                            ;   in Loop: Header=BB6_21110 Depth=2
	v_cmp_lt_i16_e32 vcc_lo, -1, v0
	v_cndmask_b32_e32 v0, 0xff800000, v29, vcc_lo
	v_cmp_eq_u32_e32 vcc_lo, 0, v1
	s_delay_alu instid0(VALU_DEP_2)
	v_cndmask_b32_e32 v4, 0x7f800001, v0, vcc_lo
; %bb.21840:                            ;   in Loop: Header=BB6_21110 Depth=2
	s_or_b32 exec_lo, exec_lo, s27
.LBB6_21841:                            ;   in Loop: Header=BB6_21110 Depth=2
	s_delay_alu instid0(SALU_CYCLE_1)
	s_or_b32 exec_lo, exec_lo, s11
.LBB6_21842:                            ;   in Loop: Header=BB6_21110 Depth=2
	s_delay_alu instid0(SALU_CYCLE_1) | instskip(NEXT) | instid1(VALU_DEP_1)
	s_or_b32 exec_lo, exec_lo, s10
	v_dual_mul_f32 v0, s26, v4 :: v_dual_mov_b32 v5, v55
                                        ; implicit-def: $vgpr36
	s_mov_b32 s10, exec_lo
	s_delay_alu instid0(VALU_DEP_1) | instskip(SKIP_1) | instid1(VALU_DEP_2)
	v_and_b32_e32 v4, 0x7f800000, v0
	v_and_b32_e32 v54, 0x7fffff, v0
	v_cmpx_ne_u64_e32 0x7f800000, v[4:5]
	s_xor_b32 s11, exec_lo, s10
	s_cbranch_execz .LBB6_21860
; %bb.21843:                            ;   in Loop: Header=BB6_21110 Depth=2
	v_dual_mov_b32 v5, v55 :: v_dual_lshrrev_b32 v1, 24, v0
	v_and_b32_e32 v4, 0x7fffffff, v0
                                        ; implicit-def: $vgpr36
	s_mov_b32 s10, exec_lo
	s_delay_alu instid0(VALU_DEP_2) | instskip(NEXT) | instid1(VALU_DEP_2)
	v_and_b32_e32 v37, 0x80, v1
	v_cmpx_gt_u64_e32 0x47600001, v[4:5]
	s_xor_b32 s27, exec_lo, s10
	s_cbranch_execz .LBB6_21857
; %bb.21844:                            ;   in Loop: Header=BB6_21110 Depth=2
	v_mov_b32_e32 v36, 0
	s_mov_b32 s28, exec_lo
	v_cmpx_ne_u32_e32 0, v0
	s_cbranch_execz .LBB6_21856
; %bb.21845:                            ;   in Loop: Header=BB6_21110 Depth=2
	v_bfe_u32 v36, v0, 23, 8
	v_or_b32_e32 v4, 0x800000, v54
	s_mov_b32 s29, exec_lo
	s_delay_alu instid0(VALU_DEP_2) | instskip(SKIP_1) | instid1(VALU_DEP_2)
	v_dual_mov_b32 v5, v55 :: v_dual_sub_nc_u32 v0, 0x71, v36
	v_cmp_gt_u32_e32 vcc_lo, 0x72, v36
	v_cndmask_b32_e32 v0, 0, v0, vcc_lo
	v_cmp_eq_u32_e32 vcc_lo, 0, v36
	s_delay_alu instid0(VALU_DEP_2) | instskip(SKIP_1) | instid1(VALU_DEP_2)
	v_cndmask_b32_e64 v38, v0, 0x70, vcc_lo
	v_cndmask_b32_e32 v4, v4, v54, vcc_lo
	v_dual_add_nc_u32 v0, 21, v38 :: v_dual_add_nc_u32 v39, 20, v38
	s_delay_alu instid0(VALU_DEP_1) | instskip(NEXT) | instid1(VALU_DEP_2)
	v_lshlrev_b64_e64 v[0:1], v0, -1
	v_lshlrev_b64_e64 v[48:49], v39, 1
	s_delay_alu instid0(VALU_DEP_2) | instskip(NEXT) | instid1(VALU_DEP_3)
	v_bfi_b32 v51, v1, 0, 0
	v_bfi_b32 v50, v0, 0, v4
	v_lshrrev_b64 v[0:1], v38, v[4:5]
	s_delay_alu instid0(VALU_DEP_1) | instskip(NEXT) | instid1(VALU_DEP_3)
	v_mov_b64_e32 v[4:5], v[0:1]
	v_cmpx_eq_u64_e64 v[50:51], v[48:49]
; %bb.21846:                            ;   in Loop: Header=BB6_21110 Depth=2
	v_bfe_u32 v4, v0, 21, 1
	v_mov_b32_e32 v5, v55
	s_delay_alu instid0(VALU_DEP_1) | instskip(NEXT) | instid1(VALU_DEP_1)
	v_add_nc_u64_e32 v[4:5], v[0:1], v[4:5]
	v_add_nc_u64_e32 v[4:5], -1, v[4:5]
; %bb.21847:                            ;   in Loop: Header=BB6_21110 Depth=2
	s_or_b32 exec_lo, exec_lo, s29
	v_add_nc_u32_e32 v1, 0xffffff81, v36
	s_delay_alu instid0(VALU_DEP_2) | instskip(SKIP_2) | instid1(VALU_DEP_3)
	v_and_b32_e32 v4, 0x1fffff, v4
	v_lshrrev_b32_e32 v5, 23, v0
	s_mov_b32 s10, exec_lo
	v_cndmask_b32_e64 v1, v1, 0xffffff82, vcc_lo
	s_delay_alu instid0(VALU_DEP_3) | instskip(NEXT) | instid1(VALU_DEP_2)
	v_add_nc_u32_e32 v54, v4, v0
                                        ; implicit-def: $vgpr4
	v_add3_u32 v5, v38, v1, v5
                                        ; implicit-def: $vgpr0_vgpr1
	s_delay_alu instid0(VALU_DEP_1) | instskip(NEXT) | instid1(VALU_DEP_1)
	v_add_nc_u32_e32 v36, 14, v5
	v_cmpx_ne_u32_e32 0, v36
	s_xor_b32 s10, exec_lo, s10
; %bb.21848:                            ;   in Loop: Header=BB6_21110 Depth=2
	v_cmp_lt_u64_e32 vcc_lo, 0xffffff, v[54:55]
	v_add_nc_u32_e32 v0, 15, v5
	s_delay_alu instid0(VALU_DEP_1) | instskip(SKIP_1) | instid1(VALU_DEP_1)
	v_cndmask_b32_e32 v4, v36, v0, vcc_lo
	v_cndmask_b32_e64 v0, 0, 1, vcc_lo
	v_lshrrev_b64 v[0:1], v0, v[54:55]
; %bb.21849:                            ;   in Loop: Header=BB6_21110 Depth=2
	s_and_not1_saveexec_b32 s10, s10
; %bb.21850:                            ;   in Loop: Header=BB6_21110 Depth=2
	v_mov_b64_e32 v[0:1], v[54:55]
	v_bfe_u32 v4, v54, 23, 1
; %bb.21851:                            ;   in Loop: Header=BB6_21110 Depth=2
	s_or_b32 exec_lo, exec_lo, s10
	s_delay_alu instid0(VALU_DEP_2) | instskip(NEXT) | instid1(VALU_DEP_2)
	v_lshrrev_b64 v[0:1], 21, v[0:1]
	v_cmp_gt_i32_e32 vcc_lo, 32, v4
	v_cmp_ne_u32_e64 s10, 0, v4
                                        ; implicit-def: $vgpr36
	s_delay_alu instid0(VALU_DEP_3) | instskip(NEXT) | instid1(VALU_DEP_1)
	v_dual_cndmask_b32 v1, 0, v1 :: v_dual_cndmask_b32 v0, 3, v0
	v_cmp_ne_u64_e32 vcc_lo, 0, v[0:1]
	s_or_b32 s10, s10, vcc_lo
	s_delay_alu instid0(SALU_CYCLE_1) | instskip(NEXT) | instid1(SALU_CYCLE_1)
	s_and_saveexec_b32 s29, s10
	s_xor_b32 s10, exec_lo, s29
; %bb.21852:                            ;   in Loop: Header=BB6_21110 Depth=2
	v_min_i32_e32 v1, 31, v4
	s_delay_alu instid0(VALU_DEP_1) | instskip(NEXT) | instid1(VALU_DEP_1)
	v_lshl_or_b32 v1, v1, 2, v37
                                        ; implicit-def: $vgpr37
	v_and_or_b32 v36, v0, 3, v1
; %bb.21853:                            ;   in Loop: Header=BB6_21110 Depth=2
	s_and_not1_saveexec_b32 s10, s10
; %bb.21854:                            ;   in Loop: Header=BB6_21110 Depth=2
	v_mov_b32_e32 v36, v37
; %bb.21855:                            ;   in Loop: Header=BB6_21110 Depth=2
	s_or_b32 exec_lo, exec_lo, s10
.LBB6_21856:                            ;   in Loop: Header=BB6_21110 Depth=2
	s_delay_alu instid0(SALU_CYCLE_1)
	s_or_b32 exec_lo, exec_lo, s28
                                        ; implicit-def: $vgpr37
.LBB6_21857:                            ;   in Loop: Header=BB6_21110 Depth=2
	s_and_not1_saveexec_b32 s10, s27
; %bb.21858:                            ;   in Loop: Header=BB6_21110 Depth=2
	v_or_b32_e32 v36, 0x7b, v37
; %bb.21859:                            ;   in Loop: Header=BB6_21110 Depth=2
	s_or_b32 exec_lo, exec_lo, s10
                                        ; implicit-def: $vgpr0
.LBB6_21860:                            ;   in Loop: Header=BB6_21110 Depth=2
	s_and_not1_saveexec_b32 s10, s11
	s_cbranch_execz .LBB6_21866
; %bb.21861:                            ;   in Loop: Header=BB6_21110 Depth=2
	s_mov_b32 s11, exec_lo
                                        ; implicit-def: $vgpr36
	v_cmpx_ne_u64_e32 0, v[54:55]
	s_xor_b32 s11, exec_lo, s11
; %bb.21862:                            ;   in Loop: Header=BB6_21110 Depth=2
	v_lshrrev_b32_e32 v0, 24, v0
	s_delay_alu instid0(VALU_DEP_1)
	v_or_b32_e32 v36, 0x7f, v0
                                        ; implicit-def: $vgpr0
; %bb.21863:                            ;   in Loop: Header=BB6_21110 Depth=2
	s_and_not1_saveexec_b32 s11, s11
; %bb.21864:                            ;   in Loop: Header=BB6_21110 Depth=2
	v_cmp_lt_i32_e32 vcc_lo, -1, v0
	v_cndmask_b32_e64 v36, -4, 0x7c, vcc_lo
; %bb.21865:                            ;   in Loop: Header=BB6_21110 Depth=2
	s_or_b32 exec_lo, exec_lo, s11
.LBB6_21866:                            ;   in Loop: Header=BB6_21110 Depth=2
	s_delay_alu instid0(SALU_CYCLE_1)
	s_or_b32 exec_lo, exec_lo, s10
	flat_load_i8 v0, v[10:11] offset:704 th:TH_LOAD_NT
	v_mov_b32_e32 v4, 0
	s_mov_b32 s10, exec_lo
	s_wait_loadcnt_dscnt 0x0
	v_cmpx_ne_u16_e32 0, v0
	s_cbranch_execz .LBB6_21876
; %bb.21867:                            ;   in Loop: Header=BB6_21110 Depth=2
	v_bfrev_b32_e32 v4, 1
	s_mov_b32 s11, exec_lo
	v_cmpx_ne_u16_e32 0xff80, v0
	s_cbranch_execz .LBB6_21875
; %bb.21868:                            ;   in Loop: Header=BB6_21110 Depth=2
	v_and_b32_e32 v4, 0x7c, v0
	v_and_b32_e32 v1, 3, v0
	s_delay_alu instid0(VALU_DEP_2) | instskip(SKIP_1) | instid1(SALU_CYCLE_1)
	v_cmp_ne_u32_e32 vcc_lo, 0x7c, v4
                                        ; implicit-def: $vgpr4
	s_and_saveexec_b32 s27, vcc_lo
	s_xor_b32 s27, exec_lo, s27
	s_cbranch_execz .LBB6_21872
; %bb.21869:                            ;   in Loop: Header=BB6_21110 Depth=2
	v_and_b32_e32 v4, 0xff, v0
	s_mov_b32 s28, exec_lo
	s_delay_alu instid0(VALU_DEP_1) | instskip(NEXT) | instid1(VALU_DEP_1)
	v_bfe_u32 v4, v4, 2, 5
	v_cmpx_eq_u32_e32 0, v4
	s_cbranch_execz .LBB6_21871
; %bb.21870:                            ;   in Loop: Header=BB6_21110 Depth=2
	v_clz_i32_u32_e32 v1, v1
	s_delay_alu instid0(VALU_DEP_1) | instskip(SKIP_1) | instid1(VALU_DEP_2)
	v_min_u32_e32 v4, 32, v1
	v_mov_b32_e32 v1, v55
	v_subrev_nc_u32_e32 v5, 29, v4
	v_sub_nc_u32_e32 v4, 30, v4
	s_delay_alu instid0(VALU_DEP_2) | instskip(NEXT) | instid1(VALU_DEP_1)
	v_lshlrev_b64_e32 v[38:39], v5, v[0:1]
	v_and_b32_e32 v1, 3, v38
.LBB6_21871:                            ;   in Loop: Header=BB6_21110 Depth=2
	s_or_b32 exec_lo, exec_lo, s28
	v_bfe_i32 v0, v0, 0, 16
	s_delay_alu instid0(VALU_DEP_1) | instskip(NEXT) | instid1(VALU_DEP_1)
	v_and_b32_e32 v0, 0x80000000, v0
	v_lshl_add_u32 v0, v4, 23, v0
	s_delay_alu instid0(VALU_DEP_1) | instskip(NEXT) | instid1(VALU_DEP_1)
	v_lshl_or_b32 v0, v1, 21, v0
                                        ; implicit-def: $vgpr1
	v_add_nc_u32_e32 v4, 0x38000000, v0
                                        ; implicit-def: $vgpr0
.LBB6_21872:                            ;   in Loop: Header=BB6_21110 Depth=2
	s_and_not1_saveexec_b32 s27, s27
; %bb.21873:                            ;   in Loop: Header=BB6_21110 Depth=2
	v_cmp_lt_i16_e32 vcc_lo, -1, v0
	v_cndmask_b32_e32 v0, 0xff800000, v29, vcc_lo
	v_cmp_eq_u32_e32 vcc_lo, 0, v1
	s_delay_alu instid0(VALU_DEP_2)
	v_cndmask_b32_e32 v4, 0x7f800001, v0, vcc_lo
; %bb.21874:                            ;   in Loop: Header=BB6_21110 Depth=2
	s_or_b32 exec_lo, exec_lo, s27
.LBB6_21875:                            ;   in Loop: Header=BB6_21110 Depth=2
	s_delay_alu instid0(SALU_CYCLE_1)
	s_or_b32 exec_lo, exec_lo, s11
.LBB6_21876:                            ;   in Loop: Header=BB6_21110 Depth=2
	s_delay_alu instid0(SALU_CYCLE_1) | instskip(NEXT) | instid1(VALU_DEP_1)
	s_or_b32 exec_lo, exec_lo, s10
	v_dual_mul_f32 v0, s26, v4 :: v_dual_mov_b32 v5, v55
                                        ; implicit-def: $vgpr37
	s_mov_b32 s10, exec_lo
	s_delay_alu instid0(VALU_DEP_1) | instskip(SKIP_1) | instid1(VALU_DEP_2)
	v_and_b32_e32 v4, 0x7f800000, v0
	v_and_b32_e32 v54, 0x7fffff, v0
	v_cmpx_ne_u64_e32 0x7f800000, v[4:5]
	s_xor_b32 s11, exec_lo, s10
	s_cbranch_execz .LBB6_21894
; %bb.21877:                            ;   in Loop: Header=BB6_21110 Depth=2
	v_dual_mov_b32 v5, v55 :: v_dual_lshrrev_b32 v1, 24, v0
	v_and_b32_e32 v4, 0x7fffffff, v0
                                        ; implicit-def: $vgpr37
	s_mov_b32 s10, exec_lo
	s_delay_alu instid0(VALU_DEP_2) | instskip(NEXT) | instid1(VALU_DEP_2)
	v_and_b32_e32 v38, 0x80, v1
	v_cmpx_gt_u64_e32 0x47600001, v[4:5]
	s_xor_b32 s27, exec_lo, s10
	s_cbranch_execz .LBB6_21891
; %bb.21878:                            ;   in Loop: Header=BB6_21110 Depth=2
	v_mov_b32_e32 v37, 0
	s_mov_b32 s28, exec_lo
	v_cmpx_ne_u32_e32 0, v0
	s_cbranch_execz .LBB6_21890
; %bb.21879:                            ;   in Loop: Header=BB6_21110 Depth=2
	v_bfe_u32 v37, v0, 23, 8
	v_or_b32_e32 v4, 0x800000, v54
	s_mov_b32 s29, exec_lo
	s_delay_alu instid0(VALU_DEP_2) | instskip(SKIP_1) | instid1(VALU_DEP_2)
	v_dual_mov_b32 v5, v55 :: v_dual_sub_nc_u32 v0, 0x71, v37
	v_cmp_gt_u32_e32 vcc_lo, 0x72, v37
	v_cndmask_b32_e32 v0, 0, v0, vcc_lo
	v_cmp_eq_u32_e32 vcc_lo, 0, v37
	s_delay_alu instid0(VALU_DEP_2) | instskip(NEXT) | instid1(VALU_DEP_1)
	v_cndmask_b32_e64 v39, v0, 0x70, vcc_lo
	v_dual_cndmask_b32 v4, v4, v54, vcc_lo :: v_dual_add_nc_u32 v0, 21, v39
	v_add_nc_u32_e32 v48, 20, v39
	s_delay_alu instid0(VALU_DEP_2) | instskip(NEXT) | instid1(VALU_DEP_2)
	v_lshlrev_b64_e64 v[0:1], v0, -1
	v_lshlrev_b64_e64 v[48:49], v48, 1
	s_delay_alu instid0(VALU_DEP_2) | instskip(NEXT) | instid1(VALU_DEP_3)
	v_bfi_b32 v51, v1, 0, 0
	v_bfi_b32 v50, v0, 0, v4
	v_lshrrev_b64 v[0:1], v39, v[4:5]
	s_delay_alu instid0(VALU_DEP_1) | instskip(NEXT) | instid1(VALU_DEP_3)
	v_mov_b64_e32 v[4:5], v[0:1]
	v_cmpx_eq_u64_e64 v[50:51], v[48:49]
; %bb.21880:                            ;   in Loop: Header=BB6_21110 Depth=2
	v_bfe_u32 v4, v0, 21, 1
	v_mov_b32_e32 v5, v55
	s_delay_alu instid0(VALU_DEP_1) | instskip(NEXT) | instid1(VALU_DEP_1)
	v_add_nc_u64_e32 v[4:5], v[0:1], v[4:5]
	v_add_nc_u64_e32 v[4:5], -1, v[4:5]
; %bb.21881:                            ;   in Loop: Header=BB6_21110 Depth=2
	s_or_b32 exec_lo, exec_lo, s29
	v_add_nc_u32_e32 v1, 0xffffff81, v37
	s_delay_alu instid0(VALU_DEP_2) | instskip(SKIP_2) | instid1(VALU_DEP_3)
	v_and_b32_e32 v4, 0x1fffff, v4
	v_lshrrev_b32_e32 v5, 23, v0
	s_mov_b32 s10, exec_lo
	v_cndmask_b32_e64 v1, v1, 0xffffff82, vcc_lo
	s_delay_alu instid0(VALU_DEP_3) | instskip(NEXT) | instid1(VALU_DEP_2)
	v_add_nc_u32_e32 v54, v4, v0
                                        ; implicit-def: $vgpr4
	v_add3_u32 v5, v39, v1, v5
                                        ; implicit-def: $vgpr0_vgpr1
	s_delay_alu instid0(VALU_DEP_1) | instskip(NEXT) | instid1(VALU_DEP_1)
	v_add_nc_u32_e32 v37, 14, v5
	v_cmpx_ne_u32_e32 0, v37
	s_xor_b32 s10, exec_lo, s10
; %bb.21882:                            ;   in Loop: Header=BB6_21110 Depth=2
	v_cmp_lt_u64_e32 vcc_lo, 0xffffff, v[54:55]
	v_add_nc_u32_e32 v0, 15, v5
	s_delay_alu instid0(VALU_DEP_1) | instskip(SKIP_1) | instid1(VALU_DEP_1)
	v_cndmask_b32_e32 v4, v37, v0, vcc_lo
	v_cndmask_b32_e64 v0, 0, 1, vcc_lo
	v_lshrrev_b64 v[0:1], v0, v[54:55]
; %bb.21883:                            ;   in Loop: Header=BB6_21110 Depth=2
	s_and_not1_saveexec_b32 s10, s10
; %bb.21884:                            ;   in Loop: Header=BB6_21110 Depth=2
	v_mov_b64_e32 v[0:1], v[54:55]
	v_bfe_u32 v4, v54, 23, 1
; %bb.21885:                            ;   in Loop: Header=BB6_21110 Depth=2
	s_or_b32 exec_lo, exec_lo, s10
	s_delay_alu instid0(VALU_DEP_2) | instskip(NEXT) | instid1(VALU_DEP_2)
	v_lshrrev_b64 v[0:1], 21, v[0:1]
	v_cmp_gt_i32_e32 vcc_lo, 32, v4
	v_cmp_ne_u32_e64 s10, 0, v4
                                        ; implicit-def: $vgpr37
	s_delay_alu instid0(VALU_DEP_3) | instskip(NEXT) | instid1(VALU_DEP_1)
	v_dual_cndmask_b32 v1, 0, v1 :: v_dual_cndmask_b32 v0, 3, v0
	v_cmp_ne_u64_e32 vcc_lo, 0, v[0:1]
	s_or_b32 s10, s10, vcc_lo
	s_delay_alu instid0(SALU_CYCLE_1) | instskip(NEXT) | instid1(SALU_CYCLE_1)
	s_and_saveexec_b32 s29, s10
	s_xor_b32 s10, exec_lo, s29
; %bb.21886:                            ;   in Loop: Header=BB6_21110 Depth=2
	v_min_i32_e32 v1, 31, v4
	s_delay_alu instid0(VALU_DEP_1) | instskip(NEXT) | instid1(VALU_DEP_1)
	v_lshl_or_b32 v1, v1, 2, v38
                                        ; implicit-def: $vgpr38
	v_and_or_b32 v37, v0, 3, v1
; %bb.21887:                            ;   in Loop: Header=BB6_21110 Depth=2
	s_and_not1_saveexec_b32 s10, s10
; %bb.21888:                            ;   in Loop: Header=BB6_21110 Depth=2
	v_mov_b32_e32 v37, v38
; %bb.21889:                            ;   in Loop: Header=BB6_21110 Depth=2
	s_or_b32 exec_lo, exec_lo, s10
.LBB6_21890:                            ;   in Loop: Header=BB6_21110 Depth=2
	s_delay_alu instid0(SALU_CYCLE_1)
	s_or_b32 exec_lo, exec_lo, s28
                                        ; implicit-def: $vgpr38
.LBB6_21891:                            ;   in Loop: Header=BB6_21110 Depth=2
	s_and_not1_saveexec_b32 s10, s27
; %bb.21892:                            ;   in Loop: Header=BB6_21110 Depth=2
	v_or_b32_e32 v37, 0x7b, v38
; %bb.21893:                            ;   in Loop: Header=BB6_21110 Depth=2
	s_or_b32 exec_lo, exec_lo, s10
                                        ; implicit-def: $vgpr0
.LBB6_21894:                            ;   in Loop: Header=BB6_21110 Depth=2
	s_and_not1_saveexec_b32 s10, s11
	s_cbranch_execz .LBB6_21900
; %bb.21895:                            ;   in Loop: Header=BB6_21110 Depth=2
	s_mov_b32 s11, exec_lo
                                        ; implicit-def: $vgpr37
	v_cmpx_ne_u64_e32 0, v[54:55]
	s_xor_b32 s11, exec_lo, s11
; %bb.21896:                            ;   in Loop: Header=BB6_21110 Depth=2
	v_lshrrev_b32_e32 v0, 24, v0
	s_delay_alu instid0(VALU_DEP_1)
	v_or_b32_e32 v37, 0x7f, v0
                                        ; implicit-def: $vgpr0
; %bb.21897:                            ;   in Loop: Header=BB6_21110 Depth=2
	s_and_not1_saveexec_b32 s11, s11
; %bb.21898:                            ;   in Loop: Header=BB6_21110 Depth=2
	v_cmp_lt_i32_e32 vcc_lo, -1, v0
	v_cndmask_b32_e64 v37, -4, 0x7c, vcc_lo
; %bb.21899:                            ;   in Loop: Header=BB6_21110 Depth=2
	s_or_b32 exec_lo, exec_lo, s11
.LBB6_21900:                            ;   in Loop: Header=BB6_21110 Depth=2
	s_delay_alu instid0(SALU_CYCLE_1)
	s_or_b32 exec_lo, exec_lo, s10
	flat_load_i8 v0, v[10:11] offset:736 th:TH_LOAD_NT
	v_mov_b32_e32 v4, 0
	s_mov_b32 s10, exec_lo
	s_wait_loadcnt_dscnt 0x0
	v_cmpx_ne_u16_e32 0, v0
	s_cbranch_execz .LBB6_21910
; %bb.21901:                            ;   in Loop: Header=BB6_21110 Depth=2
	v_bfrev_b32_e32 v4, 1
	s_mov_b32 s11, exec_lo
	v_cmpx_ne_u16_e32 0xff80, v0
	s_cbranch_execz .LBB6_21909
; %bb.21902:                            ;   in Loop: Header=BB6_21110 Depth=2
	v_and_b32_e32 v4, 0x7c, v0
	v_and_b32_e32 v1, 3, v0
	s_delay_alu instid0(VALU_DEP_2) | instskip(SKIP_1) | instid1(SALU_CYCLE_1)
	v_cmp_ne_u32_e32 vcc_lo, 0x7c, v4
                                        ; implicit-def: $vgpr4
	s_and_saveexec_b32 s27, vcc_lo
	s_xor_b32 s27, exec_lo, s27
	s_cbranch_execz .LBB6_21906
; %bb.21903:                            ;   in Loop: Header=BB6_21110 Depth=2
	v_and_b32_e32 v4, 0xff, v0
	s_mov_b32 s28, exec_lo
	s_delay_alu instid0(VALU_DEP_1) | instskip(NEXT) | instid1(VALU_DEP_1)
	v_bfe_u32 v4, v4, 2, 5
	v_cmpx_eq_u32_e32 0, v4
	s_cbranch_execz .LBB6_21905
; %bb.21904:                            ;   in Loop: Header=BB6_21110 Depth=2
	v_clz_i32_u32_e32 v1, v1
	s_delay_alu instid0(VALU_DEP_1) | instskip(SKIP_1) | instid1(VALU_DEP_2)
	v_min_u32_e32 v4, 32, v1
	v_mov_b32_e32 v1, v55
	v_subrev_nc_u32_e32 v5, 29, v4
	v_sub_nc_u32_e32 v4, 30, v4
	s_delay_alu instid0(VALU_DEP_2) | instskip(NEXT) | instid1(VALU_DEP_1)
	v_lshlrev_b64_e32 v[38:39], v5, v[0:1]
	v_and_b32_e32 v1, 3, v38
.LBB6_21905:                            ;   in Loop: Header=BB6_21110 Depth=2
	s_or_b32 exec_lo, exec_lo, s28
	v_bfe_i32 v0, v0, 0, 16
	s_delay_alu instid0(VALU_DEP_1) | instskip(NEXT) | instid1(VALU_DEP_1)
	v_and_b32_e32 v0, 0x80000000, v0
	v_lshl_add_u32 v0, v4, 23, v0
	s_delay_alu instid0(VALU_DEP_1) | instskip(NEXT) | instid1(VALU_DEP_1)
	v_lshl_or_b32 v0, v1, 21, v0
                                        ; implicit-def: $vgpr1
	v_add_nc_u32_e32 v4, 0x38000000, v0
                                        ; implicit-def: $vgpr0
.LBB6_21906:                            ;   in Loop: Header=BB6_21110 Depth=2
	s_and_not1_saveexec_b32 s27, s27
; %bb.21907:                            ;   in Loop: Header=BB6_21110 Depth=2
	v_cmp_lt_i16_e32 vcc_lo, -1, v0
	v_cndmask_b32_e32 v0, 0xff800000, v29, vcc_lo
	v_cmp_eq_u32_e32 vcc_lo, 0, v1
	s_delay_alu instid0(VALU_DEP_2)
	v_cndmask_b32_e32 v4, 0x7f800001, v0, vcc_lo
; %bb.21908:                            ;   in Loop: Header=BB6_21110 Depth=2
	s_or_b32 exec_lo, exec_lo, s27
.LBB6_21909:                            ;   in Loop: Header=BB6_21110 Depth=2
	s_delay_alu instid0(SALU_CYCLE_1)
	s_or_b32 exec_lo, exec_lo, s11
.LBB6_21910:                            ;   in Loop: Header=BB6_21110 Depth=2
	s_delay_alu instid0(SALU_CYCLE_1) | instskip(NEXT) | instid1(VALU_DEP_1)
	s_or_b32 exec_lo, exec_lo, s10
	v_dual_mul_f32 v0, s26, v4 :: v_dual_mov_b32 v5, v55
                                        ; implicit-def: $vgpr38
	s_mov_b32 s10, exec_lo
	s_delay_alu instid0(VALU_DEP_1) | instskip(SKIP_1) | instid1(VALU_DEP_2)
	v_and_b32_e32 v4, 0x7f800000, v0
	v_and_b32_e32 v54, 0x7fffff, v0
	v_cmpx_ne_u64_e32 0x7f800000, v[4:5]
	s_xor_b32 s11, exec_lo, s10
	s_cbranch_execz .LBB6_21928
; %bb.21911:                            ;   in Loop: Header=BB6_21110 Depth=2
	v_dual_mov_b32 v5, v55 :: v_dual_lshrrev_b32 v1, 24, v0
	v_and_b32_e32 v4, 0x7fffffff, v0
                                        ; implicit-def: $vgpr38
	s_mov_b32 s10, exec_lo
	s_delay_alu instid0(VALU_DEP_2) | instskip(NEXT) | instid1(VALU_DEP_2)
	v_and_b32_e32 v39, 0x80, v1
	v_cmpx_gt_u64_e32 0x47600001, v[4:5]
	s_xor_b32 s27, exec_lo, s10
	s_cbranch_execz .LBB6_21925
; %bb.21912:                            ;   in Loop: Header=BB6_21110 Depth=2
	v_mov_b32_e32 v38, 0
	s_mov_b32 s28, exec_lo
	v_cmpx_ne_u32_e32 0, v0
	s_cbranch_execz .LBB6_21924
; %bb.21913:                            ;   in Loop: Header=BB6_21110 Depth=2
	v_bfe_u32 v38, v0, 23, 8
	v_or_b32_e32 v4, 0x800000, v54
	s_mov_b32 s29, exec_lo
	s_delay_alu instid0(VALU_DEP_2) | instskip(SKIP_1) | instid1(VALU_DEP_2)
	v_dual_mov_b32 v5, v55 :: v_dual_sub_nc_u32 v0, 0x71, v38
	v_cmp_gt_u32_e32 vcc_lo, 0x72, v38
	v_cndmask_b32_e32 v0, 0, v0, vcc_lo
	v_cmp_eq_u32_e32 vcc_lo, 0, v38
	v_cndmask_b32_e32 v4, v4, v54, vcc_lo
	s_delay_alu instid0(VALU_DEP_3) | instskip(NEXT) | instid1(VALU_DEP_1)
	v_cndmask_b32_e64 v48, v0, 0x70, vcc_lo
	v_dual_add_nc_u32 v0, 21, v48 :: v_dual_add_nc_u32 v49, 20, v48
	s_delay_alu instid0(VALU_DEP_1) | instskip(NEXT) | instid1(VALU_DEP_2)
	v_lshlrev_b64_e64 v[0:1], v0, -1
	v_lshlrev_b64_e64 v[50:51], v49, 1
	s_delay_alu instid0(VALU_DEP_2) | instskip(NEXT) | instid1(VALU_DEP_3)
	v_bfi_b32 v53, v1, 0, 0
	v_bfi_b32 v52, v0, 0, v4
	v_lshrrev_b64 v[0:1], v48, v[4:5]
	s_delay_alu instid0(VALU_DEP_1) | instskip(NEXT) | instid1(VALU_DEP_3)
	v_mov_b64_e32 v[4:5], v[0:1]
	v_cmpx_eq_u64_e64 v[52:53], v[50:51]
; %bb.21914:                            ;   in Loop: Header=BB6_21110 Depth=2
	v_bfe_u32 v4, v0, 21, 1
	v_mov_b32_e32 v5, v55
	s_delay_alu instid0(VALU_DEP_1) | instskip(NEXT) | instid1(VALU_DEP_1)
	v_add_nc_u64_e32 v[4:5], v[0:1], v[4:5]
	v_add_nc_u64_e32 v[4:5], -1, v[4:5]
; %bb.21915:                            ;   in Loop: Header=BB6_21110 Depth=2
	s_or_b32 exec_lo, exec_lo, s29
	v_add_nc_u32_e32 v1, 0xffffff81, v38
	s_delay_alu instid0(VALU_DEP_2) | instskip(SKIP_2) | instid1(VALU_DEP_3)
	v_and_b32_e32 v4, 0x1fffff, v4
	v_lshrrev_b32_e32 v5, 23, v0
	s_mov_b32 s10, exec_lo
	v_cndmask_b32_e64 v1, v1, 0xffffff82, vcc_lo
	s_delay_alu instid0(VALU_DEP_3) | instskip(NEXT) | instid1(VALU_DEP_2)
	v_add_nc_u32_e32 v54, v4, v0
                                        ; implicit-def: $vgpr4
	v_add3_u32 v5, v48, v1, v5
                                        ; implicit-def: $vgpr0_vgpr1
	s_delay_alu instid0(VALU_DEP_1) | instskip(NEXT) | instid1(VALU_DEP_1)
	v_add_nc_u32_e32 v38, 14, v5
	v_cmpx_ne_u32_e32 0, v38
	s_xor_b32 s10, exec_lo, s10
; %bb.21916:                            ;   in Loop: Header=BB6_21110 Depth=2
	v_cmp_lt_u64_e32 vcc_lo, 0xffffff, v[54:55]
	v_add_nc_u32_e32 v0, 15, v5
	s_delay_alu instid0(VALU_DEP_1) | instskip(SKIP_1) | instid1(VALU_DEP_1)
	v_cndmask_b32_e32 v4, v38, v0, vcc_lo
	v_cndmask_b32_e64 v0, 0, 1, vcc_lo
	v_lshrrev_b64 v[0:1], v0, v[54:55]
; %bb.21917:                            ;   in Loop: Header=BB6_21110 Depth=2
	s_and_not1_saveexec_b32 s10, s10
; %bb.21918:                            ;   in Loop: Header=BB6_21110 Depth=2
	v_mov_b64_e32 v[0:1], v[54:55]
	v_bfe_u32 v4, v54, 23, 1
; %bb.21919:                            ;   in Loop: Header=BB6_21110 Depth=2
	s_or_b32 exec_lo, exec_lo, s10
	s_delay_alu instid0(VALU_DEP_2) | instskip(NEXT) | instid1(VALU_DEP_2)
	v_lshrrev_b64 v[0:1], 21, v[0:1]
	v_cmp_gt_i32_e32 vcc_lo, 32, v4
	v_cmp_ne_u32_e64 s10, 0, v4
                                        ; implicit-def: $vgpr38
	s_delay_alu instid0(VALU_DEP_3) | instskip(NEXT) | instid1(VALU_DEP_1)
	v_dual_cndmask_b32 v1, 0, v1 :: v_dual_cndmask_b32 v0, 3, v0
	v_cmp_ne_u64_e32 vcc_lo, 0, v[0:1]
	s_or_b32 s10, s10, vcc_lo
	s_delay_alu instid0(SALU_CYCLE_1) | instskip(NEXT) | instid1(SALU_CYCLE_1)
	s_and_saveexec_b32 s29, s10
	s_xor_b32 s10, exec_lo, s29
; %bb.21920:                            ;   in Loop: Header=BB6_21110 Depth=2
	v_min_i32_e32 v1, 31, v4
	s_delay_alu instid0(VALU_DEP_1) | instskip(NEXT) | instid1(VALU_DEP_1)
	v_lshl_or_b32 v1, v1, 2, v39
                                        ; implicit-def: $vgpr39
	v_and_or_b32 v38, v0, 3, v1
; %bb.21921:                            ;   in Loop: Header=BB6_21110 Depth=2
	s_and_not1_saveexec_b32 s10, s10
; %bb.21922:                            ;   in Loop: Header=BB6_21110 Depth=2
	v_mov_b32_e32 v38, v39
; %bb.21923:                            ;   in Loop: Header=BB6_21110 Depth=2
	s_or_b32 exec_lo, exec_lo, s10
.LBB6_21924:                            ;   in Loop: Header=BB6_21110 Depth=2
	s_delay_alu instid0(SALU_CYCLE_1)
	s_or_b32 exec_lo, exec_lo, s28
                                        ; implicit-def: $vgpr39
.LBB6_21925:                            ;   in Loop: Header=BB6_21110 Depth=2
	s_and_not1_saveexec_b32 s10, s27
; %bb.21926:                            ;   in Loop: Header=BB6_21110 Depth=2
	v_or_b32_e32 v38, 0x7b, v39
; %bb.21927:                            ;   in Loop: Header=BB6_21110 Depth=2
	s_or_b32 exec_lo, exec_lo, s10
                                        ; implicit-def: $vgpr0
.LBB6_21928:                            ;   in Loop: Header=BB6_21110 Depth=2
	s_and_not1_saveexec_b32 s10, s11
	s_cbranch_execz .LBB6_21934
; %bb.21929:                            ;   in Loop: Header=BB6_21110 Depth=2
	s_mov_b32 s11, exec_lo
                                        ; implicit-def: $vgpr38
	v_cmpx_ne_u64_e32 0, v[54:55]
	s_xor_b32 s11, exec_lo, s11
; %bb.21930:                            ;   in Loop: Header=BB6_21110 Depth=2
	v_lshrrev_b32_e32 v0, 24, v0
	s_delay_alu instid0(VALU_DEP_1)
	v_or_b32_e32 v38, 0x7f, v0
                                        ; implicit-def: $vgpr0
; %bb.21931:                            ;   in Loop: Header=BB6_21110 Depth=2
	s_and_not1_saveexec_b32 s11, s11
; %bb.21932:                            ;   in Loop: Header=BB6_21110 Depth=2
	v_cmp_lt_i32_e32 vcc_lo, -1, v0
	v_cndmask_b32_e64 v38, -4, 0x7c, vcc_lo
; %bb.21933:                            ;   in Loop: Header=BB6_21110 Depth=2
	s_or_b32 exec_lo, exec_lo, s11
.LBB6_21934:                            ;   in Loop: Header=BB6_21110 Depth=2
	s_delay_alu instid0(SALU_CYCLE_1)
	s_or_b32 exec_lo, exec_lo, s10
	flat_load_i8 v0, v[10:11] offset:768 th:TH_LOAD_NT
	v_mov_b32_e32 v4, 0
	s_mov_b32 s10, exec_lo
	s_wait_loadcnt_dscnt 0x0
	v_cmpx_ne_u16_e32 0, v0
	s_cbranch_execz .LBB6_21944
; %bb.21935:                            ;   in Loop: Header=BB6_21110 Depth=2
	v_bfrev_b32_e32 v4, 1
	s_mov_b32 s11, exec_lo
	v_cmpx_ne_u16_e32 0xff80, v0
	s_cbranch_execz .LBB6_21943
; %bb.21936:                            ;   in Loop: Header=BB6_21110 Depth=2
	v_and_b32_e32 v4, 0x7c, v0
	v_and_b32_e32 v1, 3, v0
	s_delay_alu instid0(VALU_DEP_2) | instskip(SKIP_1) | instid1(SALU_CYCLE_1)
	v_cmp_ne_u32_e32 vcc_lo, 0x7c, v4
                                        ; implicit-def: $vgpr4
	s_and_saveexec_b32 s27, vcc_lo
	s_xor_b32 s27, exec_lo, s27
	s_cbranch_execz .LBB6_21940
; %bb.21937:                            ;   in Loop: Header=BB6_21110 Depth=2
	v_and_b32_e32 v4, 0xff, v0
	s_mov_b32 s28, exec_lo
	s_delay_alu instid0(VALU_DEP_1) | instskip(NEXT) | instid1(VALU_DEP_1)
	v_bfe_u32 v4, v4, 2, 5
	v_cmpx_eq_u32_e32 0, v4
	s_cbranch_execz .LBB6_21939
; %bb.21938:                            ;   in Loop: Header=BB6_21110 Depth=2
	v_clz_i32_u32_e32 v1, v1
	s_delay_alu instid0(VALU_DEP_1) | instskip(SKIP_1) | instid1(VALU_DEP_2)
	v_min_u32_e32 v4, 32, v1
	v_mov_b32_e32 v1, v55
	v_subrev_nc_u32_e32 v5, 29, v4
	v_sub_nc_u32_e32 v4, 30, v4
	s_delay_alu instid0(VALU_DEP_2) | instskip(NEXT) | instid1(VALU_DEP_1)
	v_lshlrev_b64_e32 v[48:49], v5, v[0:1]
	v_and_b32_e32 v1, 3, v48
.LBB6_21939:                            ;   in Loop: Header=BB6_21110 Depth=2
	s_or_b32 exec_lo, exec_lo, s28
	v_bfe_i32 v0, v0, 0, 16
	s_delay_alu instid0(VALU_DEP_1) | instskip(NEXT) | instid1(VALU_DEP_1)
	v_and_b32_e32 v0, 0x80000000, v0
	v_lshl_add_u32 v0, v4, 23, v0
	s_delay_alu instid0(VALU_DEP_1) | instskip(NEXT) | instid1(VALU_DEP_1)
	v_lshl_or_b32 v0, v1, 21, v0
                                        ; implicit-def: $vgpr1
	v_add_nc_u32_e32 v4, 0x38000000, v0
                                        ; implicit-def: $vgpr0
.LBB6_21940:                            ;   in Loop: Header=BB6_21110 Depth=2
	s_and_not1_saveexec_b32 s27, s27
; %bb.21941:                            ;   in Loop: Header=BB6_21110 Depth=2
	v_cmp_lt_i16_e32 vcc_lo, -1, v0
	v_cndmask_b32_e32 v0, 0xff800000, v29, vcc_lo
	v_cmp_eq_u32_e32 vcc_lo, 0, v1
	s_delay_alu instid0(VALU_DEP_2)
	v_cndmask_b32_e32 v4, 0x7f800001, v0, vcc_lo
; %bb.21942:                            ;   in Loop: Header=BB6_21110 Depth=2
	s_or_b32 exec_lo, exec_lo, s27
.LBB6_21943:                            ;   in Loop: Header=BB6_21110 Depth=2
	s_delay_alu instid0(SALU_CYCLE_1)
	s_or_b32 exec_lo, exec_lo, s11
.LBB6_21944:                            ;   in Loop: Header=BB6_21110 Depth=2
	s_delay_alu instid0(SALU_CYCLE_1) | instskip(NEXT) | instid1(VALU_DEP_1)
	s_or_b32 exec_lo, exec_lo, s10
	v_dual_mul_f32 v0, s26, v4 :: v_dual_mov_b32 v5, v55
                                        ; implicit-def: $vgpr39
	s_mov_b32 s10, exec_lo
	s_delay_alu instid0(VALU_DEP_1) | instskip(SKIP_1) | instid1(VALU_DEP_2)
	v_and_b32_e32 v4, 0x7f800000, v0
	v_and_b32_e32 v54, 0x7fffff, v0
	v_cmpx_ne_u64_e32 0x7f800000, v[4:5]
	s_xor_b32 s11, exec_lo, s10
	s_cbranch_execz .LBB6_21962
; %bb.21945:                            ;   in Loop: Header=BB6_21110 Depth=2
	v_dual_mov_b32 v5, v55 :: v_dual_lshrrev_b32 v1, 24, v0
	v_and_b32_e32 v4, 0x7fffffff, v0
                                        ; implicit-def: $vgpr39
	s_mov_b32 s10, exec_lo
	s_delay_alu instid0(VALU_DEP_2) | instskip(NEXT) | instid1(VALU_DEP_2)
	v_and_b32_e32 v48, 0x80, v1
	v_cmpx_gt_u64_e32 0x47600001, v[4:5]
	s_xor_b32 s27, exec_lo, s10
	s_cbranch_execz .LBB6_21959
; %bb.21946:                            ;   in Loop: Header=BB6_21110 Depth=2
	v_mov_b32_e32 v39, 0
	s_mov_b32 s28, exec_lo
	v_cmpx_ne_u32_e32 0, v0
	s_cbranch_execz .LBB6_21958
; %bb.21947:                            ;   in Loop: Header=BB6_21110 Depth=2
	v_bfe_u32 v39, v0, 23, 8
	v_or_b32_e32 v4, 0x800000, v54
	s_mov_b32 s29, exec_lo
	s_delay_alu instid0(VALU_DEP_2) | instskip(SKIP_1) | instid1(VALU_DEP_2)
	v_dual_mov_b32 v5, v55 :: v_dual_sub_nc_u32 v0, 0x71, v39
	v_cmp_gt_u32_e32 vcc_lo, 0x72, v39
	v_cndmask_b32_e32 v0, 0, v0, vcc_lo
	v_cmp_eq_u32_e32 vcc_lo, 0, v39
	s_delay_alu instid0(VALU_DEP_2) | instskip(NEXT) | instid1(VALU_DEP_1)
	v_cndmask_b32_e64 v49, v0, 0x70, vcc_lo
	v_dual_cndmask_b32 v4, v4, v54, vcc_lo :: v_dual_add_nc_u32 v0, 21, v49
	v_add_nc_u32_e32 v50, 20, v49
	s_delay_alu instid0(VALU_DEP_2) | instskip(NEXT) | instid1(VALU_DEP_2)
	v_lshlrev_b64_e64 v[0:1], v0, -1
	v_lshlrev_b64_e64 v[50:51], v50, 1
	s_delay_alu instid0(VALU_DEP_2) | instskip(NEXT) | instid1(VALU_DEP_3)
	v_bfi_b32 v53, v1, 0, 0
	v_bfi_b32 v52, v0, 0, v4
	v_lshrrev_b64 v[0:1], v49, v[4:5]
	s_delay_alu instid0(VALU_DEP_1) | instskip(NEXT) | instid1(VALU_DEP_3)
	v_mov_b64_e32 v[4:5], v[0:1]
	v_cmpx_eq_u64_e64 v[52:53], v[50:51]
; %bb.21948:                            ;   in Loop: Header=BB6_21110 Depth=2
	v_bfe_u32 v4, v0, 21, 1
	v_mov_b32_e32 v5, v55
	s_delay_alu instid0(VALU_DEP_1) | instskip(NEXT) | instid1(VALU_DEP_1)
	v_add_nc_u64_e32 v[4:5], v[0:1], v[4:5]
	v_add_nc_u64_e32 v[4:5], -1, v[4:5]
; %bb.21949:                            ;   in Loop: Header=BB6_21110 Depth=2
	s_or_b32 exec_lo, exec_lo, s29
	v_add_nc_u32_e32 v1, 0xffffff81, v39
	s_delay_alu instid0(VALU_DEP_2) | instskip(SKIP_2) | instid1(VALU_DEP_3)
	v_and_b32_e32 v4, 0x1fffff, v4
	v_lshrrev_b32_e32 v5, 23, v0
	s_mov_b32 s10, exec_lo
	v_cndmask_b32_e64 v1, v1, 0xffffff82, vcc_lo
	s_delay_alu instid0(VALU_DEP_3) | instskip(NEXT) | instid1(VALU_DEP_2)
	v_add_nc_u32_e32 v54, v4, v0
                                        ; implicit-def: $vgpr4
	v_add3_u32 v5, v49, v1, v5
                                        ; implicit-def: $vgpr0_vgpr1
	s_delay_alu instid0(VALU_DEP_1) | instskip(NEXT) | instid1(VALU_DEP_1)
	v_add_nc_u32_e32 v39, 14, v5
	v_cmpx_ne_u32_e32 0, v39
	s_xor_b32 s10, exec_lo, s10
; %bb.21950:                            ;   in Loop: Header=BB6_21110 Depth=2
	v_cmp_lt_u64_e32 vcc_lo, 0xffffff, v[54:55]
	v_add_nc_u32_e32 v0, 15, v5
	s_delay_alu instid0(VALU_DEP_1) | instskip(SKIP_1) | instid1(VALU_DEP_1)
	v_cndmask_b32_e32 v4, v39, v0, vcc_lo
	v_cndmask_b32_e64 v0, 0, 1, vcc_lo
	v_lshrrev_b64 v[0:1], v0, v[54:55]
; %bb.21951:                            ;   in Loop: Header=BB6_21110 Depth=2
	s_and_not1_saveexec_b32 s10, s10
; %bb.21952:                            ;   in Loop: Header=BB6_21110 Depth=2
	v_mov_b64_e32 v[0:1], v[54:55]
	v_bfe_u32 v4, v54, 23, 1
; %bb.21953:                            ;   in Loop: Header=BB6_21110 Depth=2
	s_or_b32 exec_lo, exec_lo, s10
	s_delay_alu instid0(VALU_DEP_2) | instskip(NEXT) | instid1(VALU_DEP_2)
	v_lshrrev_b64 v[0:1], 21, v[0:1]
	v_cmp_gt_i32_e32 vcc_lo, 32, v4
	v_cmp_ne_u32_e64 s10, 0, v4
                                        ; implicit-def: $vgpr39
	s_delay_alu instid0(VALU_DEP_3) | instskip(NEXT) | instid1(VALU_DEP_1)
	v_dual_cndmask_b32 v1, 0, v1 :: v_dual_cndmask_b32 v0, 3, v0
	v_cmp_ne_u64_e32 vcc_lo, 0, v[0:1]
	s_or_b32 s10, s10, vcc_lo
	s_delay_alu instid0(SALU_CYCLE_1) | instskip(NEXT) | instid1(SALU_CYCLE_1)
	s_and_saveexec_b32 s29, s10
	s_xor_b32 s10, exec_lo, s29
; %bb.21954:                            ;   in Loop: Header=BB6_21110 Depth=2
	v_min_i32_e32 v1, 31, v4
	s_delay_alu instid0(VALU_DEP_1) | instskip(NEXT) | instid1(VALU_DEP_1)
	v_lshl_or_b32 v1, v1, 2, v48
                                        ; implicit-def: $vgpr48
	v_and_or_b32 v39, v0, 3, v1
; %bb.21955:                            ;   in Loop: Header=BB6_21110 Depth=2
	s_and_not1_saveexec_b32 s10, s10
; %bb.21956:                            ;   in Loop: Header=BB6_21110 Depth=2
	v_mov_b32_e32 v39, v48
; %bb.21957:                            ;   in Loop: Header=BB6_21110 Depth=2
	s_or_b32 exec_lo, exec_lo, s10
.LBB6_21958:                            ;   in Loop: Header=BB6_21110 Depth=2
	s_delay_alu instid0(SALU_CYCLE_1)
	s_or_b32 exec_lo, exec_lo, s28
                                        ; implicit-def: $vgpr48
.LBB6_21959:                            ;   in Loop: Header=BB6_21110 Depth=2
	s_and_not1_saveexec_b32 s10, s27
; %bb.21960:                            ;   in Loop: Header=BB6_21110 Depth=2
	v_or_b32_e32 v39, 0x7b, v48
; %bb.21961:                            ;   in Loop: Header=BB6_21110 Depth=2
	s_or_b32 exec_lo, exec_lo, s10
                                        ; implicit-def: $vgpr0
.LBB6_21962:                            ;   in Loop: Header=BB6_21110 Depth=2
	s_and_not1_saveexec_b32 s10, s11
	s_cbranch_execz .LBB6_21968
; %bb.21963:                            ;   in Loop: Header=BB6_21110 Depth=2
	s_mov_b32 s11, exec_lo
                                        ; implicit-def: $vgpr39
	v_cmpx_ne_u64_e32 0, v[54:55]
	s_xor_b32 s11, exec_lo, s11
; %bb.21964:                            ;   in Loop: Header=BB6_21110 Depth=2
	v_lshrrev_b32_e32 v0, 24, v0
	s_delay_alu instid0(VALU_DEP_1)
	v_or_b32_e32 v39, 0x7f, v0
                                        ; implicit-def: $vgpr0
; %bb.21965:                            ;   in Loop: Header=BB6_21110 Depth=2
	s_and_not1_saveexec_b32 s11, s11
; %bb.21966:                            ;   in Loop: Header=BB6_21110 Depth=2
	v_cmp_lt_i32_e32 vcc_lo, -1, v0
	v_cndmask_b32_e64 v39, -4, 0x7c, vcc_lo
; %bb.21967:                            ;   in Loop: Header=BB6_21110 Depth=2
	s_or_b32 exec_lo, exec_lo, s11
.LBB6_21968:                            ;   in Loop: Header=BB6_21110 Depth=2
	s_delay_alu instid0(SALU_CYCLE_1)
	s_or_b32 exec_lo, exec_lo, s10
	flat_load_i8 v0, v[10:11] offset:800 th:TH_LOAD_NT
	v_mov_b32_e32 v4, 0
	s_mov_b32 s10, exec_lo
	s_wait_loadcnt_dscnt 0x0
	v_cmpx_ne_u16_e32 0, v0
	s_cbranch_execz .LBB6_21978
; %bb.21969:                            ;   in Loop: Header=BB6_21110 Depth=2
	v_bfrev_b32_e32 v4, 1
	s_mov_b32 s11, exec_lo
	v_cmpx_ne_u16_e32 0xff80, v0
	s_cbranch_execz .LBB6_21977
; %bb.21970:                            ;   in Loop: Header=BB6_21110 Depth=2
	v_and_b32_e32 v4, 0x7c, v0
	v_and_b32_e32 v1, 3, v0
	s_delay_alu instid0(VALU_DEP_2) | instskip(SKIP_1) | instid1(SALU_CYCLE_1)
	v_cmp_ne_u32_e32 vcc_lo, 0x7c, v4
                                        ; implicit-def: $vgpr4
	s_and_saveexec_b32 s27, vcc_lo
	s_xor_b32 s27, exec_lo, s27
	s_cbranch_execz .LBB6_21974
; %bb.21971:                            ;   in Loop: Header=BB6_21110 Depth=2
	v_and_b32_e32 v4, 0xff, v0
	s_mov_b32 s28, exec_lo
	s_delay_alu instid0(VALU_DEP_1) | instskip(NEXT) | instid1(VALU_DEP_1)
	v_bfe_u32 v4, v4, 2, 5
	v_cmpx_eq_u32_e32 0, v4
	s_cbranch_execz .LBB6_21973
; %bb.21972:                            ;   in Loop: Header=BB6_21110 Depth=2
	v_clz_i32_u32_e32 v1, v1
	s_delay_alu instid0(VALU_DEP_1) | instskip(SKIP_1) | instid1(VALU_DEP_2)
	v_min_u32_e32 v4, 32, v1
	v_mov_b32_e32 v1, v55
	v_subrev_nc_u32_e32 v5, 29, v4
	v_sub_nc_u32_e32 v4, 30, v4
	s_delay_alu instid0(VALU_DEP_2) | instskip(NEXT) | instid1(VALU_DEP_1)
	v_lshlrev_b64_e32 v[48:49], v5, v[0:1]
	v_and_b32_e32 v1, 3, v48
.LBB6_21973:                            ;   in Loop: Header=BB6_21110 Depth=2
	s_or_b32 exec_lo, exec_lo, s28
	v_bfe_i32 v0, v0, 0, 16
	s_delay_alu instid0(VALU_DEP_1) | instskip(NEXT) | instid1(VALU_DEP_1)
	v_and_b32_e32 v0, 0x80000000, v0
	v_lshl_add_u32 v0, v4, 23, v0
	s_delay_alu instid0(VALU_DEP_1) | instskip(NEXT) | instid1(VALU_DEP_1)
	v_lshl_or_b32 v0, v1, 21, v0
                                        ; implicit-def: $vgpr1
	v_add_nc_u32_e32 v4, 0x38000000, v0
                                        ; implicit-def: $vgpr0
.LBB6_21974:                            ;   in Loop: Header=BB6_21110 Depth=2
	s_and_not1_saveexec_b32 s27, s27
; %bb.21975:                            ;   in Loop: Header=BB6_21110 Depth=2
	v_cmp_lt_i16_e32 vcc_lo, -1, v0
	v_cndmask_b32_e32 v0, 0xff800000, v29, vcc_lo
	v_cmp_eq_u32_e32 vcc_lo, 0, v1
	s_delay_alu instid0(VALU_DEP_2)
	v_cndmask_b32_e32 v4, 0x7f800001, v0, vcc_lo
; %bb.21976:                            ;   in Loop: Header=BB6_21110 Depth=2
	s_or_b32 exec_lo, exec_lo, s27
.LBB6_21977:                            ;   in Loop: Header=BB6_21110 Depth=2
	s_delay_alu instid0(SALU_CYCLE_1)
	s_or_b32 exec_lo, exec_lo, s11
.LBB6_21978:                            ;   in Loop: Header=BB6_21110 Depth=2
	s_delay_alu instid0(SALU_CYCLE_1) | instskip(NEXT) | instid1(VALU_DEP_1)
	s_or_b32 exec_lo, exec_lo, s10
	v_dual_mul_f32 v0, s26, v4 :: v_dual_mov_b32 v5, v55
                                        ; implicit-def: $vgpr48
	s_mov_b32 s10, exec_lo
	s_delay_alu instid0(VALU_DEP_1) | instskip(SKIP_1) | instid1(VALU_DEP_2)
	v_and_b32_e32 v4, 0x7f800000, v0
	v_and_b32_e32 v54, 0x7fffff, v0
	v_cmpx_ne_u64_e32 0x7f800000, v[4:5]
	s_xor_b32 s11, exec_lo, s10
	s_cbranch_execz .LBB6_21996
; %bb.21979:                            ;   in Loop: Header=BB6_21110 Depth=2
	v_dual_mov_b32 v5, v55 :: v_dual_lshrrev_b32 v1, 24, v0
	v_and_b32_e32 v4, 0x7fffffff, v0
                                        ; implicit-def: $vgpr48
	s_mov_b32 s10, exec_lo
	s_delay_alu instid0(VALU_DEP_2) | instskip(NEXT) | instid1(VALU_DEP_2)
	v_and_b32_e32 v49, 0x80, v1
	v_cmpx_gt_u64_e32 0x47600001, v[4:5]
	s_xor_b32 s27, exec_lo, s10
	s_cbranch_execz .LBB6_21993
; %bb.21980:                            ;   in Loop: Header=BB6_21110 Depth=2
	v_mov_b32_e32 v48, 0
	s_mov_b32 s28, exec_lo
	v_cmpx_ne_u32_e32 0, v0
	s_cbranch_execz .LBB6_21992
; %bb.21981:                            ;   in Loop: Header=BB6_21110 Depth=2
	v_bfe_u32 v48, v0, 23, 8
	v_or_b32_e32 v4, 0x800000, v54
	s_mov_b32 s29, exec_lo
	s_delay_alu instid0(VALU_DEP_2) | instskip(SKIP_1) | instid1(VALU_DEP_2)
	v_dual_mov_b32 v5, v55 :: v_dual_sub_nc_u32 v0, 0x71, v48
	v_cmp_gt_u32_e32 vcc_lo, 0x72, v48
	v_cndmask_b32_e32 v0, 0, v0, vcc_lo
	v_cmp_eq_u32_e32 vcc_lo, 0, v48
	s_delay_alu instid0(VALU_DEP_2) | instskip(SKIP_1) | instid1(VALU_DEP_2)
	v_cndmask_b32_e64 v50, v0, 0x70, vcc_lo
	v_cndmask_b32_e32 v4, v4, v54, vcc_lo
	v_dual_add_nc_u32 v0, 21, v50 :: v_dual_add_nc_u32 v51, 20, v50
	s_delay_alu instid0(VALU_DEP_1) | instskip(NEXT) | instid1(VALU_DEP_2)
	v_lshlrev_b64_e64 v[0:1], v0, -1
	v_lshlrev_b64_e64 v[52:53], v51, 1
	s_delay_alu instid0(VALU_DEP_2) | instskip(NEXT) | instid1(VALU_DEP_3)
	v_bfi_b32 v65, v1, 0, 0
	v_bfi_b32 v64, v0, 0, v4
	v_lshrrev_b64 v[0:1], v50, v[4:5]
	s_delay_alu instid0(VALU_DEP_1) | instskip(NEXT) | instid1(VALU_DEP_3)
	v_mov_b64_e32 v[4:5], v[0:1]
	v_cmpx_eq_u64_e64 v[64:65], v[52:53]
; %bb.21982:                            ;   in Loop: Header=BB6_21110 Depth=2
	v_bfe_u32 v4, v0, 21, 1
	v_mov_b32_e32 v5, v55
	s_delay_alu instid0(VALU_DEP_1) | instskip(NEXT) | instid1(VALU_DEP_1)
	v_add_nc_u64_e32 v[4:5], v[0:1], v[4:5]
	v_add_nc_u64_e32 v[4:5], -1, v[4:5]
; %bb.21983:                            ;   in Loop: Header=BB6_21110 Depth=2
	s_or_b32 exec_lo, exec_lo, s29
	v_add_nc_u32_e32 v1, 0xffffff81, v48
	s_delay_alu instid0(VALU_DEP_2) | instskip(SKIP_2) | instid1(VALU_DEP_3)
	v_and_b32_e32 v4, 0x1fffff, v4
	v_lshrrev_b32_e32 v5, 23, v0
	s_mov_b32 s10, exec_lo
	v_cndmask_b32_e64 v1, v1, 0xffffff82, vcc_lo
	s_delay_alu instid0(VALU_DEP_3) | instskip(NEXT) | instid1(VALU_DEP_2)
	v_add_nc_u32_e32 v54, v4, v0
                                        ; implicit-def: $vgpr4
	v_add3_u32 v5, v50, v1, v5
                                        ; implicit-def: $vgpr0_vgpr1
	s_delay_alu instid0(VALU_DEP_1) | instskip(NEXT) | instid1(VALU_DEP_1)
	v_add_nc_u32_e32 v48, 14, v5
	v_cmpx_ne_u32_e32 0, v48
	s_xor_b32 s10, exec_lo, s10
; %bb.21984:                            ;   in Loop: Header=BB6_21110 Depth=2
	v_cmp_lt_u64_e32 vcc_lo, 0xffffff, v[54:55]
	v_add_nc_u32_e32 v0, 15, v5
	s_delay_alu instid0(VALU_DEP_1) | instskip(SKIP_1) | instid1(VALU_DEP_1)
	v_cndmask_b32_e32 v4, v48, v0, vcc_lo
	v_cndmask_b32_e64 v0, 0, 1, vcc_lo
	v_lshrrev_b64 v[0:1], v0, v[54:55]
; %bb.21985:                            ;   in Loop: Header=BB6_21110 Depth=2
	s_and_not1_saveexec_b32 s10, s10
; %bb.21986:                            ;   in Loop: Header=BB6_21110 Depth=2
	v_mov_b64_e32 v[0:1], v[54:55]
	v_bfe_u32 v4, v54, 23, 1
; %bb.21987:                            ;   in Loop: Header=BB6_21110 Depth=2
	s_or_b32 exec_lo, exec_lo, s10
	s_delay_alu instid0(VALU_DEP_2) | instskip(NEXT) | instid1(VALU_DEP_2)
	v_lshrrev_b64 v[0:1], 21, v[0:1]
	v_cmp_gt_i32_e32 vcc_lo, 32, v4
	v_cmp_ne_u32_e64 s10, 0, v4
                                        ; implicit-def: $vgpr48
	s_delay_alu instid0(VALU_DEP_3) | instskip(NEXT) | instid1(VALU_DEP_1)
	v_dual_cndmask_b32 v1, 0, v1 :: v_dual_cndmask_b32 v0, 3, v0
	v_cmp_ne_u64_e32 vcc_lo, 0, v[0:1]
	s_or_b32 s10, s10, vcc_lo
	s_delay_alu instid0(SALU_CYCLE_1) | instskip(NEXT) | instid1(SALU_CYCLE_1)
	s_and_saveexec_b32 s29, s10
	s_xor_b32 s10, exec_lo, s29
; %bb.21988:                            ;   in Loop: Header=BB6_21110 Depth=2
	v_min_i32_e32 v1, 31, v4
	s_delay_alu instid0(VALU_DEP_1) | instskip(NEXT) | instid1(VALU_DEP_1)
	v_lshl_or_b32 v1, v1, 2, v49
                                        ; implicit-def: $vgpr49
	v_and_or_b32 v48, v0, 3, v1
; %bb.21989:                            ;   in Loop: Header=BB6_21110 Depth=2
	s_and_not1_saveexec_b32 s10, s10
; %bb.21990:                            ;   in Loop: Header=BB6_21110 Depth=2
	v_mov_b32_e32 v48, v49
; %bb.21991:                            ;   in Loop: Header=BB6_21110 Depth=2
	s_or_b32 exec_lo, exec_lo, s10
.LBB6_21992:                            ;   in Loop: Header=BB6_21110 Depth=2
	s_delay_alu instid0(SALU_CYCLE_1)
	s_or_b32 exec_lo, exec_lo, s28
                                        ; implicit-def: $vgpr49
.LBB6_21993:                            ;   in Loop: Header=BB6_21110 Depth=2
	s_and_not1_saveexec_b32 s10, s27
; %bb.21994:                            ;   in Loop: Header=BB6_21110 Depth=2
	v_or_b32_e32 v48, 0x7b, v49
; %bb.21995:                            ;   in Loop: Header=BB6_21110 Depth=2
	s_or_b32 exec_lo, exec_lo, s10
                                        ; implicit-def: $vgpr0
.LBB6_21996:                            ;   in Loop: Header=BB6_21110 Depth=2
	s_and_not1_saveexec_b32 s10, s11
	s_cbranch_execz .LBB6_22002
; %bb.21997:                            ;   in Loop: Header=BB6_21110 Depth=2
	s_mov_b32 s11, exec_lo
                                        ; implicit-def: $vgpr48
	v_cmpx_ne_u64_e32 0, v[54:55]
	s_xor_b32 s11, exec_lo, s11
; %bb.21998:                            ;   in Loop: Header=BB6_21110 Depth=2
	v_lshrrev_b32_e32 v0, 24, v0
	s_delay_alu instid0(VALU_DEP_1)
	v_or_b32_e32 v48, 0x7f, v0
                                        ; implicit-def: $vgpr0
; %bb.21999:                            ;   in Loop: Header=BB6_21110 Depth=2
	s_and_not1_saveexec_b32 s11, s11
; %bb.22000:                            ;   in Loop: Header=BB6_21110 Depth=2
	v_cmp_lt_i32_e32 vcc_lo, -1, v0
	v_cndmask_b32_e64 v48, -4, 0x7c, vcc_lo
; %bb.22001:                            ;   in Loop: Header=BB6_21110 Depth=2
	s_or_b32 exec_lo, exec_lo, s11
.LBB6_22002:                            ;   in Loop: Header=BB6_21110 Depth=2
	s_delay_alu instid0(SALU_CYCLE_1)
	s_or_b32 exec_lo, exec_lo, s10
	flat_load_i8 v0, v[10:11] offset:832 th:TH_LOAD_NT
	v_mov_b32_e32 v4, 0
	s_mov_b32 s10, exec_lo
	s_wait_loadcnt_dscnt 0x0
	v_cmpx_ne_u16_e32 0, v0
	s_cbranch_execz .LBB6_22012
; %bb.22003:                            ;   in Loop: Header=BB6_21110 Depth=2
	v_bfrev_b32_e32 v4, 1
	s_mov_b32 s11, exec_lo
	v_cmpx_ne_u16_e32 0xff80, v0
	s_cbranch_execz .LBB6_22011
; %bb.22004:                            ;   in Loop: Header=BB6_21110 Depth=2
	v_and_b32_e32 v4, 0x7c, v0
	v_and_b32_e32 v1, 3, v0
	s_delay_alu instid0(VALU_DEP_2) | instskip(SKIP_1) | instid1(SALU_CYCLE_1)
	v_cmp_ne_u32_e32 vcc_lo, 0x7c, v4
                                        ; implicit-def: $vgpr4
	s_and_saveexec_b32 s27, vcc_lo
	s_xor_b32 s27, exec_lo, s27
	s_cbranch_execz .LBB6_22008
; %bb.22005:                            ;   in Loop: Header=BB6_21110 Depth=2
	v_and_b32_e32 v4, 0xff, v0
	s_mov_b32 s28, exec_lo
	s_delay_alu instid0(VALU_DEP_1) | instskip(NEXT) | instid1(VALU_DEP_1)
	v_bfe_u32 v4, v4, 2, 5
	v_cmpx_eq_u32_e32 0, v4
	s_cbranch_execz .LBB6_22007
; %bb.22006:                            ;   in Loop: Header=BB6_21110 Depth=2
	v_clz_i32_u32_e32 v1, v1
	s_delay_alu instid0(VALU_DEP_1) | instskip(SKIP_1) | instid1(VALU_DEP_2)
	v_min_u32_e32 v4, 32, v1
	v_mov_b32_e32 v1, v55
	v_subrev_nc_u32_e32 v5, 29, v4
	v_sub_nc_u32_e32 v4, 30, v4
	s_delay_alu instid0(VALU_DEP_2) | instskip(NEXT) | instid1(VALU_DEP_1)
	v_lshlrev_b64_e32 v[50:51], v5, v[0:1]
	v_and_b32_e32 v1, 3, v50
.LBB6_22007:                            ;   in Loop: Header=BB6_21110 Depth=2
	s_or_b32 exec_lo, exec_lo, s28
	v_bfe_i32 v0, v0, 0, 16
	s_delay_alu instid0(VALU_DEP_1) | instskip(NEXT) | instid1(VALU_DEP_1)
	v_and_b32_e32 v0, 0x80000000, v0
	v_lshl_add_u32 v0, v4, 23, v0
	s_delay_alu instid0(VALU_DEP_1) | instskip(NEXT) | instid1(VALU_DEP_1)
	v_lshl_or_b32 v0, v1, 21, v0
                                        ; implicit-def: $vgpr1
	v_add_nc_u32_e32 v4, 0x38000000, v0
                                        ; implicit-def: $vgpr0
.LBB6_22008:                            ;   in Loop: Header=BB6_21110 Depth=2
	s_and_not1_saveexec_b32 s27, s27
; %bb.22009:                            ;   in Loop: Header=BB6_21110 Depth=2
	v_cmp_lt_i16_e32 vcc_lo, -1, v0
	v_cndmask_b32_e32 v0, 0xff800000, v29, vcc_lo
	v_cmp_eq_u32_e32 vcc_lo, 0, v1
	s_delay_alu instid0(VALU_DEP_2)
	v_cndmask_b32_e32 v4, 0x7f800001, v0, vcc_lo
; %bb.22010:                            ;   in Loop: Header=BB6_21110 Depth=2
	s_or_b32 exec_lo, exec_lo, s27
.LBB6_22011:                            ;   in Loop: Header=BB6_21110 Depth=2
	s_delay_alu instid0(SALU_CYCLE_1)
	s_or_b32 exec_lo, exec_lo, s11
.LBB6_22012:                            ;   in Loop: Header=BB6_21110 Depth=2
	s_delay_alu instid0(SALU_CYCLE_1) | instskip(NEXT) | instid1(VALU_DEP_1)
	s_or_b32 exec_lo, exec_lo, s10
	v_dual_mul_f32 v0, s26, v4 :: v_dual_mov_b32 v5, v55
                                        ; implicit-def: $vgpr49
	s_mov_b32 s10, exec_lo
	s_delay_alu instid0(VALU_DEP_1) | instskip(SKIP_1) | instid1(VALU_DEP_2)
	v_and_b32_e32 v4, 0x7f800000, v0
	v_and_b32_e32 v54, 0x7fffff, v0
	v_cmpx_ne_u64_e32 0x7f800000, v[4:5]
	s_xor_b32 s11, exec_lo, s10
	s_cbranch_execz .LBB6_22030
; %bb.22013:                            ;   in Loop: Header=BB6_21110 Depth=2
	v_dual_mov_b32 v5, v55 :: v_dual_lshrrev_b32 v1, 24, v0
	v_and_b32_e32 v4, 0x7fffffff, v0
                                        ; implicit-def: $vgpr49
	s_mov_b32 s10, exec_lo
	s_delay_alu instid0(VALU_DEP_2) | instskip(NEXT) | instid1(VALU_DEP_2)
	v_and_b32_e32 v50, 0x80, v1
	v_cmpx_gt_u64_e32 0x47600001, v[4:5]
	s_xor_b32 s27, exec_lo, s10
	s_cbranch_execz .LBB6_22027
; %bb.22014:                            ;   in Loop: Header=BB6_21110 Depth=2
	v_mov_b32_e32 v49, 0
	s_mov_b32 s28, exec_lo
	v_cmpx_ne_u32_e32 0, v0
	s_cbranch_execz .LBB6_22026
; %bb.22015:                            ;   in Loop: Header=BB6_21110 Depth=2
	v_bfe_u32 v49, v0, 23, 8
	v_or_b32_e32 v4, 0x800000, v54
	s_mov_b32 s29, exec_lo
	s_delay_alu instid0(VALU_DEP_2) | instskip(SKIP_1) | instid1(VALU_DEP_2)
	v_dual_mov_b32 v5, v55 :: v_dual_sub_nc_u32 v0, 0x71, v49
	v_cmp_gt_u32_e32 vcc_lo, 0x72, v49
	v_cndmask_b32_e32 v0, 0, v0, vcc_lo
	v_cmp_eq_u32_e32 vcc_lo, 0, v49
	s_delay_alu instid0(VALU_DEP_2) | instskip(NEXT) | instid1(VALU_DEP_1)
	v_cndmask_b32_e64 v51, v0, 0x70, vcc_lo
	v_dual_cndmask_b32 v4, v4, v54, vcc_lo :: v_dual_add_nc_u32 v0, 21, v51
	v_add_nc_u32_e32 v52, 20, v51
	s_delay_alu instid0(VALU_DEP_2) | instskip(NEXT) | instid1(VALU_DEP_2)
	v_lshlrev_b64_e64 v[0:1], v0, -1
	v_lshlrev_b64_e64 v[52:53], v52, 1
	s_delay_alu instid0(VALU_DEP_2) | instskip(NEXT) | instid1(VALU_DEP_3)
	v_bfi_b32 v65, v1, 0, 0
	v_bfi_b32 v64, v0, 0, v4
	v_lshrrev_b64 v[0:1], v51, v[4:5]
	s_delay_alu instid0(VALU_DEP_1) | instskip(NEXT) | instid1(VALU_DEP_3)
	v_mov_b64_e32 v[4:5], v[0:1]
	v_cmpx_eq_u64_e64 v[64:65], v[52:53]
; %bb.22016:                            ;   in Loop: Header=BB6_21110 Depth=2
	v_bfe_u32 v4, v0, 21, 1
	v_mov_b32_e32 v5, v55
	s_delay_alu instid0(VALU_DEP_1) | instskip(NEXT) | instid1(VALU_DEP_1)
	v_add_nc_u64_e32 v[4:5], v[0:1], v[4:5]
	v_add_nc_u64_e32 v[4:5], -1, v[4:5]
; %bb.22017:                            ;   in Loop: Header=BB6_21110 Depth=2
	s_or_b32 exec_lo, exec_lo, s29
	v_add_nc_u32_e32 v1, 0xffffff81, v49
	s_delay_alu instid0(VALU_DEP_2) | instskip(SKIP_2) | instid1(VALU_DEP_3)
	v_and_b32_e32 v4, 0x1fffff, v4
	v_lshrrev_b32_e32 v5, 23, v0
	s_mov_b32 s10, exec_lo
	v_cndmask_b32_e64 v1, v1, 0xffffff82, vcc_lo
	s_delay_alu instid0(VALU_DEP_3) | instskip(NEXT) | instid1(VALU_DEP_2)
	v_add_nc_u32_e32 v54, v4, v0
                                        ; implicit-def: $vgpr4
	v_add3_u32 v5, v51, v1, v5
                                        ; implicit-def: $vgpr0_vgpr1
	s_delay_alu instid0(VALU_DEP_1) | instskip(NEXT) | instid1(VALU_DEP_1)
	v_add_nc_u32_e32 v49, 14, v5
	v_cmpx_ne_u32_e32 0, v49
	s_xor_b32 s10, exec_lo, s10
; %bb.22018:                            ;   in Loop: Header=BB6_21110 Depth=2
	v_cmp_lt_u64_e32 vcc_lo, 0xffffff, v[54:55]
	v_add_nc_u32_e32 v0, 15, v5
	s_delay_alu instid0(VALU_DEP_1) | instskip(SKIP_1) | instid1(VALU_DEP_1)
	v_cndmask_b32_e32 v4, v49, v0, vcc_lo
	v_cndmask_b32_e64 v0, 0, 1, vcc_lo
	v_lshrrev_b64 v[0:1], v0, v[54:55]
; %bb.22019:                            ;   in Loop: Header=BB6_21110 Depth=2
	s_and_not1_saveexec_b32 s10, s10
; %bb.22020:                            ;   in Loop: Header=BB6_21110 Depth=2
	v_mov_b64_e32 v[0:1], v[54:55]
	v_bfe_u32 v4, v54, 23, 1
; %bb.22021:                            ;   in Loop: Header=BB6_21110 Depth=2
	s_or_b32 exec_lo, exec_lo, s10
	s_delay_alu instid0(VALU_DEP_2) | instskip(NEXT) | instid1(VALU_DEP_2)
	v_lshrrev_b64 v[0:1], 21, v[0:1]
	v_cmp_gt_i32_e32 vcc_lo, 32, v4
	v_cmp_ne_u32_e64 s10, 0, v4
                                        ; implicit-def: $vgpr49
	s_delay_alu instid0(VALU_DEP_3) | instskip(NEXT) | instid1(VALU_DEP_1)
	v_dual_cndmask_b32 v1, 0, v1 :: v_dual_cndmask_b32 v0, 3, v0
	v_cmp_ne_u64_e32 vcc_lo, 0, v[0:1]
	s_or_b32 s10, s10, vcc_lo
	s_delay_alu instid0(SALU_CYCLE_1) | instskip(NEXT) | instid1(SALU_CYCLE_1)
	s_and_saveexec_b32 s29, s10
	s_xor_b32 s10, exec_lo, s29
; %bb.22022:                            ;   in Loop: Header=BB6_21110 Depth=2
	v_min_i32_e32 v1, 31, v4
	s_delay_alu instid0(VALU_DEP_1) | instskip(NEXT) | instid1(VALU_DEP_1)
	v_lshl_or_b32 v1, v1, 2, v50
                                        ; implicit-def: $vgpr50
	v_and_or_b32 v49, v0, 3, v1
; %bb.22023:                            ;   in Loop: Header=BB6_21110 Depth=2
	s_and_not1_saveexec_b32 s10, s10
; %bb.22024:                            ;   in Loop: Header=BB6_21110 Depth=2
	v_mov_b32_e32 v49, v50
; %bb.22025:                            ;   in Loop: Header=BB6_21110 Depth=2
	s_or_b32 exec_lo, exec_lo, s10
.LBB6_22026:                            ;   in Loop: Header=BB6_21110 Depth=2
	s_delay_alu instid0(SALU_CYCLE_1)
	s_or_b32 exec_lo, exec_lo, s28
                                        ; implicit-def: $vgpr50
.LBB6_22027:                            ;   in Loop: Header=BB6_21110 Depth=2
	s_and_not1_saveexec_b32 s10, s27
; %bb.22028:                            ;   in Loop: Header=BB6_21110 Depth=2
	v_or_b32_e32 v49, 0x7b, v50
; %bb.22029:                            ;   in Loop: Header=BB6_21110 Depth=2
	s_or_b32 exec_lo, exec_lo, s10
                                        ; implicit-def: $vgpr0
.LBB6_22030:                            ;   in Loop: Header=BB6_21110 Depth=2
	s_and_not1_saveexec_b32 s10, s11
	s_cbranch_execz .LBB6_22036
; %bb.22031:                            ;   in Loop: Header=BB6_21110 Depth=2
	s_mov_b32 s11, exec_lo
                                        ; implicit-def: $vgpr49
	v_cmpx_ne_u64_e32 0, v[54:55]
	s_xor_b32 s11, exec_lo, s11
; %bb.22032:                            ;   in Loop: Header=BB6_21110 Depth=2
	v_lshrrev_b32_e32 v0, 24, v0
	s_delay_alu instid0(VALU_DEP_1)
	v_or_b32_e32 v49, 0x7f, v0
                                        ; implicit-def: $vgpr0
; %bb.22033:                            ;   in Loop: Header=BB6_21110 Depth=2
	s_and_not1_saveexec_b32 s11, s11
; %bb.22034:                            ;   in Loop: Header=BB6_21110 Depth=2
	v_cmp_lt_i32_e32 vcc_lo, -1, v0
	v_cndmask_b32_e64 v49, -4, 0x7c, vcc_lo
; %bb.22035:                            ;   in Loop: Header=BB6_21110 Depth=2
	s_or_b32 exec_lo, exec_lo, s11
.LBB6_22036:                            ;   in Loop: Header=BB6_21110 Depth=2
	s_delay_alu instid0(SALU_CYCLE_1)
	s_or_b32 exec_lo, exec_lo, s10
	flat_load_i8 v0, v[10:11] offset:864 th:TH_LOAD_NT
	v_mov_b32_e32 v4, 0
	s_mov_b32 s10, exec_lo
	s_wait_loadcnt_dscnt 0x0
	v_cmpx_ne_u16_e32 0, v0
	s_cbranch_execz .LBB6_22046
; %bb.22037:                            ;   in Loop: Header=BB6_21110 Depth=2
	v_bfrev_b32_e32 v4, 1
	s_mov_b32 s11, exec_lo
	v_cmpx_ne_u16_e32 0xff80, v0
	s_cbranch_execz .LBB6_22045
; %bb.22038:                            ;   in Loop: Header=BB6_21110 Depth=2
	v_and_b32_e32 v4, 0x7c, v0
	v_and_b32_e32 v1, 3, v0
	s_delay_alu instid0(VALU_DEP_2) | instskip(SKIP_1) | instid1(SALU_CYCLE_1)
	v_cmp_ne_u32_e32 vcc_lo, 0x7c, v4
                                        ; implicit-def: $vgpr4
	s_and_saveexec_b32 s27, vcc_lo
	s_xor_b32 s27, exec_lo, s27
	s_cbranch_execz .LBB6_22042
; %bb.22039:                            ;   in Loop: Header=BB6_21110 Depth=2
	v_and_b32_e32 v4, 0xff, v0
	s_mov_b32 s28, exec_lo
	s_delay_alu instid0(VALU_DEP_1) | instskip(NEXT) | instid1(VALU_DEP_1)
	v_bfe_u32 v4, v4, 2, 5
	v_cmpx_eq_u32_e32 0, v4
	s_cbranch_execz .LBB6_22041
; %bb.22040:                            ;   in Loop: Header=BB6_21110 Depth=2
	v_clz_i32_u32_e32 v1, v1
	s_delay_alu instid0(VALU_DEP_1) | instskip(SKIP_1) | instid1(VALU_DEP_2)
	v_min_u32_e32 v4, 32, v1
	v_mov_b32_e32 v1, v55
	v_subrev_nc_u32_e32 v5, 29, v4
	v_sub_nc_u32_e32 v4, 30, v4
	s_delay_alu instid0(VALU_DEP_2) | instskip(NEXT) | instid1(VALU_DEP_1)
	v_lshlrev_b64_e32 v[50:51], v5, v[0:1]
	v_and_b32_e32 v1, 3, v50
.LBB6_22041:                            ;   in Loop: Header=BB6_21110 Depth=2
	s_or_b32 exec_lo, exec_lo, s28
	v_bfe_i32 v0, v0, 0, 16
	s_delay_alu instid0(VALU_DEP_1) | instskip(NEXT) | instid1(VALU_DEP_1)
	v_and_b32_e32 v0, 0x80000000, v0
	v_lshl_add_u32 v0, v4, 23, v0
	s_delay_alu instid0(VALU_DEP_1) | instskip(NEXT) | instid1(VALU_DEP_1)
	v_lshl_or_b32 v0, v1, 21, v0
                                        ; implicit-def: $vgpr1
	v_add_nc_u32_e32 v4, 0x38000000, v0
                                        ; implicit-def: $vgpr0
.LBB6_22042:                            ;   in Loop: Header=BB6_21110 Depth=2
	s_and_not1_saveexec_b32 s27, s27
; %bb.22043:                            ;   in Loop: Header=BB6_21110 Depth=2
	v_cmp_lt_i16_e32 vcc_lo, -1, v0
	v_cndmask_b32_e32 v0, 0xff800000, v29, vcc_lo
	v_cmp_eq_u32_e32 vcc_lo, 0, v1
	s_delay_alu instid0(VALU_DEP_2)
	v_cndmask_b32_e32 v4, 0x7f800001, v0, vcc_lo
; %bb.22044:                            ;   in Loop: Header=BB6_21110 Depth=2
	s_or_b32 exec_lo, exec_lo, s27
.LBB6_22045:                            ;   in Loop: Header=BB6_21110 Depth=2
	s_delay_alu instid0(SALU_CYCLE_1)
	s_or_b32 exec_lo, exec_lo, s11
.LBB6_22046:                            ;   in Loop: Header=BB6_21110 Depth=2
	s_delay_alu instid0(SALU_CYCLE_1) | instskip(NEXT) | instid1(VALU_DEP_1)
	s_or_b32 exec_lo, exec_lo, s10
	v_dual_mul_f32 v0, s26, v4 :: v_dual_mov_b32 v5, v55
                                        ; implicit-def: $vgpr50
	s_mov_b32 s10, exec_lo
	s_delay_alu instid0(VALU_DEP_1) | instskip(SKIP_1) | instid1(VALU_DEP_2)
	v_and_b32_e32 v4, 0x7f800000, v0
	v_and_b32_e32 v54, 0x7fffff, v0
	v_cmpx_ne_u64_e32 0x7f800000, v[4:5]
	s_xor_b32 s11, exec_lo, s10
	s_cbranch_execz .LBB6_22064
; %bb.22047:                            ;   in Loop: Header=BB6_21110 Depth=2
	v_dual_mov_b32 v5, v55 :: v_dual_lshrrev_b32 v1, 24, v0
	v_and_b32_e32 v4, 0x7fffffff, v0
                                        ; implicit-def: $vgpr50
	s_mov_b32 s10, exec_lo
	s_delay_alu instid0(VALU_DEP_2) | instskip(NEXT) | instid1(VALU_DEP_2)
	v_and_b32_e32 v51, 0x80, v1
	v_cmpx_gt_u64_e32 0x47600001, v[4:5]
	s_xor_b32 s27, exec_lo, s10
	s_cbranch_execz .LBB6_22061
; %bb.22048:                            ;   in Loop: Header=BB6_21110 Depth=2
	v_mov_b32_e32 v50, 0
	s_mov_b32 s28, exec_lo
	v_cmpx_ne_u32_e32 0, v0
	s_cbranch_execz .LBB6_22060
; %bb.22049:                            ;   in Loop: Header=BB6_21110 Depth=2
	v_bfe_u32 v50, v0, 23, 8
	v_or_b32_e32 v4, 0x800000, v54
	s_mov_b32 s29, exec_lo
	s_delay_alu instid0(VALU_DEP_2) | instskip(SKIP_1) | instid1(VALU_DEP_2)
	v_dual_mov_b32 v5, v55 :: v_dual_sub_nc_u32 v0, 0x71, v50
	v_cmp_gt_u32_e32 vcc_lo, 0x72, v50
	v_cndmask_b32_e32 v0, 0, v0, vcc_lo
	v_cmp_eq_u32_e32 vcc_lo, 0, v50
	v_cndmask_b32_e32 v4, v4, v54, vcc_lo
	s_delay_alu instid0(VALU_DEP_3) | instskip(NEXT) | instid1(VALU_DEP_1)
	v_cndmask_b32_e64 v52, v0, 0x70, vcc_lo
	v_dual_add_nc_u32 v0, 21, v52 :: v_dual_add_nc_u32 v53, 20, v52
	s_delay_alu instid0(VALU_DEP_1) | instskip(NEXT) | instid1(VALU_DEP_2)
	v_lshlrev_b64_e64 v[0:1], v0, -1
	v_lshlrev_b64_e64 v[64:65], v53, 1
	s_delay_alu instid0(VALU_DEP_2) | instskip(NEXT) | instid1(VALU_DEP_3)
	v_bfi_b32 v67, v1, 0, 0
	v_bfi_b32 v66, v0, 0, v4
	v_lshrrev_b64 v[0:1], v52, v[4:5]
	s_delay_alu instid0(VALU_DEP_1) | instskip(NEXT) | instid1(VALU_DEP_3)
	v_mov_b64_e32 v[4:5], v[0:1]
	v_cmpx_eq_u64_e64 v[66:67], v[64:65]
; %bb.22050:                            ;   in Loop: Header=BB6_21110 Depth=2
	v_bfe_u32 v4, v0, 21, 1
	v_mov_b32_e32 v5, v55
	s_delay_alu instid0(VALU_DEP_1) | instskip(NEXT) | instid1(VALU_DEP_1)
	v_add_nc_u64_e32 v[4:5], v[0:1], v[4:5]
	v_add_nc_u64_e32 v[4:5], -1, v[4:5]
; %bb.22051:                            ;   in Loop: Header=BB6_21110 Depth=2
	s_or_b32 exec_lo, exec_lo, s29
	v_add_nc_u32_e32 v1, 0xffffff81, v50
	s_delay_alu instid0(VALU_DEP_2) | instskip(SKIP_2) | instid1(VALU_DEP_3)
	v_and_b32_e32 v4, 0x1fffff, v4
	v_lshrrev_b32_e32 v5, 23, v0
	s_mov_b32 s10, exec_lo
	v_cndmask_b32_e64 v1, v1, 0xffffff82, vcc_lo
	s_delay_alu instid0(VALU_DEP_3) | instskip(NEXT) | instid1(VALU_DEP_2)
	v_add_nc_u32_e32 v54, v4, v0
                                        ; implicit-def: $vgpr4
	v_add3_u32 v5, v52, v1, v5
                                        ; implicit-def: $vgpr0_vgpr1
	s_delay_alu instid0(VALU_DEP_1) | instskip(NEXT) | instid1(VALU_DEP_1)
	v_add_nc_u32_e32 v50, 14, v5
	v_cmpx_ne_u32_e32 0, v50
	s_xor_b32 s10, exec_lo, s10
; %bb.22052:                            ;   in Loop: Header=BB6_21110 Depth=2
	v_cmp_lt_u64_e32 vcc_lo, 0xffffff, v[54:55]
	v_add_nc_u32_e32 v0, 15, v5
	s_delay_alu instid0(VALU_DEP_1) | instskip(SKIP_1) | instid1(VALU_DEP_1)
	v_cndmask_b32_e32 v4, v50, v0, vcc_lo
	v_cndmask_b32_e64 v0, 0, 1, vcc_lo
	v_lshrrev_b64 v[0:1], v0, v[54:55]
; %bb.22053:                            ;   in Loop: Header=BB6_21110 Depth=2
	s_and_not1_saveexec_b32 s10, s10
; %bb.22054:                            ;   in Loop: Header=BB6_21110 Depth=2
	v_mov_b64_e32 v[0:1], v[54:55]
	v_bfe_u32 v4, v54, 23, 1
; %bb.22055:                            ;   in Loop: Header=BB6_21110 Depth=2
	s_or_b32 exec_lo, exec_lo, s10
	s_delay_alu instid0(VALU_DEP_2) | instskip(NEXT) | instid1(VALU_DEP_2)
	v_lshrrev_b64 v[0:1], 21, v[0:1]
	v_cmp_gt_i32_e32 vcc_lo, 32, v4
	v_cmp_ne_u32_e64 s10, 0, v4
                                        ; implicit-def: $vgpr50
	s_delay_alu instid0(VALU_DEP_3) | instskip(NEXT) | instid1(VALU_DEP_1)
	v_dual_cndmask_b32 v1, 0, v1 :: v_dual_cndmask_b32 v0, 3, v0
	v_cmp_ne_u64_e32 vcc_lo, 0, v[0:1]
	s_or_b32 s10, s10, vcc_lo
	s_delay_alu instid0(SALU_CYCLE_1) | instskip(NEXT) | instid1(SALU_CYCLE_1)
	s_and_saveexec_b32 s29, s10
	s_xor_b32 s10, exec_lo, s29
; %bb.22056:                            ;   in Loop: Header=BB6_21110 Depth=2
	v_min_i32_e32 v1, 31, v4
	s_delay_alu instid0(VALU_DEP_1) | instskip(NEXT) | instid1(VALU_DEP_1)
	v_lshl_or_b32 v1, v1, 2, v51
                                        ; implicit-def: $vgpr51
	v_and_or_b32 v50, v0, 3, v1
; %bb.22057:                            ;   in Loop: Header=BB6_21110 Depth=2
	s_and_not1_saveexec_b32 s10, s10
; %bb.22058:                            ;   in Loop: Header=BB6_21110 Depth=2
	v_mov_b32_e32 v50, v51
; %bb.22059:                            ;   in Loop: Header=BB6_21110 Depth=2
	s_or_b32 exec_lo, exec_lo, s10
.LBB6_22060:                            ;   in Loop: Header=BB6_21110 Depth=2
	s_delay_alu instid0(SALU_CYCLE_1)
	s_or_b32 exec_lo, exec_lo, s28
                                        ; implicit-def: $vgpr51
.LBB6_22061:                            ;   in Loop: Header=BB6_21110 Depth=2
	s_and_not1_saveexec_b32 s10, s27
; %bb.22062:                            ;   in Loop: Header=BB6_21110 Depth=2
	v_or_b32_e32 v50, 0x7b, v51
; %bb.22063:                            ;   in Loop: Header=BB6_21110 Depth=2
	s_or_b32 exec_lo, exec_lo, s10
                                        ; implicit-def: $vgpr0
.LBB6_22064:                            ;   in Loop: Header=BB6_21110 Depth=2
	s_and_not1_saveexec_b32 s10, s11
	s_cbranch_execz .LBB6_22070
; %bb.22065:                            ;   in Loop: Header=BB6_21110 Depth=2
	s_mov_b32 s11, exec_lo
                                        ; implicit-def: $vgpr50
	v_cmpx_ne_u64_e32 0, v[54:55]
	s_xor_b32 s11, exec_lo, s11
; %bb.22066:                            ;   in Loop: Header=BB6_21110 Depth=2
	v_lshrrev_b32_e32 v0, 24, v0
	s_delay_alu instid0(VALU_DEP_1)
	v_or_b32_e32 v50, 0x7f, v0
                                        ; implicit-def: $vgpr0
; %bb.22067:                            ;   in Loop: Header=BB6_21110 Depth=2
	s_and_not1_saveexec_b32 s11, s11
; %bb.22068:                            ;   in Loop: Header=BB6_21110 Depth=2
	v_cmp_lt_i32_e32 vcc_lo, -1, v0
	v_cndmask_b32_e64 v50, -4, 0x7c, vcc_lo
; %bb.22069:                            ;   in Loop: Header=BB6_21110 Depth=2
	s_or_b32 exec_lo, exec_lo, s11
.LBB6_22070:                            ;   in Loop: Header=BB6_21110 Depth=2
	s_delay_alu instid0(SALU_CYCLE_1)
	s_or_b32 exec_lo, exec_lo, s10
	flat_load_i8 v0, v[10:11] offset:896 th:TH_LOAD_NT
	v_mov_b32_e32 v4, 0
	s_mov_b32 s10, exec_lo
	s_wait_loadcnt_dscnt 0x0
	v_cmpx_ne_u16_e32 0, v0
	s_cbranch_execz .LBB6_22080
; %bb.22071:                            ;   in Loop: Header=BB6_21110 Depth=2
	v_bfrev_b32_e32 v4, 1
	s_mov_b32 s11, exec_lo
	v_cmpx_ne_u16_e32 0xff80, v0
	s_cbranch_execz .LBB6_22079
; %bb.22072:                            ;   in Loop: Header=BB6_21110 Depth=2
	v_and_b32_e32 v4, 0x7c, v0
	v_and_b32_e32 v1, 3, v0
	s_delay_alu instid0(VALU_DEP_2) | instskip(SKIP_1) | instid1(SALU_CYCLE_1)
	v_cmp_ne_u32_e32 vcc_lo, 0x7c, v4
                                        ; implicit-def: $vgpr4
	s_and_saveexec_b32 s27, vcc_lo
	s_xor_b32 s27, exec_lo, s27
	s_cbranch_execz .LBB6_22076
; %bb.22073:                            ;   in Loop: Header=BB6_21110 Depth=2
	v_and_b32_e32 v4, 0xff, v0
	s_mov_b32 s28, exec_lo
	s_delay_alu instid0(VALU_DEP_1) | instskip(NEXT) | instid1(VALU_DEP_1)
	v_bfe_u32 v4, v4, 2, 5
	v_cmpx_eq_u32_e32 0, v4
	s_cbranch_execz .LBB6_22075
; %bb.22074:                            ;   in Loop: Header=BB6_21110 Depth=2
	v_clz_i32_u32_e32 v1, v1
	s_delay_alu instid0(VALU_DEP_1) | instskip(SKIP_1) | instid1(VALU_DEP_2)
	v_min_u32_e32 v4, 32, v1
	v_mov_b32_e32 v1, v55
	v_subrev_nc_u32_e32 v5, 29, v4
	v_sub_nc_u32_e32 v4, 30, v4
	s_delay_alu instid0(VALU_DEP_2) | instskip(NEXT) | instid1(VALU_DEP_1)
	v_lshlrev_b64_e32 v[52:53], v5, v[0:1]
	v_and_b32_e32 v1, 3, v52
.LBB6_22075:                            ;   in Loop: Header=BB6_21110 Depth=2
	s_or_b32 exec_lo, exec_lo, s28
	v_bfe_i32 v0, v0, 0, 16
	s_delay_alu instid0(VALU_DEP_1) | instskip(NEXT) | instid1(VALU_DEP_1)
	v_and_b32_e32 v0, 0x80000000, v0
	v_lshl_add_u32 v0, v4, 23, v0
	s_delay_alu instid0(VALU_DEP_1) | instskip(NEXT) | instid1(VALU_DEP_1)
	v_lshl_or_b32 v0, v1, 21, v0
                                        ; implicit-def: $vgpr1
	v_add_nc_u32_e32 v4, 0x38000000, v0
                                        ; implicit-def: $vgpr0
.LBB6_22076:                            ;   in Loop: Header=BB6_21110 Depth=2
	s_and_not1_saveexec_b32 s27, s27
; %bb.22077:                            ;   in Loop: Header=BB6_21110 Depth=2
	v_cmp_lt_i16_e32 vcc_lo, -1, v0
	v_cndmask_b32_e32 v0, 0xff800000, v29, vcc_lo
	v_cmp_eq_u32_e32 vcc_lo, 0, v1
	s_delay_alu instid0(VALU_DEP_2)
	v_cndmask_b32_e32 v4, 0x7f800001, v0, vcc_lo
; %bb.22078:                            ;   in Loop: Header=BB6_21110 Depth=2
	s_or_b32 exec_lo, exec_lo, s27
.LBB6_22079:                            ;   in Loop: Header=BB6_21110 Depth=2
	s_delay_alu instid0(SALU_CYCLE_1)
	s_or_b32 exec_lo, exec_lo, s11
.LBB6_22080:                            ;   in Loop: Header=BB6_21110 Depth=2
	s_delay_alu instid0(SALU_CYCLE_1) | instskip(NEXT) | instid1(VALU_DEP_1)
	s_or_b32 exec_lo, exec_lo, s10
	v_dual_mul_f32 v0, s26, v4 :: v_dual_mov_b32 v5, v55
                                        ; implicit-def: $vgpr51
	s_mov_b32 s10, exec_lo
	s_delay_alu instid0(VALU_DEP_1) | instskip(SKIP_1) | instid1(VALU_DEP_2)
	v_and_b32_e32 v4, 0x7f800000, v0
	v_and_b32_e32 v54, 0x7fffff, v0
	v_cmpx_ne_u64_e32 0x7f800000, v[4:5]
	s_xor_b32 s11, exec_lo, s10
	s_cbranch_execz .LBB6_22098
; %bb.22081:                            ;   in Loop: Header=BB6_21110 Depth=2
	v_dual_mov_b32 v5, v55 :: v_dual_lshrrev_b32 v1, 24, v0
	v_and_b32_e32 v4, 0x7fffffff, v0
                                        ; implicit-def: $vgpr51
	s_mov_b32 s10, exec_lo
	s_delay_alu instid0(VALU_DEP_2) | instskip(NEXT) | instid1(VALU_DEP_2)
	v_and_b32_e32 v52, 0x80, v1
	v_cmpx_gt_u64_e32 0x47600001, v[4:5]
	s_xor_b32 s27, exec_lo, s10
	s_cbranch_execz .LBB6_22095
; %bb.22082:                            ;   in Loop: Header=BB6_21110 Depth=2
	v_mov_b32_e32 v51, 0
	s_mov_b32 s28, exec_lo
	v_cmpx_ne_u32_e32 0, v0
	s_cbranch_execz .LBB6_22094
; %bb.22083:                            ;   in Loop: Header=BB6_21110 Depth=2
	v_bfe_u32 v51, v0, 23, 8
	v_or_b32_e32 v4, 0x800000, v54
	s_mov_b32 s29, exec_lo
	s_delay_alu instid0(VALU_DEP_2) | instskip(SKIP_1) | instid1(VALU_DEP_2)
	v_dual_mov_b32 v5, v55 :: v_dual_sub_nc_u32 v0, 0x71, v51
	v_cmp_gt_u32_e32 vcc_lo, 0x72, v51
	v_cndmask_b32_e32 v0, 0, v0, vcc_lo
	v_cmp_eq_u32_e32 vcc_lo, 0, v51
	s_delay_alu instid0(VALU_DEP_2) | instskip(NEXT) | instid1(VALU_DEP_1)
	v_cndmask_b32_e64 v53, v0, 0x70, vcc_lo
	v_dual_cndmask_b32 v4, v4, v54, vcc_lo :: v_dual_add_nc_u32 v0, 21, v53
	v_add_nc_u32_e32 v64, 20, v53
	s_delay_alu instid0(VALU_DEP_2) | instskip(NEXT) | instid1(VALU_DEP_2)
	v_lshlrev_b64_e64 v[0:1], v0, -1
	v_lshlrev_b64_e64 v[64:65], v64, 1
	s_delay_alu instid0(VALU_DEP_2) | instskip(NEXT) | instid1(VALU_DEP_3)
	v_bfi_b32 v67, v1, 0, 0
	v_bfi_b32 v66, v0, 0, v4
	v_lshrrev_b64 v[0:1], v53, v[4:5]
	s_delay_alu instid0(VALU_DEP_1) | instskip(NEXT) | instid1(VALU_DEP_3)
	v_mov_b64_e32 v[4:5], v[0:1]
	v_cmpx_eq_u64_e64 v[66:67], v[64:65]
; %bb.22084:                            ;   in Loop: Header=BB6_21110 Depth=2
	v_bfe_u32 v4, v0, 21, 1
	v_mov_b32_e32 v5, v55
	s_delay_alu instid0(VALU_DEP_1) | instskip(NEXT) | instid1(VALU_DEP_1)
	v_add_nc_u64_e32 v[4:5], v[0:1], v[4:5]
	v_add_nc_u64_e32 v[4:5], -1, v[4:5]
; %bb.22085:                            ;   in Loop: Header=BB6_21110 Depth=2
	s_or_b32 exec_lo, exec_lo, s29
	v_add_nc_u32_e32 v1, 0xffffff81, v51
	s_delay_alu instid0(VALU_DEP_2) | instskip(SKIP_2) | instid1(VALU_DEP_3)
	v_and_b32_e32 v4, 0x1fffff, v4
	v_lshrrev_b32_e32 v5, 23, v0
	s_mov_b32 s10, exec_lo
	v_cndmask_b32_e64 v1, v1, 0xffffff82, vcc_lo
	s_delay_alu instid0(VALU_DEP_3) | instskip(NEXT) | instid1(VALU_DEP_2)
	v_add_nc_u32_e32 v54, v4, v0
                                        ; implicit-def: $vgpr4
	v_add3_u32 v5, v53, v1, v5
                                        ; implicit-def: $vgpr0_vgpr1
	s_delay_alu instid0(VALU_DEP_1) | instskip(NEXT) | instid1(VALU_DEP_1)
	v_add_nc_u32_e32 v51, 14, v5
	v_cmpx_ne_u32_e32 0, v51
	s_xor_b32 s10, exec_lo, s10
; %bb.22086:                            ;   in Loop: Header=BB6_21110 Depth=2
	v_cmp_lt_u64_e32 vcc_lo, 0xffffff, v[54:55]
	v_add_nc_u32_e32 v0, 15, v5
	s_delay_alu instid0(VALU_DEP_1) | instskip(SKIP_1) | instid1(VALU_DEP_1)
	v_cndmask_b32_e32 v4, v51, v0, vcc_lo
	v_cndmask_b32_e64 v0, 0, 1, vcc_lo
	v_lshrrev_b64 v[0:1], v0, v[54:55]
; %bb.22087:                            ;   in Loop: Header=BB6_21110 Depth=2
	s_and_not1_saveexec_b32 s10, s10
; %bb.22088:                            ;   in Loop: Header=BB6_21110 Depth=2
	v_mov_b64_e32 v[0:1], v[54:55]
	v_bfe_u32 v4, v54, 23, 1
; %bb.22089:                            ;   in Loop: Header=BB6_21110 Depth=2
	s_or_b32 exec_lo, exec_lo, s10
	s_delay_alu instid0(VALU_DEP_2) | instskip(NEXT) | instid1(VALU_DEP_2)
	v_lshrrev_b64 v[0:1], 21, v[0:1]
	v_cmp_gt_i32_e32 vcc_lo, 32, v4
	v_cmp_ne_u32_e64 s10, 0, v4
                                        ; implicit-def: $vgpr51
	s_delay_alu instid0(VALU_DEP_3) | instskip(NEXT) | instid1(VALU_DEP_1)
	v_dual_cndmask_b32 v1, 0, v1 :: v_dual_cndmask_b32 v0, 3, v0
	v_cmp_ne_u64_e32 vcc_lo, 0, v[0:1]
	s_or_b32 s10, s10, vcc_lo
	s_delay_alu instid0(SALU_CYCLE_1) | instskip(NEXT) | instid1(SALU_CYCLE_1)
	s_and_saveexec_b32 s29, s10
	s_xor_b32 s10, exec_lo, s29
; %bb.22090:                            ;   in Loop: Header=BB6_21110 Depth=2
	v_min_i32_e32 v1, 31, v4
	s_delay_alu instid0(VALU_DEP_1) | instskip(NEXT) | instid1(VALU_DEP_1)
	v_lshl_or_b32 v1, v1, 2, v52
                                        ; implicit-def: $vgpr52
	v_and_or_b32 v51, v0, 3, v1
; %bb.22091:                            ;   in Loop: Header=BB6_21110 Depth=2
	s_and_not1_saveexec_b32 s10, s10
; %bb.22092:                            ;   in Loop: Header=BB6_21110 Depth=2
	v_mov_b32_e32 v51, v52
; %bb.22093:                            ;   in Loop: Header=BB6_21110 Depth=2
	s_or_b32 exec_lo, exec_lo, s10
.LBB6_22094:                            ;   in Loop: Header=BB6_21110 Depth=2
	s_delay_alu instid0(SALU_CYCLE_1)
	s_or_b32 exec_lo, exec_lo, s28
                                        ; implicit-def: $vgpr52
.LBB6_22095:                            ;   in Loop: Header=BB6_21110 Depth=2
	s_and_not1_saveexec_b32 s10, s27
; %bb.22096:                            ;   in Loop: Header=BB6_21110 Depth=2
	v_or_b32_e32 v51, 0x7b, v52
; %bb.22097:                            ;   in Loop: Header=BB6_21110 Depth=2
	s_or_b32 exec_lo, exec_lo, s10
                                        ; implicit-def: $vgpr0
.LBB6_22098:                            ;   in Loop: Header=BB6_21110 Depth=2
	s_and_not1_saveexec_b32 s10, s11
	s_cbranch_execz .LBB6_22104
; %bb.22099:                            ;   in Loop: Header=BB6_21110 Depth=2
	s_mov_b32 s11, exec_lo
                                        ; implicit-def: $vgpr51
	v_cmpx_ne_u64_e32 0, v[54:55]
	s_xor_b32 s11, exec_lo, s11
; %bb.22100:                            ;   in Loop: Header=BB6_21110 Depth=2
	v_lshrrev_b32_e32 v0, 24, v0
	s_delay_alu instid0(VALU_DEP_1)
	v_or_b32_e32 v51, 0x7f, v0
                                        ; implicit-def: $vgpr0
; %bb.22101:                            ;   in Loop: Header=BB6_21110 Depth=2
	s_and_not1_saveexec_b32 s11, s11
; %bb.22102:                            ;   in Loop: Header=BB6_21110 Depth=2
	v_cmp_lt_i32_e32 vcc_lo, -1, v0
	v_cndmask_b32_e64 v51, -4, 0x7c, vcc_lo
; %bb.22103:                            ;   in Loop: Header=BB6_21110 Depth=2
	s_or_b32 exec_lo, exec_lo, s11
.LBB6_22104:                            ;   in Loop: Header=BB6_21110 Depth=2
	s_delay_alu instid0(SALU_CYCLE_1)
	s_or_b32 exec_lo, exec_lo, s10
	flat_load_i8 v0, v[10:11] offset:928 th:TH_LOAD_NT
	v_mov_b32_e32 v4, 0
	s_mov_b32 s10, exec_lo
	s_wait_loadcnt_dscnt 0x0
	v_cmpx_ne_u16_e32 0, v0
	s_cbranch_execz .LBB6_22114
; %bb.22105:                            ;   in Loop: Header=BB6_21110 Depth=2
	v_bfrev_b32_e32 v4, 1
	s_mov_b32 s11, exec_lo
	v_cmpx_ne_u16_e32 0xff80, v0
	s_cbranch_execz .LBB6_22113
; %bb.22106:                            ;   in Loop: Header=BB6_21110 Depth=2
	v_and_b32_e32 v4, 0x7c, v0
	v_and_b32_e32 v1, 3, v0
	s_delay_alu instid0(VALU_DEP_2) | instskip(SKIP_1) | instid1(SALU_CYCLE_1)
	v_cmp_ne_u32_e32 vcc_lo, 0x7c, v4
                                        ; implicit-def: $vgpr4
	s_and_saveexec_b32 s27, vcc_lo
	s_xor_b32 s27, exec_lo, s27
	s_cbranch_execz .LBB6_22110
; %bb.22107:                            ;   in Loop: Header=BB6_21110 Depth=2
	v_and_b32_e32 v4, 0xff, v0
	s_mov_b32 s28, exec_lo
	s_delay_alu instid0(VALU_DEP_1) | instskip(NEXT) | instid1(VALU_DEP_1)
	v_bfe_u32 v4, v4, 2, 5
	v_cmpx_eq_u32_e32 0, v4
	s_cbranch_execz .LBB6_22109
; %bb.22108:                            ;   in Loop: Header=BB6_21110 Depth=2
	v_clz_i32_u32_e32 v1, v1
	s_delay_alu instid0(VALU_DEP_1) | instskip(SKIP_1) | instid1(VALU_DEP_2)
	v_min_u32_e32 v4, 32, v1
	v_mov_b32_e32 v1, v55
	v_subrev_nc_u32_e32 v5, 29, v4
	v_sub_nc_u32_e32 v4, 30, v4
	s_delay_alu instid0(VALU_DEP_2) | instskip(NEXT) | instid1(VALU_DEP_1)
	v_lshlrev_b64_e32 v[52:53], v5, v[0:1]
	v_and_b32_e32 v1, 3, v52
.LBB6_22109:                            ;   in Loop: Header=BB6_21110 Depth=2
	s_or_b32 exec_lo, exec_lo, s28
	v_bfe_i32 v0, v0, 0, 16
	s_delay_alu instid0(VALU_DEP_1) | instskip(NEXT) | instid1(VALU_DEP_1)
	v_and_b32_e32 v0, 0x80000000, v0
	v_lshl_add_u32 v0, v4, 23, v0
	s_delay_alu instid0(VALU_DEP_1) | instskip(NEXT) | instid1(VALU_DEP_1)
	v_lshl_or_b32 v0, v1, 21, v0
                                        ; implicit-def: $vgpr1
	v_add_nc_u32_e32 v4, 0x38000000, v0
                                        ; implicit-def: $vgpr0
.LBB6_22110:                            ;   in Loop: Header=BB6_21110 Depth=2
	s_and_not1_saveexec_b32 s27, s27
; %bb.22111:                            ;   in Loop: Header=BB6_21110 Depth=2
	v_cmp_lt_i16_e32 vcc_lo, -1, v0
	v_cndmask_b32_e32 v0, 0xff800000, v29, vcc_lo
	v_cmp_eq_u32_e32 vcc_lo, 0, v1
	s_delay_alu instid0(VALU_DEP_2)
	v_cndmask_b32_e32 v4, 0x7f800001, v0, vcc_lo
; %bb.22112:                            ;   in Loop: Header=BB6_21110 Depth=2
	s_or_b32 exec_lo, exec_lo, s27
.LBB6_22113:                            ;   in Loop: Header=BB6_21110 Depth=2
	s_delay_alu instid0(SALU_CYCLE_1)
	s_or_b32 exec_lo, exec_lo, s11
.LBB6_22114:                            ;   in Loop: Header=BB6_21110 Depth=2
	s_delay_alu instid0(SALU_CYCLE_1) | instskip(NEXT) | instid1(VALU_DEP_1)
	s_or_b32 exec_lo, exec_lo, s10
	v_dual_mul_f32 v0, s26, v4 :: v_dual_mov_b32 v5, v55
                                        ; implicit-def: $vgpr52
	s_mov_b32 s10, exec_lo
	s_delay_alu instid0(VALU_DEP_1) | instskip(SKIP_1) | instid1(VALU_DEP_2)
	v_and_b32_e32 v4, 0x7f800000, v0
	v_and_b32_e32 v54, 0x7fffff, v0
	v_cmpx_ne_u64_e32 0x7f800000, v[4:5]
	s_xor_b32 s11, exec_lo, s10
	s_cbranch_execz .LBB6_22132
; %bb.22115:                            ;   in Loop: Header=BB6_21110 Depth=2
	v_dual_mov_b32 v5, v55 :: v_dual_lshrrev_b32 v1, 24, v0
	v_and_b32_e32 v4, 0x7fffffff, v0
                                        ; implicit-def: $vgpr52
	s_mov_b32 s10, exec_lo
	s_delay_alu instid0(VALU_DEP_2) | instskip(NEXT) | instid1(VALU_DEP_2)
	v_and_b32_e32 v53, 0x80, v1
	v_cmpx_gt_u64_e32 0x47600001, v[4:5]
	s_xor_b32 s27, exec_lo, s10
	s_cbranch_execz .LBB6_22129
; %bb.22116:                            ;   in Loop: Header=BB6_21110 Depth=2
	v_mov_b32_e32 v52, 0
	s_mov_b32 s28, exec_lo
	v_cmpx_ne_u32_e32 0, v0
	s_cbranch_execz .LBB6_22128
; %bb.22117:                            ;   in Loop: Header=BB6_21110 Depth=2
	v_bfe_u32 v52, v0, 23, 8
	v_or_b32_e32 v4, 0x800000, v54
	s_mov_b32 s29, exec_lo
	s_delay_alu instid0(VALU_DEP_2) | instskip(SKIP_1) | instid1(VALU_DEP_2)
	v_dual_mov_b32 v5, v55 :: v_dual_sub_nc_u32 v0, 0x71, v52
	v_cmp_gt_u32_e32 vcc_lo, 0x72, v52
	v_cndmask_b32_e32 v0, 0, v0, vcc_lo
	v_cmp_eq_u32_e32 vcc_lo, 0, v52
	v_cndmask_b32_e32 v4, v4, v54, vcc_lo
	s_delay_alu instid0(VALU_DEP_3) | instskip(NEXT) | instid1(VALU_DEP_1)
	v_cndmask_b32_e64 v64, v0, 0x70, vcc_lo
	v_dual_add_nc_u32 v0, 21, v64 :: v_dual_add_nc_u32 v65, 20, v64
	s_delay_alu instid0(VALU_DEP_1) | instskip(NEXT) | instid1(VALU_DEP_2)
	v_lshlrev_b64_e64 v[0:1], v0, -1
	v_lshlrev_b64_e64 v[66:67], v65, 1
	s_delay_alu instid0(VALU_DEP_2) | instskip(NEXT) | instid1(VALU_DEP_3)
	v_bfi_b32 v69, v1, 0, 0
	v_bfi_b32 v68, v0, 0, v4
	v_lshrrev_b64 v[0:1], v64, v[4:5]
	s_delay_alu instid0(VALU_DEP_1) | instskip(NEXT) | instid1(VALU_DEP_3)
	v_mov_b64_e32 v[4:5], v[0:1]
	v_cmpx_eq_u64_e64 v[68:69], v[66:67]
; %bb.22118:                            ;   in Loop: Header=BB6_21110 Depth=2
	v_bfe_u32 v4, v0, 21, 1
	v_mov_b32_e32 v5, v55
	s_delay_alu instid0(VALU_DEP_1) | instskip(NEXT) | instid1(VALU_DEP_1)
	v_add_nc_u64_e32 v[4:5], v[0:1], v[4:5]
	v_add_nc_u64_e32 v[4:5], -1, v[4:5]
; %bb.22119:                            ;   in Loop: Header=BB6_21110 Depth=2
	s_or_b32 exec_lo, exec_lo, s29
	v_add_nc_u32_e32 v1, 0xffffff81, v52
	s_delay_alu instid0(VALU_DEP_2) | instskip(SKIP_2) | instid1(VALU_DEP_3)
	v_and_b32_e32 v4, 0x1fffff, v4
	v_lshrrev_b32_e32 v5, 23, v0
	s_mov_b32 s10, exec_lo
	v_cndmask_b32_e64 v1, v1, 0xffffff82, vcc_lo
	s_delay_alu instid0(VALU_DEP_3) | instskip(NEXT) | instid1(VALU_DEP_2)
	v_add_nc_u32_e32 v54, v4, v0
                                        ; implicit-def: $vgpr4
	v_add3_u32 v5, v64, v1, v5
                                        ; implicit-def: $vgpr0_vgpr1
	s_delay_alu instid0(VALU_DEP_1) | instskip(NEXT) | instid1(VALU_DEP_1)
	v_add_nc_u32_e32 v52, 14, v5
	v_cmpx_ne_u32_e32 0, v52
	s_xor_b32 s10, exec_lo, s10
; %bb.22120:                            ;   in Loop: Header=BB6_21110 Depth=2
	v_cmp_lt_u64_e32 vcc_lo, 0xffffff, v[54:55]
	v_add_nc_u32_e32 v0, 15, v5
	s_delay_alu instid0(VALU_DEP_1) | instskip(SKIP_1) | instid1(VALU_DEP_1)
	v_cndmask_b32_e32 v4, v52, v0, vcc_lo
	v_cndmask_b32_e64 v0, 0, 1, vcc_lo
	v_lshrrev_b64 v[0:1], v0, v[54:55]
; %bb.22121:                            ;   in Loop: Header=BB6_21110 Depth=2
	s_and_not1_saveexec_b32 s10, s10
; %bb.22122:                            ;   in Loop: Header=BB6_21110 Depth=2
	v_mov_b64_e32 v[0:1], v[54:55]
	v_bfe_u32 v4, v54, 23, 1
; %bb.22123:                            ;   in Loop: Header=BB6_21110 Depth=2
	s_or_b32 exec_lo, exec_lo, s10
	s_delay_alu instid0(VALU_DEP_2) | instskip(NEXT) | instid1(VALU_DEP_2)
	v_lshrrev_b64 v[0:1], 21, v[0:1]
	v_cmp_gt_i32_e32 vcc_lo, 32, v4
	v_cmp_ne_u32_e64 s10, 0, v4
                                        ; implicit-def: $vgpr52
	s_delay_alu instid0(VALU_DEP_3) | instskip(NEXT) | instid1(VALU_DEP_1)
	v_dual_cndmask_b32 v1, 0, v1 :: v_dual_cndmask_b32 v0, 3, v0
	v_cmp_ne_u64_e32 vcc_lo, 0, v[0:1]
	s_or_b32 s10, s10, vcc_lo
	s_delay_alu instid0(SALU_CYCLE_1) | instskip(NEXT) | instid1(SALU_CYCLE_1)
	s_and_saveexec_b32 s29, s10
	s_xor_b32 s10, exec_lo, s29
; %bb.22124:                            ;   in Loop: Header=BB6_21110 Depth=2
	v_min_i32_e32 v1, 31, v4
	s_delay_alu instid0(VALU_DEP_1) | instskip(NEXT) | instid1(VALU_DEP_1)
	v_lshl_or_b32 v1, v1, 2, v53
                                        ; implicit-def: $vgpr53
	v_and_or_b32 v52, v0, 3, v1
; %bb.22125:                            ;   in Loop: Header=BB6_21110 Depth=2
	s_and_not1_saveexec_b32 s10, s10
; %bb.22126:                            ;   in Loop: Header=BB6_21110 Depth=2
	v_mov_b32_e32 v52, v53
; %bb.22127:                            ;   in Loop: Header=BB6_21110 Depth=2
	s_or_b32 exec_lo, exec_lo, s10
.LBB6_22128:                            ;   in Loop: Header=BB6_21110 Depth=2
	s_delay_alu instid0(SALU_CYCLE_1)
	s_or_b32 exec_lo, exec_lo, s28
                                        ; implicit-def: $vgpr53
.LBB6_22129:                            ;   in Loop: Header=BB6_21110 Depth=2
	s_and_not1_saveexec_b32 s10, s27
; %bb.22130:                            ;   in Loop: Header=BB6_21110 Depth=2
	v_or_b32_e32 v52, 0x7b, v53
; %bb.22131:                            ;   in Loop: Header=BB6_21110 Depth=2
	s_or_b32 exec_lo, exec_lo, s10
                                        ; implicit-def: $vgpr0
.LBB6_22132:                            ;   in Loop: Header=BB6_21110 Depth=2
	s_and_not1_saveexec_b32 s10, s11
	s_cbranch_execz .LBB6_22138
; %bb.22133:                            ;   in Loop: Header=BB6_21110 Depth=2
	s_mov_b32 s11, exec_lo
                                        ; implicit-def: $vgpr52
	v_cmpx_ne_u64_e32 0, v[54:55]
	s_xor_b32 s11, exec_lo, s11
; %bb.22134:                            ;   in Loop: Header=BB6_21110 Depth=2
	v_lshrrev_b32_e32 v0, 24, v0
	s_delay_alu instid0(VALU_DEP_1)
	v_or_b32_e32 v52, 0x7f, v0
                                        ; implicit-def: $vgpr0
; %bb.22135:                            ;   in Loop: Header=BB6_21110 Depth=2
	s_and_not1_saveexec_b32 s11, s11
; %bb.22136:                            ;   in Loop: Header=BB6_21110 Depth=2
	v_cmp_lt_i32_e32 vcc_lo, -1, v0
	v_cndmask_b32_e64 v52, -4, 0x7c, vcc_lo
; %bb.22137:                            ;   in Loop: Header=BB6_21110 Depth=2
	s_or_b32 exec_lo, exec_lo, s11
.LBB6_22138:                            ;   in Loop: Header=BB6_21110 Depth=2
	s_delay_alu instid0(SALU_CYCLE_1)
	s_or_b32 exec_lo, exec_lo, s10
	flat_load_i8 v0, v[10:11] offset:960 th:TH_LOAD_NT
	v_mov_b32_e32 v4, 0
	s_mov_b32 s10, exec_lo
	s_wait_loadcnt_dscnt 0x0
	v_cmpx_ne_u16_e32 0, v0
	s_cbranch_execz .LBB6_22148
; %bb.22139:                            ;   in Loop: Header=BB6_21110 Depth=2
	v_bfrev_b32_e32 v4, 1
	s_mov_b32 s11, exec_lo
	v_cmpx_ne_u16_e32 0xff80, v0
	s_cbranch_execz .LBB6_22147
; %bb.22140:                            ;   in Loop: Header=BB6_21110 Depth=2
	v_and_b32_e32 v4, 0x7c, v0
	v_and_b32_e32 v1, 3, v0
	s_delay_alu instid0(VALU_DEP_2) | instskip(SKIP_1) | instid1(SALU_CYCLE_1)
	v_cmp_ne_u32_e32 vcc_lo, 0x7c, v4
                                        ; implicit-def: $vgpr4
	s_and_saveexec_b32 s27, vcc_lo
	s_xor_b32 s27, exec_lo, s27
	s_cbranch_execz .LBB6_22144
; %bb.22141:                            ;   in Loop: Header=BB6_21110 Depth=2
	v_and_b32_e32 v4, 0xff, v0
	s_mov_b32 s28, exec_lo
	s_delay_alu instid0(VALU_DEP_1) | instskip(NEXT) | instid1(VALU_DEP_1)
	v_bfe_u32 v4, v4, 2, 5
	v_cmpx_eq_u32_e32 0, v4
	s_cbranch_execz .LBB6_22143
; %bb.22142:                            ;   in Loop: Header=BB6_21110 Depth=2
	v_clz_i32_u32_e32 v1, v1
	s_delay_alu instid0(VALU_DEP_1) | instskip(SKIP_1) | instid1(VALU_DEP_2)
	v_min_u32_e32 v4, 32, v1
	v_mov_b32_e32 v1, v55
	v_subrev_nc_u32_e32 v5, 29, v4
	v_sub_nc_u32_e32 v4, 30, v4
	s_delay_alu instid0(VALU_DEP_2) | instskip(NEXT) | instid1(VALU_DEP_1)
	v_lshlrev_b64_e32 v[64:65], v5, v[0:1]
	v_and_b32_e32 v1, 3, v64
.LBB6_22143:                            ;   in Loop: Header=BB6_21110 Depth=2
	s_or_b32 exec_lo, exec_lo, s28
	v_bfe_i32 v0, v0, 0, 16
	s_delay_alu instid0(VALU_DEP_1) | instskip(NEXT) | instid1(VALU_DEP_1)
	v_and_b32_e32 v0, 0x80000000, v0
	v_lshl_add_u32 v0, v4, 23, v0
	s_delay_alu instid0(VALU_DEP_1) | instskip(NEXT) | instid1(VALU_DEP_1)
	v_lshl_or_b32 v0, v1, 21, v0
                                        ; implicit-def: $vgpr1
	v_add_nc_u32_e32 v4, 0x38000000, v0
                                        ; implicit-def: $vgpr0
.LBB6_22144:                            ;   in Loop: Header=BB6_21110 Depth=2
	s_and_not1_saveexec_b32 s27, s27
; %bb.22145:                            ;   in Loop: Header=BB6_21110 Depth=2
	v_cmp_lt_i16_e32 vcc_lo, -1, v0
	v_cndmask_b32_e32 v0, 0xff800000, v29, vcc_lo
	v_cmp_eq_u32_e32 vcc_lo, 0, v1
	s_delay_alu instid0(VALU_DEP_2)
	v_cndmask_b32_e32 v4, 0x7f800001, v0, vcc_lo
; %bb.22146:                            ;   in Loop: Header=BB6_21110 Depth=2
	s_or_b32 exec_lo, exec_lo, s27
.LBB6_22147:                            ;   in Loop: Header=BB6_21110 Depth=2
	s_delay_alu instid0(SALU_CYCLE_1)
	s_or_b32 exec_lo, exec_lo, s11
.LBB6_22148:                            ;   in Loop: Header=BB6_21110 Depth=2
	s_delay_alu instid0(SALU_CYCLE_1) | instskip(NEXT) | instid1(VALU_DEP_1)
	s_or_b32 exec_lo, exec_lo, s10
	v_dual_mul_f32 v0, s26, v4 :: v_dual_mov_b32 v5, v55
                                        ; implicit-def: $vgpr53
	s_mov_b32 s10, exec_lo
	s_delay_alu instid0(VALU_DEP_1) | instskip(SKIP_1) | instid1(VALU_DEP_2)
	v_and_b32_e32 v4, 0x7f800000, v0
	v_and_b32_e32 v54, 0x7fffff, v0
	v_cmpx_ne_u64_e32 0x7f800000, v[4:5]
	s_xor_b32 s11, exec_lo, s10
	s_cbranch_execz .LBB6_22166
; %bb.22149:                            ;   in Loop: Header=BB6_21110 Depth=2
	v_dual_mov_b32 v5, v55 :: v_dual_lshrrev_b32 v1, 24, v0
	v_and_b32_e32 v4, 0x7fffffff, v0
                                        ; implicit-def: $vgpr53
	s_mov_b32 s10, exec_lo
	s_delay_alu instid0(VALU_DEP_2) | instskip(NEXT) | instid1(VALU_DEP_2)
	v_and_b32_e32 v64, 0x80, v1
	v_cmpx_gt_u64_e32 0x47600001, v[4:5]
	s_xor_b32 s27, exec_lo, s10
	s_cbranch_execz .LBB6_22163
; %bb.22150:                            ;   in Loop: Header=BB6_21110 Depth=2
	v_mov_b32_e32 v53, 0
	s_mov_b32 s28, exec_lo
	v_cmpx_ne_u32_e32 0, v0
	s_cbranch_execz .LBB6_22162
; %bb.22151:                            ;   in Loop: Header=BB6_21110 Depth=2
	v_bfe_u32 v53, v0, 23, 8
	v_or_b32_e32 v4, 0x800000, v54
	s_mov_b32 s29, exec_lo
	s_delay_alu instid0(VALU_DEP_2) | instskip(SKIP_1) | instid1(VALU_DEP_2)
	v_dual_mov_b32 v5, v55 :: v_dual_sub_nc_u32 v0, 0x71, v53
	v_cmp_gt_u32_e32 vcc_lo, 0x72, v53
	v_cndmask_b32_e32 v0, 0, v0, vcc_lo
	v_cmp_eq_u32_e32 vcc_lo, 0, v53
	s_delay_alu instid0(VALU_DEP_2) | instskip(NEXT) | instid1(VALU_DEP_1)
	v_cndmask_b32_e64 v65, v0, 0x70, vcc_lo
	v_dual_cndmask_b32 v4, v4, v54, vcc_lo :: v_dual_add_nc_u32 v0, 21, v65
	v_add_nc_u32_e32 v66, 20, v65
	s_delay_alu instid0(VALU_DEP_2) | instskip(NEXT) | instid1(VALU_DEP_2)
	v_lshlrev_b64_e64 v[0:1], v0, -1
	v_lshlrev_b64_e64 v[66:67], v66, 1
	s_delay_alu instid0(VALU_DEP_2) | instskip(NEXT) | instid1(VALU_DEP_3)
	v_bfi_b32 v69, v1, 0, 0
	v_bfi_b32 v68, v0, 0, v4
	v_lshrrev_b64 v[0:1], v65, v[4:5]
	s_delay_alu instid0(VALU_DEP_1) | instskip(NEXT) | instid1(VALU_DEP_3)
	v_mov_b64_e32 v[4:5], v[0:1]
	v_cmpx_eq_u64_e64 v[68:69], v[66:67]
; %bb.22152:                            ;   in Loop: Header=BB6_21110 Depth=2
	v_bfe_u32 v4, v0, 21, 1
	v_mov_b32_e32 v5, v55
	s_delay_alu instid0(VALU_DEP_1) | instskip(NEXT) | instid1(VALU_DEP_1)
	v_add_nc_u64_e32 v[4:5], v[0:1], v[4:5]
	v_add_nc_u64_e32 v[4:5], -1, v[4:5]
; %bb.22153:                            ;   in Loop: Header=BB6_21110 Depth=2
	s_or_b32 exec_lo, exec_lo, s29
	v_add_nc_u32_e32 v1, 0xffffff81, v53
	s_delay_alu instid0(VALU_DEP_2) | instskip(SKIP_2) | instid1(VALU_DEP_3)
	v_and_b32_e32 v4, 0x1fffff, v4
	v_lshrrev_b32_e32 v5, 23, v0
	s_mov_b32 s10, exec_lo
	v_cndmask_b32_e64 v1, v1, 0xffffff82, vcc_lo
	s_delay_alu instid0(VALU_DEP_3) | instskip(NEXT) | instid1(VALU_DEP_2)
	v_add_nc_u32_e32 v54, v4, v0
                                        ; implicit-def: $vgpr4
	v_add3_u32 v5, v65, v1, v5
                                        ; implicit-def: $vgpr0_vgpr1
	s_delay_alu instid0(VALU_DEP_1) | instskip(NEXT) | instid1(VALU_DEP_1)
	v_add_nc_u32_e32 v53, 14, v5
	v_cmpx_ne_u32_e32 0, v53
	s_xor_b32 s10, exec_lo, s10
; %bb.22154:                            ;   in Loop: Header=BB6_21110 Depth=2
	v_cmp_lt_u64_e32 vcc_lo, 0xffffff, v[54:55]
	v_add_nc_u32_e32 v0, 15, v5
	s_delay_alu instid0(VALU_DEP_1) | instskip(SKIP_1) | instid1(VALU_DEP_1)
	v_cndmask_b32_e32 v4, v53, v0, vcc_lo
	v_cndmask_b32_e64 v0, 0, 1, vcc_lo
	v_lshrrev_b64 v[0:1], v0, v[54:55]
; %bb.22155:                            ;   in Loop: Header=BB6_21110 Depth=2
	s_and_not1_saveexec_b32 s10, s10
; %bb.22156:                            ;   in Loop: Header=BB6_21110 Depth=2
	v_mov_b64_e32 v[0:1], v[54:55]
	v_bfe_u32 v4, v54, 23, 1
; %bb.22157:                            ;   in Loop: Header=BB6_21110 Depth=2
	s_or_b32 exec_lo, exec_lo, s10
	s_delay_alu instid0(VALU_DEP_2) | instskip(NEXT) | instid1(VALU_DEP_2)
	v_lshrrev_b64 v[0:1], 21, v[0:1]
	v_cmp_gt_i32_e32 vcc_lo, 32, v4
	v_cmp_ne_u32_e64 s10, 0, v4
                                        ; implicit-def: $vgpr53
	s_delay_alu instid0(VALU_DEP_3) | instskip(NEXT) | instid1(VALU_DEP_1)
	v_dual_cndmask_b32 v1, 0, v1 :: v_dual_cndmask_b32 v0, 3, v0
	v_cmp_ne_u64_e32 vcc_lo, 0, v[0:1]
	s_or_b32 s10, s10, vcc_lo
	s_delay_alu instid0(SALU_CYCLE_1) | instskip(NEXT) | instid1(SALU_CYCLE_1)
	s_and_saveexec_b32 s29, s10
	s_xor_b32 s10, exec_lo, s29
; %bb.22158:                            ;   in Loop: Header=BB6_21110 Depth=2
	v_min_i32_e32 v1, 31, v4
	s_delay_alu instid0(VALU_DEP_1) | instskip(NEXT) | instid1(VALU_DEP_1)
	v_lshl_or_b32 v1, v1, 2, v64
                                        ; implicit-def: $vgpr64
	v_and_or_b32 v53, v0, 3, v1
; %bb.22159:                            ;   in Loop: Header=BB6_21110 Depth=2
	s_and_not1_saveexec_b32 s10, s10
; %bb.22160:                            ;   in Loop: Header=BB6_21110 Depth=2
	v_mov_b32_e32 v53, v64
; %bb.22161:                            ;   in Loop: Header=BB6_21110 Depth=2
	s_or_b32 exec_lo, exec_lo, s10
.LBB6_22162:                            ;   in Loop: Header=BB6_21110 Depth=2
	s_delay_alu instid0(SALU_CYCLE_1)
	s_or_b32 exec_lo, exec_lo, s28
                                        ; implicit-def: $vgpr64
.LBB6_22163:                            ;   in Loop: Header=BB6_21110 Depth=2
	s_and_not1_saveexec_b32 s10, s27
; %bb.22164:                            ;   in Loop: Header=BB6_21110 Depth=2
	v_or_b32_e32 v53, 0x7b, v64
; %bb.22165:                            ;   in Loop: Header=BB6_21110 Depth=2
	s_or_b32 exec_lo, exec_lo, s10
                                        ; implicit-def: $vgpr0
.LBB6_22166:                            ;   in Loop: Header=BB6_21110 Depth=2
	s_and_not1_saveexec_b32 s10, s11
	s_cbranch_execz .LBB6_22172
; %bb.22167:                            ;   in Loop: Header=BB6_21110 Depth=2
	s_mov_b32 s11, exec_lo
                                        ; implicit-def: $vgpr53
	v_cmpx_ne_u64_e32 0, v[54:55]
	s_xor_b32 s11, exec_lo, s11
; %bb.22168:                            ;   in Loop: Header=BB6_21110 Depth=2
	v_lshrrev_b32_e32 v0, 24, v0
	s_delay_alu instid0(VALU_DEP_1)
	v_or_b32_e32 v53, 0x7f, v0
                                        ; implicit-def: $vgpr0
; %bb.22169:                            ;   in Loop: Header=BB6_21110 Depth=2
	s_and_not1_saveexec_b32 s11, s11
; %bb.22170:                            ;   in Loop: Header=BB6_21110 Depth=2
	v_cmp_lt_i32_e32 vcc_lo, -1, v0
	v_cndmask_b32_e64 v53, -4, 0x7c, vcc_lo
; %bb.22171:                            ;   in Loop: Header=BB6_21110 Depth=2
	s_or_b32 exec_lo, exec_lo, s11
.LBB6_22172:                            ;   in Loop: Header=BB6_21110 Depth=2
	s_delay_alu instid0(SALU_CYCLE_1)
	s_or_b32 exec_lo, exec_lo, s10
	flat_load_i8 v0, v[10:11] offset:992 th:TH_LOAD_NT
	v_mov_b32_e32 v4, 0
	s_mov_b32 s10, exec_lo
	s_wait_loadcnt_dscnt 0x0
	v_cmpx_ne_u16_e32 0, v0
	s_cbranch_execz .LBB6_22182
; %bb.22173:                            ;   in Loop: Header=BB6_21110 Depth=2
	v_bfrev_b32_e32 v4, 1
	s_mov_b32 s11, exec_lo
	v_cmpx_ne_u16_e32 0xff80, v0
	s_cbranch_execz .LBB6_22181
; %bb.22174:                            ;   in Loop: Header=BB6_21110 Depth=2
	v_and_b32_e32 v4, 0x7c, v0
	v_and_b32_e32 v1, 3, v0
	s_delay_alu instid0(VALU_DEP_2) | instskip(SKIP_1) | instid1(SALU_CYCLE_1)
	v_cmp_ne_u32_e32 vcc_lo, 0x7c, v4
                                        ; implicit-def: $vgpr4
	s_and_saveexec_b32 s27, vcc_lo
	s_xor_b32 s27, exec_lo, s27
	s_cbranch_execz .LBB6_22178
; %bb.22175:                            ;   in Loop: Header=BB6_21110 Depth=2
	v_and_b32_e32 v4, 0xff, v0
	s_mov_b32 s28, exec_lo
	s_delay_alu instid0(VALU_DEP_1) | instskip(NEXT) | instid1(VALU_DEP_1)
	v_bfe_u32 v4, v4, 2, 5
	v_cmpx_eq_u32_e32 0, v4
	s_cbranch_execz .LBB6_22177
; %bb.22176:                            ;   in Loop: Header=BB6_21110 Depth=2
	v_clz_i32_u32_e32 v1, v1
	s_delay_alu instid0(VALU_DEP_1) | instskip(SKIP_1) | instid1(VALU_DEP_2)
	v_min_u32_e32 v4, 32, v1
	v_mov_b32_e32 v1, v55
	v_subrev_nc_u32_e32 v5, 29, v4
	v_sub_nc_u32_e32 v4, 30, v4
	s_delay_alu instid0(VALU_DEP_2) | instskip(NEXT) | instid1(VALU_DEP_1)
	v_lshlrev_b64_e32 v[10:11], v5, v[0:1]
	v_and_b32_e32 v1, 3, v10
.LBB6_22177:                            ;   in Loop: Header=BB6_21110 Depth=2
	s_or_b32 exec_lo, exec_lo, s28
	v_bfe_i32 v0, v0, 0, 16
	s_delay_alu instid0(VALU_DEP_1) | instskip(NEXT) | instid1(VALU_DEP_1)
	v_and_b32_e32 v0, 0x80000000, v0
	v_lshl_add_u32 v0, v4, 23, v0
	s_delay_alu instid0(VALU_DEP_1) | instskip(NEXT) | instid1(VALU_DEP_1)
	v_lshl_or_b32 v0, v1, 21, v0
                                        ; implicit-def: $vgpr1
	v_add_nc_u32_e32 v4, 0x38000000, v0
                                        ; implicit-def: $vgpr0
.LBB6_22178:                            ;   in Loop: Header=BB6_21110 Depth=2
	s_and_not1_saveexec_b32 s27, s27
; %bb.22179:                            ;   in Loop: Header=BB6_21110 Depth=2
	v_cmp_lt_i16_e32 vcc_lo, -1, v0
	v_cndmask_b32_e32 v0, 0xff800000, v29, vcc_lo
	v_cmp_eq_u32_e32 vcc_lo, 0, v1
	s_delay_alu instid0(VALU_DEP_2)
	v_cndmask_b32_e32 v4, 0x7f800001, v0, vcc_lo
; %bb.22180:                            ;   in Loop: Header=BB6_21110 Depth=2
	s_or_b32 exec_lo, exec_lo, s27
.LBB6_22181:                            ;   in Loop: Header=BB6_21110 Depth=2
	s_delay_alu instid0(SALU_CYCLE_1)
	s_or_b32 exec_lo, exec_lo, s11
.LBB6_22182:                            ;   in Loop: Header=BB6_21110 Depth=2
	s_delay_alu instid0(SALU_CYCLE_1) | instskip(NEXT) | instid1(VALU_DEP_1)
	s_or_b32 exec_lo, exec_lo, s10
	v_dual_mul_f32 v0, s26, v4 :: v_dual_mov_b32 v5, v55
                                        ; implicit-def: $vgpr1
	s_mov_b32 s10, exec_lo
	s_delay_alu instid0(VALU_DEP_1) | instskip(SKIP_1) | instid1(VALU_DEP_2)
	v_and_b32_e32 v4, 0x7f800000, v0
	v_and_b32_e32 v54, 0x7fffff, v0
	v_cmpx_ne_u64_e32 0x7f800000, v[4:5]
	s_xor_b32 s11, exec_lo, s10
	s_cbranch_execz .LBB6_22200
; %bb.22183:                            ;   in Loop: Header=BB6_21110 Depth=2
	v_dual_mov_b32 v5, v55 :: v_dual_lshrrev_b32 v1, 24, v0
	v_and_b32_e32 v4, 0x7fffffff, v0
	s_mov_b32 s10, exec_lo
	s_delay_alu instid0(VALU_DEP_2) | instskip(NEXT) | instid1(VALU_DEP_2)
	v_and_b32_e32 v10, 0x80, v1
                                        ; implicit-def: $vgpr1
	v_cmpx_gt_u64_e32 0x47600001, v[4:5]
	s_xor_b32 s26, exec_lo, s10
	s_cbranch_execz .LBB6_22197
; %bb.22184:                            ;   in Loop: Header=BB6_21110 Depth=2
	v_mov_b32_e32 v1, 0
	s_mov_b32 s27, exec_lo
	v_cmpx_ne_u32_e32 0, v0
	s_cbranch_execz .LBB6_22196
; %bb.22185:                            ;   in Loop: Header=BB6_21110 Depth=2
	v_bfe_u32 v11, v0, 23, 8
	v_or_b32_e32 v4, 0x800000, v54
	s_mov_b32 s28, exec_lo
	s_delay_alu instid0(VALU_DEP_2) | instskip(SKIP_1) | instid1(VALU_DEP_2)
	v_dual_mov_b32 v5, v55 :: v_dual_sub_nc_u32 v0, 0x71, v11
	v_cmp_gt_u32_e32 vcc_lo, 0x72, v11
	v_cndmask_b32_e32 v0, 0, v0, vcc_lo
	v_cmp_eq_u32_e32 vcc_lo, 0, v11
	v_cndmask_b32_e32 v4, v4, v54, vcc_lo
	s_delay_alu instid0(VALU_DEP_3) | instskip(NEXT) | instid1(VALU_DEP_1)
	v_cndmask_b32_e64 v64, v0, 0x70, vcc_lo
	v_dual_add_nc_u32 v0, 21, v64 :: v_dual_add_nc_u32 v65, 20, v64
	s_delay_alu instid0(VALU_DEP_1) | instskip(NEXT) | instid1(VALU_DEP_2)
	v_lshlrev_b64_e64 v[0:1], v0, -1
	v_lshlrev_b64_e64 v[66:67], v65, 1
	s_delay_alu instid0(VALU_DEP_2) | instskip(NEXT) | instid1(VALU_DEP_3)
	v_bfi_b32 v69, v1, 0, 0
	v_bfi_b32 v68, v0, 0, v4
	v_lshrrev_b64 v[0:1], v64, v[4:5]
	s_delay_alu instid0(VALU_DEP_1) | instskip(NEXT) | instid1(VALU_DEP_3)
	v_mov_b64_e32 v[4:5], v[0:1]
	v_cmpx_eq_u64_e64 v[68:69], v[66:67]
; %bb.22186:                            ;   in Loop: Header=BB6_21110 Depth=2
	v_bfe_u32 v4, v0, 21, 1
	v_mov_b32_e32 v5, v55
	s_delay_alu instid0(VALU_DEP_1) | instskip(NEXT) | instid1(VALU_DEP_1)
	v_add_nc_u64_e32 v[4:5], v[0:1], v[4:5]
	v_add_nc_u64_e32 v[4:5], -1, v[4:5]
; %bb.22187:                            ;   in Loop: Header=BB6_21110 Depth=2
	s_or_b32 exec_lo, exec_lo, s28
	v_add_nc_u32_e32 v1, 0xffffff81, v11
	s_delay_alu instid0(VALU_DEP_2) | instskip(SKIP_2) | instid1(VALU_DEP_3)
	v_and_b32_e32 v4, 0x1fffff, v4
	v_lshrrev_b32_e32 v5, 23, v0
	s_mov_b32 s10, exec_lo
	v_cndmask_b32_e64 v1, v1, 0xffffff82, vcc_lo
	s_delay_alu instid0(VALU_DEP_3) | instskip(NEXT) | instid1(VALU_DEP_2)
	v_add_nc_u32_e32 v54, v4, v0
                                        ; implicit-def: $vgpr4
	v_add3_u32 v5, v64, v1, v5
                                        ; implicit-def: $vgpr0_vgpr1
	s_delay_alu instid0(VALU_DEP_1) | instskip(NEXT) | instid1(VALU_DEP_1)
	v_add_nc_u32_e32 v11, 14, v5
	v_cmpx_ne_u32_e32 0, v11
	s_xor_b32 s10, exec_lo, s10
; %bb.22188:                            ;   in Loop: Header=BB6_21110 Depth=2
	v_cmp_lt_u64_e32 vcc_lo, 0xffffff, v[54:55]
	v_add_nc_u32_e32 v0, 15, v5
	s_delay_alu instid0(VALU_DEP_1) | instskip(SKIP_1) | instid1(VALU_DEP_1)
	v_cndmask_b32_e32 v4, v11, v0, vcc_lo
	v_cndmask_b32_e64 v0, 0, 1, vcc_lo
	v_lshrrev_b64 v[0:1], v0, v[54:55]
; %bb.22189:                            ;   in Loop: Header=BB6_21110 Depth=2
	s_and_not1_saveexec_b32 s10, s10
; %bb.22190:                            ;   in Loop: Header=BB6_21110 Depth=2
	v_mov_b64_e32 v[0:1], v[54:55]
	v_bfe_u32 v4, v54, 23, 1
; %bb.22191:                            ;   in Loop: Header=BB6_21110 Depth=2
	s_or_b32 exec_lo, exec_lo, s10
	s_delay_alu instid0(VALU_DEP_2) | instskip(NEXT) | instid1(VALU_DEP_2)
	v_lshrrev_b64 v[0:1], 21, v[0:1]
	v_cmp_gt_i32_e32 vcc_lo, 32, v4
	v_cmp_ne_u32_e64 s10, 0, v4
	s_delay_alu instid0(VALU_DEP_3) | instskip(NEXT) | instid1(VALU_DEP_1)
	v_dual_cndmask_b32 v1, 0, v1 :: v_dual_cndmask_b32 v0, 3, v0
	v_cmp_ne_u64_e32 vcc_lo, 0, v[0:1]
                                        ; implicit-def: $vgpr1
	s_or_b32 s10, s10, vcc_lo
	s_delay_alu instid0(SALU_CYCLE_1) | instskip(NEXT) | instid1(SALU_CYCLE_1)
	s_and_saveexec_b32 s28, s10
	s_xor_b32 s10, exec_lo, s28
; %bb.22192:                            ;   in Loop: Header=BB6_21110 Depth=2
	v_min_i32_e32 v1, 31, v4
	s_delay_alu instid0(VALU_DEP_1) | instskip(NEXT) | instid1(VALU_DEP_1)
	v_lshl_or_b32 v1, v1, 2, v10
                                        ; implicit-def: $vgpr10
	v_and_or_b32 v1, v0, 3, v1
; %bb.22193:                            ;   in Loop: Header=BB6_21110 Depth=2
	s_and_not1_saveexec_b32 s10, s10
; %bb.22194:                            ;   in Loop: Header=BB6_21110 Depth=2
	v_mov_b32_e32 v1, v10
; %bb.22195:                            ;   in Loop: Header=BB6_21110 Depth=2
	s_or_b32 exec_lo, exec_lo, s10
.LBB6_22196:                            ;   in Loop: Header=BB6_21110 Depth=2
	s_delay_alu instid0(SALU_CYCLE_1)
	s_or_b32 exec_lo, exec_lo, s27
                                        ; implicit-def: $vgpr10
.LBB6_22197:                            ;   in Loop: Header=BB6_21110 Depth=2
	s_and_not1_saveexec_b32 s10, s26
; %bb.22198:                            ;   in Loop: Header=BB6_21110 Depth=2
	v_or_b32_e32 v1, 0x7b, v10
; %bb.22199:                            ;   in Loop: Header=BB6_21110 Depth=2
	s_or_b32 exec_lo, exec_lo, s10
                                        ; implicit-def: $vgpr0
.LBB6_22200:                            ;   in Loop: Header=BB6_21110 Depth=2
	s_and_not1_saveexec_b32 s10, s11
	s_cbranch_execz .LBB6_21109
; %bb.22201:                            ;   in Loop: Header=BB6_21110 Depth=2
	s_mov_b32 s11, exec_lo
                                        ; implicit-def: $vgpr1
	v_cmpx_ne_u64_e32 0, v[54:55]
	s_xor_b32 s11, exec_lo, s11
; %bb.22202:                            ;   in Loop: Header=BB6_21110 Depth=2
	v_lshrrev_b32_e32 v0, 24, v0
	s_delay_alu instid0(VALU_DEP_1)
	v_or_b32_e32 v1, 0x7f, v0
                                        ; implicit-def: $vgpr0
; %bb.22203:                            ;   in Loop: Header=BB6_21110 Depth=2
	s_and_not1_saveexec_b32 s11, s11
	s_cbranch_execz .LBB6_21108
; %bb.22204:                            ;   in Loop: Header=BB6_21110 Depth=2
	v_cmp_lt_i32_e32 vcc_lo, -1, v0
	v_cndmask_b32_e64 v1, -4, 0x7c, vcc_lo
	s_branch .LBB6_21108
.LBB6_22205:                            ;   in Loop: Header=BB6_16686 Depth=1
	s_or_b32 exec_lo, exec_lo, s25
.LBB6_22206:                            ;   in Loop: Header=BB6_16686 Depth=1
	s_delay_alu instid0(SALU_CYCLE_1) | instskip(SKIP_1) | instid1(VALU_DEP_1)
	s_or_b32 exec_lo, exec_lo, s24
	v_and_b32_e32 v2, 0xfffffc00, v7
	v_cmp_ne_u32_e32 vcc_lo, v7, v2
	s_and_b32 exec_lo, exec_lo, vcc_lo
	s_cbranch_execz .LBB6_22252
; %bb.22207:                            ;   in Loop: Header=BB6_16686 Depth=1
	v_dual_lshlrev_b32 v0, 5, v9 :: v_dual_lshlrev_b32 v1, 5, v12
	s_delay_alu instid0(VALU_DEP_1) | instskip(NEXT) | instid1(VALU_DEP_1)
	v_sub_nc_u32_e32 v0, v8, v0
	v_sub_nc_u32_e32 v3, v0, v1
	v_and_b32_e32 v0, 0x3ff, v7
	s_delay_alu instid0(VALU_DEP_1) | instskip(NEXT) | instid1(VALU_DEP_1)
	v_sub_nc_u32_e32 v10, v0, v3
	v_cmp_lt_i32_e32 vcc_lo, 0, v10
	s_and_b32 exec_lo, exec_lo, vcc_lo
	s_cbranch_execz .LBB6_22252
; %bb.22208:                            ;   in Loop: Header=BB6_16686 Depth=1
	s_trap 2
	ds_load_b64 v[0:1], v0
	v_add3_u32 v2, v2, v6, v3
	s_mov_b32 s24, 0
	s_delay_alu instid0(VALU_DEP_1)
	v_ashrrev_i32_e32 v3, 31, v2
	s_branch .LBB6_22211
.LBB6_22209:                            ;   in Loop: Header=BB6_22211 Depth=2
	s_or_b32 exec_lo, exec_lo, s11
.LBB6_22210:                            ;   in Loop: Header=BB6_22211 Depth=2
	s_delay_alu instid0(SALU_CYCLE_1)
	s_or_b32 exec_lo, exec_lo, s10
	v_sub_nc_u32_e32 v10, v10, v86
	v_add_nc_u64_e32 v[2:3], v[2:3], v[86:87]
	flat_store_b8 v[4:5], v7 th:TH_STORE_NT
	v_cmp_gt_i32_e32 vcc_lo, 1, v10
	s_or_b32 s24, vcc_lo, s24
	s_wait_xcnt 0x0
	s_and_not1_b32 exec_lo, exec_lo, s24
	s_cbranch_execz .LBB6_22252
.LBB6_22211:                            ;   Parent Loop BB6_16686 Depth=1
                                        ; =>  This Inner Loop Header: Depth=2
	s_trap 2
	s_wait_dscnt 0x0
	ds_load_b64 v[4:5], v0
	s_mov_b32 s25, 0
	s_wait_dscnt 0x0
	v_and_b32_e32 v6, 0xff, v4
	v_readfirstlane_b32 s10, v4
	v_readfirstlane_b32 s11, v5
	s_delay_alu instid0(VALU_DEP_3)
	v_cmp_eq_u32_e32 vcc_lo, 0, v6
	s_cbranch_vccnz .LBB6_22219
; %bb.22212:                            ;   in Loop: Header=BB6_22211 Depth=2
	s_bfe_i32 s27, s10, 0x80000
	s_delay_alu instid0(SALU_CYCLE_1) | instskip(NEXT) | instid1(SALU_CYCLE_1)
	s_and_b32 s25, 0xffff, s27
	s_cmp_eq_u32 s25, 0xff80
	s_brev_b32 s25, 1
	s_cbranch_scc1 .LBB6_22219
; %bb.22213:                            ;   in Loop: Header=BB6_22211 Depth=2
	s_and_b32 s25, s10, 0x7c
	s_and_b32 s26, s10, 3
	s_mov_b32 s28, -1
	s_cmp_lg_u32 s25, 0x7c
	s_sext_i32_i16 s27, s27
                                        ; implicit-def: $sgpr25
	s_cbranch_scc0 .LBB6_22217
; %bb.22214:                            ;   in Loop: Header=BB6_22211 Depth=2
	s_bfe_u32 s25, s10, 0x50002
	s_mov_b32 s28, s26
	s_cmp_lg_u32 s25, 0
	s_cbranch_scc1 .LBB6_22216
; %bb.22215:                            ;   in Loop: Header=BB6_22211 Depth=2
	s_clz_i32_u32 s25, s26
	s_delay_alu instid0(SALU_CYCLE_1) | instskip(NEXT) | instid1(SALU_CYCLE_1)
	s_min_u32 s25, s25, 32
	s_sub_co_i32 s28, s25, 29
	s_sub_co_i32 s25, 30, s25
	s_lshl_b64 s[10:11], s[10:11], s28
	s_delay_alu instid0(SALU_CYCLE_1)
	s_and_b32 s28, s10, 3
.LBB6_22216:                            ;   in Loop: Header=BB6_22211 Depth=2
	s_and_b32 s10, s27, 0x80000000
	s_lshl_b32 s11, s25, 23
	s_lshl_b32 s25, s28, 21
	s_add_co_i32 s11, s11, s10
	s_mov_b32 s28, 0
	s_or_b32 s10, s11, s25
	s_delay_alu instid0(SALU_CYCLE_1)
	s_add_co_i32 s25, s10, 0x38000000
.LBB6_22217:                            ;   in Loop: Header=BB6_22211 Depth=2
	s_and_b32 vcc_lo, exec_lo, s28
	s_cbranch_vccz .LBB6_22219
; %bb.22218:                            ;   in Loop: Header=BB6_22211 Depth=2
	s_cmp_gt_i32 s27, -1
	s_cselect_b32 s10, s20, 0xff800000
	s_cmp_eq_u32 s26, 0
	s_cselect_b32 s25, s10, 0x7f800001
.LBB6_22219:                            ;   in Loop: Header=BB6_22211 Depth=2
	v_add_nc_u64_e32 v[4:5], v[0:1], v[2:3]
	v_mov_b32_e32 v8, 0
	s_mov_b32 s10, exec_lo
	flat_load_i8 v6, v[4:5] th:TH_LOAD_NT
	s_wait_loadcnt_dscnt 0x0
	v_cmpx_ne_u16_e32 0, v6
	s_cbranch_execz .LBB6_22229
; %bb.22220:                            ;   in Loop: Header=BB6_22211 Depth=2
	v_bfrev_b32_e32 v8, 1
	s_mov_b32 s11, exec_lo
	v_cmpx_ne_u16_e32 0xff80, v6
	s_cbranch_execz .LBB6_22228
; %bb.22221:                            ;   in Loop: Header=BB6_22211 Depth=2
	v_and_b32_e32 v8, 0x7c, v6
	v_and_b32_e32 v7, 3, v6
	s_delay_alu instid0(VALU_DEP_2) | instskip(SKIP_1) | instid1(SALU_CYCLE_1)
	v_cmp_ne_u32_e32 vcc_lo, 0x7c, v8
                                        ; implicit-def: $vgpr8
	s_and_saveexec_b32 s26, vcc_lo
	s_xor_b32 s26, exec_lo, s26
	s_cbranch_execz .LBB6_22225
; %bb.22222:                            ;   in Loop: Header=BB6_22211 Depth=2
	v_and_b32_e32 v8, 0xff, v6
	s_mov_b32 s27, exec_lo
	s_delay_alu instid0(VALU_DEP_1) | instskip(NEXT) | instid1(VALU_DEP_1)
	v_bfe_u32 v8, v8, 2, 5
	v_cmpx_eq_u32_e32 0, v8
	s_cbranch_execz .LBB6_22224
; %bb.22223:                            ;   in Loop: Header=BB6_22211 Depth=2
	v_clz_i32_u32_e32 v7, v7
	s_delay_alu instid0(VALU_DEP_1) | instskip(SKIP_1) | instid1(VALU_DEP_2)
	v_min_u32_e32 v8, 32, v7
	v_mov_b32_e32 v7, v55
	v_subrev_nc_u32_e32 v9, 29, v8
	v_sub_nc_u32_e32 v8, 30, v8
	s_delay_alu instid0(VALU_DEP_2) | instskip(NEXT) | instid1(VALU_DEP_1)
	v_lshlrev_b64_e32 v[12:13], v9, v[6:7]
	v_and_b32_e32 v7, 3, v12
.LBB6_22224:                            ;   in Loop: Header=BB6_22211 Depth=2
	s_or_b32 exec_lo, exec_lo, s27
	v_bfe_i32 v6, v6, 0, 16
	s_delay_alu instid0(VALU_DEP_1) | instskip(NEXT) | instid1(VALU_DEP_1)
	v_and_b32_e32 v6, 0x80000000, v6
	v_lshl_add_u32 v6, v8, 23, v6
	s_delay_alu instid0(VALU_DEP_1) | instskip(NEXT) | instid1(VALU_DEP_1)
	v_lshl_or_b32 v6, v7, 21, v6
                                        ; implicit-def: $vgpr7
	v_add_nc_u32_e32 v8, 0x38000000, v6
                                        ; implicit-def: $vgpr6
.LBB6_22225:                            ;   in Loop: Header=BB6_22211 Depth=2
	s_and_not1_saveexec_b32 s26, s26
; %bb.22226:                            ;   in Loop: Header=BB6_22211 Depth=2
	v_cmp_lt_i16_e32 vcc_lo, -1, v6
	v_cndmask_b32_e32 v6, 0xff800000, v29, vcc_lo
	v_cmp_eq_u32_e32 vcc_lo, 0, v7
	s_delay_alu instid0(VALU_DEP_2)
	v_cndmask_b32_e32 v8, 0x7f800001, v6, vcc_lo
; %bb.22227:                            ;   in Loop: Header=BB6_22211 Depth=2
	s_or_b32 exec_lo, exec_lo, s26
.LBB6_22228:                            ;   in Loop: Header=BB6_22211 Depth=2
	s_delay_alu instid0(SALU_CYCLE_1)
	s_or_b32 exec_lo, exec_lo, s11
.LBB6_22229:                            ;   in Loop: Header=BB6_22211 Depth=2
	s_delay_alu instid0(SALU_CYCLE_1) | instskip(NEXT) | instid1(VALU_DEP_1)
	s_or_b32 exec_lo, exec_lo, s10
	v_dual_mul_f32 v6, s25, v8 :: v_dual_mov_b32 v9, v55
                                        ; implicit-def: $vgpr7
	s_mov_b32 s10, exec_lo
	s_delay_alu instid0(VALU_DEP_1) | instskip(SKIP_1) | instid1(VALU_DEP_2)
	v_and_b32_e32 v8, 0x7f800000, v6
	v_and_b32_e32 v54, 0x7fffff, v6
	v_cmpx_ne_u64_e32 0x7f800000, v[8:9]
	s_xor_b32 s11, exec_lo, s10
	s_cbranch_execz .LBB6_22247
; %bb.22230:                            ;   in Loop: Header=BB6_22211 Depth=2
	v_dual_mov_b32 v9, v55 :: v_dual_lshrrev_b32 v7, 24, v6
	v_and_b32_e32 v8, 0x7fffffff, v6
	s_mov_b32 s10, exec_lo
	s_delay_alu instid0(VALU_DEP_2) | instskip(NEXT) | instid1(VALU_DEP_2)
	v_and_b32_e32 v11, 0x80, v7
                                        ; implicit-def: $vgpr7
	v_cmpx_gt_u64_e32 0x47600001, v[8:9]
	s_xor_b32 s25, exec_lo, s10
	s_cbranch_execz .LBB6_22244
; %bb.22231:                            ;   in Loop: Header=BB6_22211 Depth=2
	v_mov_b32_e32 v7, 0
	s_mov_b32 s26, exec_lo
	v_cmpx_ne_u32_e32 0, v6
	s_cbranch_execz .LBB6_22243
; %bb.22232:                            ;   in Loop: Header=BB6_22211 Depth=2
	v_bfe_u32 v12, v6, 23, 8
	v_or_b32_e32 v8, 0x800000, v54
	s_mov_b32 s27, exec_lo
	s_delay_alu instid0(VALU_DEP_2) | instskip(SKIP_1) | instid1(VALU_DEP_2)
	v_dual_mov_b32 v9, v55 :: v_dual_sub_nc_u32 v6, 0x71, v12
	v_cmp_gt_u32_e32 vcc_lo, 0x72, v12
	v_cndmask_b32_e32 v6, 0, v6, vcc_lo
	v_cmp_eq_u32_e32 vcc_lo, 0, v12
	s_delay_alu instid0(VALU_DEP_2) | instskip(NEXT) | instid1(VALU_DEP_1)
	v_cndmask_b32_e64 v13, v6, 0x70, vcc_lo
	v_dual_cndmask_b32 v8, v8, v54, vcc_lo :: v_dual_add_nc_u32 v6, 21, v13
	v_add_nc_u32_e32 v14, 20, v13
	s_delay_alu instid0(VALU_DEP_2) | instskip(NEXT) | instid1(VALU_DEP_2)
	v_lshlrev_b64_e64 v[6:7], v6, -1
	v_lshlrev_b64_e64 v[14:15], v14, 1
	s_delay_alu instid0(VALU_DEP_2) | instskip(NEXT) | instid1(VALU_DEP_3)
	v_bfi_b32 v17, v7, 0, 0
	v_bfi_b32 v16, v6, 0, v8
	v_lshrrev_b64 v[6:7], v13, v[8:9]
	s_delay_alu instid0(VALU_DEP_1) | instskip(NEXT) | instid1(VALU_DEP_3)
	v_mov_b64_e32 v[8:9], v[6:7]
	v_cmpx_eq_u64_e64 v[16:17], v[14:15]
; %bb.22233:                            ;   in Loop: Header=BB6_22211 Depth=2
	v_bfe_u32 v8, v6, 21, 1
	v_mov_b32_e32 v9, v55
	s_delay_alu instid0(VALU_DEP_1) | instskip(NEXT) | instid1(VALU_DEP_1)
	v_add_nc_u64_e32 v[8:9], v[6:7], v[8:9]
	v_add_nc_u64_e32 v[8:9], -1, v[8:9]
; %bb.22234:                            ;   in Loop: Header=BB6_22211 Depth=2
	s_or_b32 exec_lo, exec_lo, s27
	v_add_nc_u32_e32 v7, 0xffffff81, v12
	s_delay_alu instid0(VALU_DEP_2) | instskip(SKIP_2) | instid1(VALU_DEP_3)
	v_and_b32_e32 v8, 0x1fffff, v8
	v_lshrrev_b32_e32 v9, 23, v6
	s_mov_b32 s10, exec_lo
	v_cndmask_b32_e64 v7, v7, 0xffffff82, vcc_lo
	s_delay_alu instid0(VALU_DEP_3) | instskip(NEXT) | instid1(VALU_DEP_2)
	v_add_nc_u32_e32 v54, v8, v6
                                        ; implicit-def: $vgpr8
	v_add3_u32 v9, v13, v7, v9
                                        ; implicit-def: $vgpr6_vgpr7
	s_delay_alu instid0(VALU_DEP_1) | instskip(NEXT) | instid1(VALU_DEP_1)
	v_add_nc_u32_e32 v12, 14, v9
	v_cmpx_ne_u32_e32 0, v12
	s_xor_b32 s10, exec_lo, s10
; %bb.22235:                            ;   in Loop: Header=BB6_22211 Depth=2
	v_cmp_lt_u64_e32 vcc_lo, 0xffffff, v[54:55]
	v_add_nc_u32_e32 v6, 15, v9
	s_delay_alu instid0(VALU_DEP_1) | instskip(SKIP_1) | instid1(VALU_DEP_1)
	v_cndmask_b32_e32 v8, v12, v6, vcc_lo
	v_cndmask_b32_e64 v6, 0, 1, vcc_lo
	v_lshrrev_b64 v[6:7], v6, v[54:55]
; %bb.22236:                            ;   in Loop: Header=BB6_22211 Depth=2
	s_and_not1_saveexec_b32 s10, s10
; %bb.22237:                            ;   in Loop: Header=BB6_22211 Depth=2
	v_mov_b64_e32 v[6:7], v[54:55]
	v_bfe_u32 v8, v54, 23, 1
; %bb.22238:                            ;   in Loop: Header=BB6_22211 Depth=2
	s_or_b32 exec_lo, exec_lo, s10
	s_delay_alu instid0(VALU_DEP_2) | instskip(NEXT) | instid1(VALU_DEP_2)
	v_lshrrev_b64 v[6:7], 21, v[6:7]
	v_cmp_gt_i32_e32 vcc_lo, 32, v8
	v_cmp_ne_u32_e64 s10, 0, v8
	s_delay_alu instid0(VALU_DEP_3) | instskip(NEXT) | instid1(VALU_DEP_1)
	v_dual_cndmask_b32 v7, 0, v7 :: v_dual_cndmask_b32 v6, 3, v6
	v_cmp_ne_u64_e32 vcc_lo, 0, v[6:7]
                                        ; implicit-def: $vgpr7
	s_or_b32 s10, s10, vcc_lo
	s_delay_alu instid0(SALU_CYCLE_1) | instskip(NEXT) | instid1(SALU_CYCLE_1)
	s_and_saveexec_b32 s27, s10
	s_xor_b32 s10, exec_lo, s27
; %bb.22239:                            ;   in Loop: Header=BB6_22211 Depth=2
	v_min_i32_e32 v7, 31, v8
	s_delay_alu instid0(VALU_DEP_1) | instskip(NEXT) | instid1(VALU_DEP_1)
	v_lshl_or_b32 v7, v7, 2, v11
                                        ; implicit-def: $vgpr11
	v_and_or_b32 v7, v6, 3, v7
; %bb.22240:                            ;   in Loop: Header=BB6_22211 Depth=2
	s_and_not1_saveexec_b32 s10, s10
; %bb.22241:                            ;   in Loop: Header=BB6_22211 Depth=2
	v_mov_b32_e32 v7, v11
; %bb.22242:                            ;   in Loop: Header=BB6_22211 Depth=2
	s_or_b32 exec_lo, exec_lo, s10
.LBB6_22243:                            ;   in Loop: Header=BB6_22211 Depth=2
	s_delay_alu instid0(SALU_CYCLE_1)
	s_or_b32 exec_lo, exec_lo, s26
                                        ; implicit-def: $vgpr11
.LBB6_22244:                            ;   in Loop: Header=BB6_22211 Depth=2
	s_and_not1_saveexec_b32 s10, s25
; %bb.22245:                            ;   in Loop: Header=BB6_22211 Depth=2
	v_or_b32_e32 v7, 0x7b, v11
; %bb.22246:                            ;   in Loop: Header=BB6_22211 Depth=2
	s_or_b32 exec_lo, exec_lo, s10
                                        ; implicit-def: $vgpr6
.LBB6_22247:                            ;   in Loop: Header=BB6_22211 Depth=2
	s_and_not1_saveexec_b32 s10, s11
	s_cbranch_execz .LBB6_22210
; %bb.22248:                            ;   in Loop: Header=BB6_22211 Depth=2
	s_mov_b32 s11, exec_lo
                                        ; implicit-def: $vgpr7
	v_cmpx_ne_u64_e32 0, v[54:55]
	s_xor_b32 s11, exec_lo, s11
; %bb.22249:                            ;   in Loop: Header=BB6_22211 Depth=2
	v_lshrrev_b32_e32 v6, 24, v6
	s_delay_alu instid0(VALU_DEP_1)
	v_or_b32_e32 v7, 0x7f, v6
                                        ; implicit-def: $vgpr6
; %bb.22250:                            ;   in Loop: Header=BB6_22211 Depth=2
	s_and_not1_saveexec_b32 s11, s11
	s_cbranch_execz .LBB6_22209
; %bb.22251:                            ;   in Loop: Header=BB6_22211 Depth=2
	v_cmp_lt_i32_e32 vcc_lo, -1, v6
	v_cndmask_b32_e64 v7, -4, 0x7c, vcc_lo
	s_branch .LBB6_22209
.LBB6_22252:                            ;   in Loop: Header=BB6_16686 Depth=1
	s_or_b32 exec_lo, exec_lo, s23
	scratch_load_b32 v101, off, s33 offset:468 ; 4-byte Folded Reload
	v_cmp_ne_u32_e64 s10, 0, v97
	s_wait_xcnt 0x0
	s_and_saveexec_b32 s11, s2
	s_cbranch_execz .LBB6_22271
.LBB6_22253:                            ;   in Loop: Header=BB6_16686 Depth=1
	s_and_saveexec_b32 s23, s3
	s_delay_alu instid0(SALU_CYCLE_1)
	s_xor_b32 s23, exec_lo, s23
	s_cbranch_execz .LBB6_22268
; %bb.22254:                            ;   in Loop: Header=BB6_16686 Depth=1
	s_and_saveexec_b32 s24, s4
	s_cbranch_execz .LBB6_22267
; %bb.22255:                            ;   in Loop: Header=BB6_16686 Depth=1
	s_mov_b32 s26, exec_lo
	s_mov_b32 s25, exec_lo
	v_mbcnt_lo_u32_b32 v0, s26, 0
	global_wb scope:SCOPE_DEV
	s_wait_storecnt 0x0
	s_wait_loadcnt_dscnt 0x0
	global_inv scope:SCOPE_DEV
	v_cmpx_eq_u32_e32 0, v0
	s_cbranch_execz .LBB6_22257
; %bb.22256:                            ;   in Loop: Header=BB6_16686 Depth=1
	s_bcnt1_i32_b32 s26, s26
	s_delay_alu instid0(SALU_CYCLE_1)
	v_dual_mov_b32 v1, v55 :: v_dual_mov_b32 v0, s26
	s_wait_loadcnt 0x0
	ds_add_u64 v0, v[0:1]
	s_trap 2
.LBB6_22257:                            ;   in Loop: Header=BB6_16686 Depth=1
	s_or_b32 exec_lo, exec_lo, s25
	s_trap 2
	ds_load_b64 v[0:1], v0
	s_wait_dscnt 0x0
	scratch_load_b64 v[2:3], off, s33 offset:220 th:TH_LOAD_LU ; 8-byte Folded Reload
	s_mov_b32 s25, exec_lo
	s_wait_loadcnt 0x0
	v_add_nc_u64_e32 v[2:3], v[2:3], v[40:41]
	scratch_store_b64 off, v[2:3], s33 offset:220 ; 8-byte Folded Spill
	s_wait_xcnt 0x0
	v_cmpx_lt_u64_e64 v[0:1], v[2:3]
	s_cbranch_execz .LBB6_22266
; %bb.22258:                            ;   in Loop: Header=BB6_16686 Depth=1
	s_mov_b32 s26, 0
	s_mov_b32 s29, 0
                                        ; implicit-def: $sgpr27
                                        ; implicit-def: $sgpr28
	s_branch .LBB6_22260
.LBB6_22259:                            ;   in Loop: Header=BB6_22260 Depth=2
	s_wait_xcnt 0x0
	s_or_b32 exec_lo, exec_lo, s41
	s_delay_alu instid0(SALU_CYCLE_1) | instskip(NEXT) | instid1(SALU_CYCLE_1)
	s_and_b32 s40, exec_lo, s42
	s_or_b32 s26, s40, s26
	s_and_not1_b32 s27, s27, exec_lo
	s_and_b32 s40, s28, exec_lo
	s_delay_alu instid0(SALU_CYCLE_1)
	s_or_b32 s27, s27, s40
	s_and_not1_b32 exec_lo, exec_lo, s26
	s_cbranch_execz .LBB6_22264
.LBB6_22260:                            ;   Parent Loop BB6_16686 Depth=1
                                        ; =>  This Inner Loop Header: Depth=2
	s_add_co_i32 s29, s29, 1
	s_delay_alu instid0(SALU_CYCLE_1) | instskip(SKIP_1) | instid1(SALU_CYCLE_1)
	s_cmp_lg_u32 s29, 0x2710
	s_cselect_b32 s40, -1, 0
	s_and_b32 vcc_lo, exec_lo, s40
	s_cbranch_vccz .LBB6_22262
; %bb.22261:                            ;   in Loop: Header=BB6_22260 Depth=2
	s_mov_b32 s42, -1
	s_or_b32 s28, s28, exec_lo
	s_and_saveexec_b32 s41, s40
	s_cbranch_execz .LBB6_22259
	s_branch .LBB6_22263
.LBB6_22262:                            ;   in Loop: Header=BB6_22260 Depth=2
	s_trap 2
	ds_load_b64 v[0:1], v0
	s_and_not1_b32 s40, s40, exec_lo
	s_mov_b32 s29, 0
	s_wait_storecnt_dscnt 0x0
	flat_load_b32 v0, v[0:1] scope:SCOPE_SYS
	s_wait_loadcnt_dscnt 0x0
	global_inv scope:SCOPE_SYS
	v_cmp_eq_u32_e32 vcc_lo, 0, v0
	s_and_b32 s41, vcc_lo, exec_lo
	s_delay_alu instid0(SALU_CYCLE_1)
	s_or_b32 s40, s40, s41
	s_mov_b32 s42, -1
	s_or_b32 s28, s28, exec_lo
	s_wait_xcnt 0x0
	s_and_saveexec_b32 s41, s40
	s_cbranch_execz .LBB6_22259
.LBB6_22263:                            ;   in Loop: Header=BB6_22260 Depth=2
	s_sleep 1
	s_trap 2
	ds_load_b64 v[0:1], v0
	s_wait_dscnt 0x0
	scratch_load_b64 v[2:3], off, s33 offset:220 ; 8-byte Folded Reload
	s_and_not1_b32 s28, s28, exec_lo
	s_wait_loadcnt 0x0
	v_cmp_ge_u64_e32 vcc_lo, v[0:1], v[2:3]
	s_or_not1_b32 s42, vcc_lo, exec_lo
	s_branch .LBB6_22259
.LBB6_22264:                            ;   in Loop: Header=BB6_16686 Depth=1
	s_or_b32 exec_lo, exec_lo, s26
	s_and_saveexec_b32 s26, s27
	s_delay_alu instid0(SALU_CYCLE_1)
	s_xor_b32 s26, exec_lo, s26
	s_cbranch_execz .LBB6_22266
; %bb.22265:                            ;   in Loop: Header=BB6_16686 Depth=1
	ds_store_b32 v0, v71
	s_trap 2
.LBB6_22266:                            ;   in Loop: Header=BB6_16686 Depth=1
	s_or_b32 exec_lo, exec_lo, s25
	;;#ASMSTART
	s_wakeup
	;;#ASMEND
.LBB6_22267:                            ;   in Loop: Header=BB6_16686 Depth=1
	s_or_b32 exec_lo, exec_lo, s24
.LBB6_22268:                            ;   in Loop: Header=BB6_16686 Depth=1
	s_and_not1_saveexec_b32 s23, s23
	s_cbranch_execz .LBB6_22270
; %bb.22269:                            ;   in Loop: Header=BB6_16686 Depth=1
	global_wb scope:SCOPE_DEV
	s_wait_storecnt 0x0
	s_wait_loadcnt_dscnt 0x0
	global_inv scope:SCOPE_DEV
	s_barrier_signal -1
	s_barrier_wait -1
.LBB6_22270:                            ;   in Loop: Header=BB6_16686 Depth=1
	s_or_b32 exec_lo, exec_lo, s23
.LBB6_22271:                            ;   in Loop: Header=BB6_16686 Depth=1
	s_delay_alu instid0(SALU_CYCLE_1) | instskip(SKIP_2) | instid1(VALU_DEP_1)
	s_or_b32 exec_lo, exec_lo, s11
	s_wait_loadcnt 0x0
	v_and_b32_e32 v0, 16, v101
	v_cmp_ne_u32_e32 vcc_lo, 0, v0
	s_and_b32 s11, vcc_lo, s10
	s_delay_alu instid0(SALU_CYCLE_1)
	s_and_saveexec_b32 s10, s11
	s_cbranch_execz .LBB6_22273
; %bb.22272:                            ;   in Loop: Header=BB6_16686 Depth=1
	global_wb scope:SCOPE_SYS
	s_wait_storecnt_dscnt 0x0
	global_inv scope:SCOPE_SYS
.LBB6_22273:                            ;   in Loop: Header=BB6_16686 Depth=1
	s_or_b32 exec_lo, exec_lo, s10
	s_delay_alu instid0(SALU_CYCLE_1)
	s_mov_b32 s10, exec_lo
	v_cmpx_ne_u32_e32 0, v0
	s_cbranch_execz .LBB6_22277
; %bb.22274:                            ;   in Loop: Header=BB6_16686 Depth=1
	s_and_saveexec_b32 s11, s7
	s_cbranch_execz .LBB6_22276
; %bb.22275:                            ;   in Loop: Header=BB6_16686 Depth=1
	scratch_load_b64 v[0:1], off, s33 offset:484 ; 8-byte Folded Reload
	global_wb scope:SCOPE_SYS
	s_wait_storecnt 0x0
	s_wait_xcnt 0x0
	s_wait_loadcnt_dscnt 0x0
	flat_store_b32 v[0:1], v71 scope:SCOPE_SYS
.LBB6_22276:                            ;   in Loop: Header=BB6_16686 Depth=1
	s_wait_xcnt 0x0
	s_or_b32 exec_lo, exec_lo, s11
	scratch_load_b128 v[0:3], off, s33 offset:204 th:TH_LOAD_LU ; 16-byte Folded Reload
	s_wait_loadcnt 0x0
	v_add_nc_u64_e32 v[2:3], 1, v[2:3]
	s_clause 0x1
	scratch_store_b128 off, v[0:3], s33 offset:204
	scratch_load_b64 v[0:1], off, s33 offset:196
	global_wb scope:SCOPE_SYS
	s_wait_storecnt 0x0
	s_wait_xcnt 0x0
	s_wait_loadcnt_dscnt 0x0
	flat_store_b64 v[0:1], v[2:3] scope:SCOPE_SYS
.LBB6_22277:                            ;   in Loop: Header=BB6_16686 Depth=1
	s_wait_xcnt 0x0
	s_or_b32 exec_lo, exec_lo, s10
	v_mov_b32_e32 v0, v102
.LBB6_22278:                            ;   in Loop: Header=BB6_16686 Depth=1
	s_or_b32 exec_lo, exec_lo, s22
	s_and_saveexec_b32 s11, s21
	s_cbranch_execnz .LBB6_22279
; %bb.22438:                            ;   in Loop: Header=BB6_16686 Depth=1
	s_add_pc_i64 .LBB6_16685-.Lpost_addpc55
.Lpost_addpc55:
.LBB6_22279:                            ;   in Loop: Header=BB6_16686 Depth=1
	s_delay_alu instid0(VALU_DEP_1) | instskip(SKIP_1) | instid1(VALU_DEP_1)
	v_dual_sub_nc_u32 v0, v96, v0 :: v_dual_bitop2_b32 v1, 8, v101 bitop3:0x40
	s_mov_b32 s21, exec_lo
	v_min_i32_e32 v0, v102, v0
	s_delay_alu instid0(VALU_DEP_2)
	v_cmpx_ne_u32_e32 0, v1
	s_cbranch_execz .LBB6_22301
; %bb.22280:                            ;   in Loop: Header=BB6_16686 Depth=1
	s_clause 0x1
	scratch_load_b64 v[2:3], off, s33 offset:188
	scratch_load_b128 v[6:9], off, s33 offset:204
	s_mov_b32 s22, exec_lo
	s_wait_loadcnt 0x1
	v_add_nc_u64_e32 v[4:5], 8, v[2:3]
	s_wait_loadcnt 0x0
	v_add_nc_u64_e32 v[2:3], 1, v[8:9]
	s_wait_xcnt 0x0
	s_delay_alu instid0(VALU_DEP_1)
	v_cmpx_lt_u64_e64 v[4:5], v[2:3]
	s_cbranch_execz .LBB6_22292
; %bb.22281:                            ;   in Loop: Header=BB6_16686 Depth=1
	v_and_b32_e32 v1, 64, v101
	s_mov_b32 s23, 0
	s_mov_b32 s27, 0
                                        ; implicit-def: $sgpr24
                                        ; implicit-def: $sgpr25
                                        ; implicit-def: $sgpr26
	s_delay_alu instid0(VALU_DEP_1)
	v_cmp_eq_u32_e32 vcc_lo, 0, v1
	s_branch .LBB6_22284
.LBB6_22282:                            ;   in Loop: Header=BB6_22284 Depth=2
	s_wait_xcnt 0x0
	s_or_b32 exec_lo, exec_lo, s42
	s_delay_alu instid0(SALU_CYCLE_1)
	s_and_not1_b32 s10, s26, exec_lo
	s_and_b32 s26, s40, exec_lo
	s_and_not1_b32 s25, s25, exec_lo
	s_and_b32 s29, s29, exec_lo
	s_or_b32 s26, s10, s26
	s_or_b32 s25, s25, s29
.LBB6_22283:                            ;   in Loop: Header=BB6_22284 Depth=2
	s_or_b32 exec_lo, exec_lo, s28
	s_delay_alu instid0(SALU_CYCLE_1) | instskip(NEXT) | instid1(SALU_CYCLE_1)
	s_and_b32 s10, exec_lo, s25
	s_or_b32 s23, s10, s23
	s_and_not1_b32 s10, s24, exec_lo
	s_and_b32 s24, s26, exec_lo
	s_delay_alu instid0(SALU_CYCLE_1)
	s_or_b32 s24, s10, s24
	s_and_not1_b32 exec_lo, exec_lo, s23
	s_cbranch_execz .LBB6_22289
.LBB6_22284:                            ;   Parent Loop BB6_16686 Depth=1
                                        ; =>  This Inner Loop Header: Depth=2
	s_sleep 1
	scratch_load_b64 v[4:5], off, s33 offset:196 ; 8-byte Folded Reload
	s_or_b32 s26, s26, exec_lo
	s_or_b32 s25, s25, exec_lo
                                        ; implicit-def: $vgpr1
	s_wait_loadcnt 0x0
	flat_load_b64 v[4:5], v[4:5] scope:SCOPE_SYS
	s_wait_loadcnt_dscnt 0x0
	scratch_store_b64 off, v[4:5], s33 offset:188 ; 8-byte Folded Spill
	s_wait_xcnt 0x0
	s_and_saveexec_b32 s28, vcc_lo
	s_cbranch_execz .LBB6_22283
; %bb.22285:                            ;   in Loop: Header=BB6_22284 Depth=2
	s_cmp_lt_i32 s27, 0x270f
	s_mov_b32 s29, -1
	s_cselect_b32 s41, -1, 0
	s_cmp_gt_i32 s27, 0x270e
	s_cbranch_scc0 .LBB6_22287
; %bb.22286:                            ;   in Loop: Header=BB6_22284 Depth=2
	s_trap 2
	ds_load_b64 v[4:5], v0
	s_and_not1_b32 s27, s41, exec_lo
	s_mov_b32 s40, 0
	s_wait_storecnt_dscnt 0x0
	flat_load_b32 v1, v[4:5] scope:SCOPE_SYS
	s_wait_loadcnt_dscnt 0x0
	global_inv scope:SCOPE_SYS
	v_cmp_eq_u32_e64 s10, 0, v1
	s_and_b32 s10, s10, exec_lo
	s_delay_alu instid0(SALU_CYCLE_1)
	s_or_b32 s41, s27, s10
	s_mov_b32 s27, 0
	s_and_saveexec_b32 s42, s41
	s_cbranch_execz .LBB6_22282
	s_branch .LBB6_22288
.LBB6_22287:                            ;   in Loop: Header=BB6_22284 Depth=2
	s_add_co_i32 s27, s27, 1
	s_mov_b32 s40, -1
                                        ; implicit-def: $vgpr1
	s_and_saveexec_b32 s42, s41
	s_cbranch_execz .LBB6_22282
.LBB6_22288:                            ;   in Loop: Header=BB6_22284 Depth=2
	scratch_load_b64 v[4:5], off, s33 offset:188 ; 8-byte Folded Reload
	s_or_b32 s40, s40, exec_lo
	s_wait_loadcnt 0x0
	v_add_nc_u64_e32 v[4:5], 8, v[4:5]
	s_delay_alu instid0(VALU_DEP_1)
	v_cmp_ge_u64_e64 s10, v[4:5], v[2:3]
	s_or_not1_b32 s29, s10, exec_lo
	s_branch .LBB6_22282
.LBB6_22289:                            ;   in Loop: Header=BB6_16686 Depth=1
	s_or_b32 exec_lo, exec_lo, s23
	s_xor_b32 s10, s24, -1
	s_delay_alu instid0(SALU_CYCLE_1) | instskip(NEXT) | instid1(SALU_CYCLE_1)
	s_and_saveexec_b32 s23, s10
	s_xor_b32 s10, exec_lo, s23
	s_cbranch_execz .LBB6_22291
; %bb.22290:                            ;   in Loop: Header=BB6_16686 Depth=1
	v_or_b32_e32 v101, 64, v101
	s_wait_loadcnt 0x0
	s_wait_storecnt 0x0
	ds_store_b32 v0, v1
	s_trap 2
.LBB6_22291:                            ;   in Loop: Header=BB6_16686 Depth=1
	s_or_b32 exec_lo, exec_lo, s10
.LBB6_22292:                            ;   in Loop: Header=BB6_16686 Depth=1
	s_delay_alu instid0(SALU_CYCLE_1)
	s_or_b32 exec_lo, exec_lo, s22
	scratch_load_b128 v[4:7], off, s33 offset:204 ; 16-byte Folded Reload
	v_and_b32_e32 v1, 0x100, v101
	s_mov_b32 s10, -1
	s_mov_b32 s22, exec_lo
	;;#ASMSTART
	s_wakeup
	;;#ASMEND
	s_wait_loadcnt 0x0
	v_dual_mov_b32 v5, v55 :: v_dual_bitop2_b32 v4, 7, v6 bitop3:0x40
                                        ; implicit-def: $vgpr6_vgpr7
	s_wait_xcnt 0x0
	v_cmpx_ne_u32_e32 0, v1
	s_cbranch_execz .LBB6_22296
; %bb.22293:                            ;   in Loop: Header=BB6_16686 Depth=1
	scratch_load_b128 v[6:9], off, s33 offset:204 ; 16-byte Folded Reload
	v_ashrrev_i32_e32 v1, 31, v0
	s_wait_loadcnt 0x0
	v_mad_nc_u64_u32 v[8:9], v4, 24, v[6:7]
	s_clause 0x1
	flat_load_b32 v6, v[8:9]
	flat_store_b64 v[8:9], v[0:1] offset:8
	s_wait_loadcnt_dscnt 0x1
	v_cmp_eq_u32_e64 s10, 1, v6
	v_cmp_ne_u32_e32 vcc_lo, 1, v6
                                        ; implicit-def: $vgpr6_vgpr7
	s_wait_xcnt 0x0
	s_and_saveexec_b32 s23, s10
	s_cbranch_execz .LBB6_22295
; %bb.22294:                            ;   in Loop: Header=BB6_16686 Depth=1
	flat_load_b32 v6, v[8:9] offset:4 scope:SCOPE_SYS
	s_wait_loadcnt_dscnt 0x0
	v_ashrrev_i32_e32 v7, 31, v6
.LBB6_22295:                            ;   in Loop: Header=BB6_16686 Depth=1
	s_wait_xcnt 0x0
	s_or_b32 exec_lo, exec_lo, s23
	s_delay_alu instid0(SALU_CYCLE_1)
	s_or_not1_b32 s10, vcc_lo, exec_lo
.LBB6_22296:                            ;   in Loop: Header=BB6_16686 Depth=1
	s_or_b32 exec_lo, exec_lo, s22
	s_and_saveexec_b32 s22, s10
	s_cbranch_execz .LBB6_22298
; %bb.22297:                            ;   in Loop: Header=BB6_16686 Depth=1
	scratch_load_b64 v[6:7], off, s33 offset:460 ; 8-byte Folded Reload
	s_wait_loadcnt 0x0
	v_mul_u64_e32 v[6:7], v[4:5], v[6:7]
.LBB6_22298:                            ;   in Loop: Header=BB6_16686 Depth=1
	s_wait_xcnt 0x0
	s_or_b32 exec_lo, exec_lo, s22
	scratch_load_b64 v[4:5], off, s33 offset:448 ; 8-byte Folded Reload
	v_and_b32_e32 v1, 0x2000, v101
	s_mov_b32 s10, exec_lo
	s_wait_loadcnt 0x0
	v_add_nc_u64_e32 v[4:5], v[4:5], v[6:7]
	ds_store_b64 v0, v[4:5] offset:784
	s_wait_xcnt 0x0
	v_cmpx_ne_u32_e32 0, v1
	s_cbranch_execz .LBB6_22300
; %bb.22299:                            ;   in Loop: Header=BB6_16686 Depth=1
	ds_load_b64 v[4:5], v0 offset:872
	s_wait_dscnt 0x0
	v_add_nc_u64_e32 v[4:5], 1, v[4:5]
	ds_store_b64 v0, v[4:5] offset:872
.LBB6_22300:                            ;   in Loop: Header=BB6_16686 Depth=1
	s_or_b32 exec_lo, exec_lo, s10
	scratch_load_b128 v[4:7], off, s33 offset:204 ; 16-byte Folded Reload
	s_wait_loadcnt 0x0
	v_mov_b64_e32 v[6:7], v[2:3]
	scratch_store_b128 off, v[4:7], s33 offset:204 ; 16-byte Folded Spill
.LBB6_22301:                            ;   in Loop: Header=BB6_16686 Depth=1
	s_wait_xcnt 0x0
	s_or_b32 exec_lo, exec_lo, s21
	s_and_saveexec_b32 s10, s2
	s_cbranch_execz .LBB6_22320
; %bb.22302:                            ;   in Loop: Header=BB6_16686 Depth=1
	s_and_saveexec_b32 s21, s3
	s_delay_alu instid0(SALU_CYCLE_1)
	s_xor_b32 s21, exec_lo, s21
	s_cbranch_execz .LBB6_22317
; %bb.22303:                            ;   in Loop: Header=BB6_16686 Depth=1
	s_and_saveexec_b32 s22, s4
	s_cbranch_execz .LBB6_22316
; %bb.22304:                            ;   in Loop: Header=BB6_16686 Depth=1
	s_mov_b32 s24, exec_lo
	s_mov_b32 s23, exec_lo
	v_mbcnt_lo_u32_b32 v1, s24, 0
	global_wb scope:SCOPE_DEV
	s_wait_storecnt 0x0
	s_wait_loadcnt_dscnt 0x0
	global_inv scope:SCOPE_DEV
	v_cmpx_eq_u32_e32 0, v1
	s_cbranch_execz .LBB6_22306
; %bb.22305:                            ;   in Loop: Header=BB6_16686 Depth=1
	s_bcnt1_i32_b32 s24, s24
	s_delay_alu instid0(SALU_CYCLE_1)
	v_dual_mov_b32 v3, v55 :: v_dual_mov_b32 v2, s24
	s_wait_loadcnt 0x0
	ds_add_u64 v0, v[2:3]
	s_trap 2
.LBB6_22306:                            ;   in Loop: Header=BB6_16686 Depth=1
	s_or_b32 exec_lo, exec_lo, s23
	s_trap 2
	ds_load_b64 v[2:3], v0
	s_wait_dscnt 0x0
	scratch_load_b64 v[4:5], off, s33 offset:220 th:TH_LOAD_LU ; 8-byte Folded Reload
	s_mov_b32 s23, exec_lo
	s_wait_loadcnt 0x0
	v_add_nc_u64_e32 v[4:5], v[4:5], v[40:41]
	scratch_store_b64 off, v[4:5], s33 offset:220 ; 8-byte Folded Spill
	s_wait_xcnt 0x0
	v_cmpx_lt_u64_e64 v[2:3], v[4:5]
	s_cbranch_execz .LBB6_22315
; %bb.22307:                            ;   in Loop: Header=BB6_16686 Depth=1
	s_mov_b32 s24, 0
	s_mov_b32 s27, 0
                                        ; implicit-def: $sgpr25
                                        ; implicit-def: $sgpr26
	s_branch .LBB6_22309
.LBB6_22308:                            ;   in Loop: Header=BB6_22309 Depth=2
	s_wait_xcnt 0x0
	s_or_b32 exec_lo, exec_lo, s29
	s_delay_alu instid0(SALU_CYCLE_1) | instskip(NEXT) | instid1(SALU_CYCLE_1)
	s_and_b32 s28, exec_lo, s40
	s_or_b32 s24, s28, s24
	s_and_not1_b32 s25, s25, exec_lo
	s_and_b32 s28, s26, exec_lo
	s_delay_alu instid0(SALU_CYCLE_1)
	s_or_b32 s25, s25, s28
	s_and_not1_b32 exec_lo, exec_lo, s24
	s_cbranch_execz .LBB6_22313
.LBB6_22309:                            ;   Parent Loop BB6_16686 Depth=1
                                        ; =>  This Inner Loop Header: Depth=2
	s_add_co_i32 s27, s27, 1
	s_delay_alu instid0(SALU_CYCLE_1) | instskip(SKIP_1) | instid1(SALU_CYCLE_1)
	s_cmp_lg_u32 s27, 0x2710
	s_cselect_b32 s28, -1, 0
	s_and_b32 vcc_lo, exec_lo, s28
	s_cbranch_vccz .LBB6_22311
; %bb.22310:                            ;   in Loop: Header=BB6_22309 Depth=2
	s_mov_b32 s40, -1
	s_or_b32 s26, s26, exec_lo
	s_and_saveexec_b32 s29, s28
	s_cbranch_execz .LBB6_22308
	s_branch .LBB6_22312
.LBB6_22311:                            ;   in Loop: Header=BB6_22309 Depth=2
	s_trap 2
	ds_load_b64 v[2:3], v0
	s_and_not1_b32 s28, s28, exec_lo
	s_mov_b32 s27, 0
	s_wait_storecnt_dscnt 0x0
	flat_load_b32 v1, v[2:3] scope:SCOPE_SYS
	s_wait_loadcnt_dscnt 0x0
	global_inv scope:SCOPE_SYS
	v_cmp_eq_u32_e32 vcc_lo, 0, v1
	s_and_b32 s29, vcc_lo, exec_lo
	s_delay_alu instid0(SALU_CYCLE_1)
	s_or_b32 s28, s28, s29
	s_mov_b32 s40, -1
	s_or_b32 s26, s26, exec_lo
	s_wait_xcnt 0x0
	s_and_saveexec_b32 s29, s28
	s_cbranch_execz .LBB6_22308
.LBB6_22312:                            ;   in Loop: Header=BB6_22309 Depth=2
	s_sleep 1
	s_trap 2
	ds_load_b64 v[2:3], v0
	s_wait_dscnt 0x0
	scratch_load_b64 v[4:5], off, s33 offset:220 ; 8-byte Folded Reload
	s_and_not1_b32 s26, s26, exec_lo
	s_wait_loadcnt 0x0
	v_cmp_ge_u64_e32 vcc_lo, v[2:3], v[4:5]
	s_or_not1_b32 s40, vcc_lo, exec_lo
	s_branch .LBB6_22308
.LBB6_22313:                            ;   in Loop: Header=BB6_16686 Depth=1
	s_or_b32 exec_lo, exec_lo, s24
	s_and_saveexec_b32 s24, s25
	s_delay_alu instid0(SALU_CYCLE_1)
	s_xor_b32 s24, exec_lo, s24
	s_cbranch_execz .LBB6_22315
; %bb.22314:                            ;   in Loop: Header=BB6_16686 Depth=1
	ds_store_b32 v0, v71
	s_trap 2
.LBB6_22315:                            ;   in Loop: Header=BB6_16686 Depth=1
	s_or_b32 exec_lo, exec_lo, s23
	;;#ASMSTART
	s_wakeup
	;;#ASMEND
.LBB6_22316:                            ;   in Loop: Header=BB6_16686 Depth=1
	s_or_b32 exec_lo, exec_lo, s22
.LBB6_22317:                            ;   in Loop: Header=BB6_16686 Depth=1
	s_and_not1_saveexec_b32 s21, s21
	s_cbranch_execz .LBB6_22319
; %bb.22318:                            ;   in Loop: Header=BB6_16686 Depth=1
	global_wb scope:SCOPE_DEV
	s_wait_storecnt 0x0
	s_wait_loadcnt_dscnt 0x0
	global_inv scope:SCOPE_DEV
	s_barrier_signal -1
	s_barrier_wait -1
.LBB6_22319:                            ;   in Loop: Header=BB6_16686 Depth=1
	s_or_b32 exec_lo, exec_lo, s21
.LBB6_22320:                            ;   in Loop: Header=BB6_16686 Depth=1
	s_delay_alu instid0(SALU_CYCLE_1)
	s_or_b32 exec_lo, exec_lo, s10
	s_trap 2
	ds_load_b32 v1, v0
	v_cmp_lt_i32_e32 vcc_lo, 0, v0
	s_wait_dscnt 0x0
	v_readfirstlane_b32 s10, v1
	v_and_b32_e32 v1, 16, v101
	s_cmp_eq_u32 s10, 0
	s_delay_alu instid0(VALU_DEP_1) | instskip(SKIP_1) | instid1(SALU_CYCLE_1)
	v_cmp_ne_u32_e64 s10, 0, v1
	s_cselect_b32 s21, -1, 0
	s_and_b32 s21, vcc_lo, s21
	s_delay_alu instid0(SALU_CYCLE_1) | instskip(NEXT) | instid1(SALU_CYCLE_1)
	s_and_b32 s21, s10, s21
	s_and_saveexec_b32 s10, s21
	s_cbranch_execz .LBB6_22322
; %bb.22321:                            ;   in Loop: Header=BB6_16686 Depth=1
	global_wb scope:SCOPE_SYS
	s_wait_loadcnt 0x0
	s_wait_storecnt 0x0
	global_inv scope:SCOPE_SYS
.LBB6_22322:                            ;   in Loop: Header=BB6_16686 Depth=1
	s_or_b32 exec_lo, exec_lo, s10
	s_delay_alu instid0(SALU_CYCLE_1)
	s_mov_b32 s10, exec_lo
	v_cmpx_ne_u32_e32 0, v1
	s_cbranch_execnz .LBB6_22323
; %bb.22440:                            ;   in Loop: Header=BB6_16686 Depth=1
	s_add_pc_i64 .LBB6_16684-.Lpost_addpc56
.Lpost_addpc56:
.LBB6_22323:                            ;   in Loop: Header=BB6_16686 Depth=1
	s_and_saveexec_b32 s21, s7
	s_cbranch_execnz .LBB6_22324
; %bb.22442:                            ;   in Loop: Header=BB6_16686 Depth=1
	s_add_pc_i64 .LBB6_16683-.Lpost_addpc57
.Lpost_addpc57:
.LBB6_22324:                            ;   in Loop: Header=BB6_16686 Depth=1
	scratch_load_b64 v[0:1], off, s33 offset:484 ; 8-byte Folded Reload
	global_wb scope:SCOPE_SYS
	s_wait_loadcnt 0x0
	s_wait_storecnt 0x0
	s_wait_xcnt 0x0
	flat_store_b32 v[0:1], v71 scope:SCOPE_SYS
; %bb.22386:                            ;   in Loop: Header=BB6_16686 Depth=1
	s_add_pc_i64 .LBB6_16683-.Lpost_addpc29
.Lpost_addpc29:
.LBB6_22325:
	s_or_b32 exec_lo, exec_lo, s18
.LBB6_22326:
	s_delay_alu instid0(SALU_CYCLE_1)
	s_or_b32 exec_lo, exec_lo, s17
.LBB6_22327:
	s_delay_alu instid0(SALU_CYCLE_1) | instskip(SKIP_2) | instid1(VALU_DEP_1)
	s_or_b32 exec_lo, exec_lo, s16
	v_and_b32_e32 v0, 0x800, v101
	s_mov_b32 s1, exec_lo
	v_cmpx_eq_u32_e32 0, v0
	s_cbranch_execz .LBB6_22360
; %bb.22328:
	v_and_b32_e32 v0, 48, v101
	s_mov_b32 s0, exec_lo
	s_delay_alu instid0(VALU_DEP_1)
	v_cmpx_ne_u32_e32 0, v0
	s_cbranch_execz .LBB6_22330
; %bb.22329:
	scratch_load_b128 v[0:3], off, s33 offset:204 ; 16-byte Folded Reload
	s_wait_loadcnt 0x0
	scratch_load_b64 v[0:1], off, s33 offset:492 th:TH_LOAD_LU ; 8-byte Folded Reload
	s_wait_loadcnt 0x0
	flat_store_b64 v[0:1], v[2:3] offset:104
.LBB6_22330:
	s_wait_xcnt 0x0
	s_or_b32 exec_lo, exec_lo, s0
	v_and_b32_e32 v0, 0x88, v101
	s_mov_b32 s2, exec_lo
	s_delay_alu instid0(VALU_DEP_1)
	v_cmpx_eq_u32_e32 0x88, v0
	s_cbranch_execz .LBB6_22340
; %bb.22331:
	scratch_load_b128 v[0:3], off, s33 offset:204 th:TH_LOAD_LU ; 16-byte Folded Reload
	s_mov_b32 s3, 0
	s_wait_loadcnt 0x0
	v_mov_b32_e32 v4, v2
	v_dual_mov_b32 v3, v1 :: v_dual_mov_b32 v2, v0
	s_delay_alu instid0(VALU_DEP_2) | instskip(NEXT) | instid1(VALU_DEP_1)
	v_dual_add_nc_u32 v0, -1, v4 :: v_dual_bitop2_b32 v4, 64, v101 bitop3:0x40
	v_and_b32_e32 v0, 7, v0
	s_delay_alu instid0(VALU_DEP_2) | instskip(NEXT) | instid1(VALU_DEP_2)
	v_cmp_eq_u32_e64 s0, 0, v4
	v_mad_nc_u64_u32 v[0:1], v0, 24, v[2:3]
	flat_load_b64 v[2:3], v[0:1] offset:8 scope:SCOPE_SYS
	s_wait_loadcnt_dscnt 0x0
	v_cmp_ne_u64_e32 vcc_lo, -1, v[2:3]
	s_and_b32 s0, vcc_lo, s0
	s_wait_xcnt 0x0
	s_and_b32 exec_lo, exec_lo, s0
	s_cbranch_execz .LBB6_22340
; %bb.22332:
	s_mov_b32 s5, 0
                                        ; implicit-def: $sgpr0
                                        ; implicit-def: $sgpr4
	s_branch .LBB6_22334
.LBB6_22333:                            ;   in Loop: Header=BB6_22334 Depth=1
	s_wait_xcnt 0x0
	s_or_b32 exec_lo, exec_lo, s10
	s_delay_alu instid0(SALU_CYCLE_1) | instskip(NEXT) | instid1(SALU_CYCLE_1)
	s_and_b32 s6, exec_lo, s7
	s_or_b32 s3, s6, s3
	s_and_not1_b32 s0, s0, exec_lo
	s_and_b32 s6, s4, exec_lo
	s_delay_alu instid0(SALU_CYCLE_1)
	s_or_b32 s0, s0, s6
	s_and_not1_b32 exec_lo, exec_lo, s3
	s_cbranch_execz .LBB6_22338
.LBB6_22334:                            ; =>This Inner Loop Header: Depth=1
	s_cmp_lt_i32 s5, 0x270f
	s_cselect_b32 s6, -1, 0
	s_delay_alu instid0(SALU_CYCLE_1)
	s_and_b32 vcc_lo, exec_lo, s6
	s_cbranch_vccnz .LBB6_22336
; %bb.22335:                            ;   in Loop: Header=BB6_22334 Depth=1
	s_trap 2
	ds_load_b64 v[2:3], v0
	s_and_not1_b32 s6, s6, exec_lo
	s_mov_b32 s5, 0
	s_wait_storecnt_dscnt 0x0
	flat_load_b32 v2, v[2:3] scope:SCOPE_SYS
	s_wait_loadcnt_dscnt 0x0
	global_inv scope:SCOPE_SYS
	v_cmp_eq_u32_e32 vcc_lo, 0, v2
	s_and_b32 s7, vcc_lo, exec_lo
	s_delay_alu instid0(SALU_CYCLE_1)
	s_or_b32 s6, s6, s7
	s_mov_b32 s7, -1
	s_or_b32 s4, s4, exec_lo
	s_wait_xcnt 0x0
	s_and_saveexec_b32 s10, s6
	s_cbranch_execz .LBB6_22333
	s_branch .LBB6_22337
.LBB6_22336:                            ;   in Loop: Header=BB6_22334 Depth=1
	s_add_co_i32 s5, s5, 1
                                        ; implicit-def: $vgpr2
	s_mov_b32 s7, -1
	s_or_b32 s4, s4, exec_lo
	s_and_saveexec_b32 s10, s6
	s_cbranch_execz .LBB6_22333
.LBB6_22337:                            ;   in Loop: Header=BB6_22334 Depth=1
	flat_load_b64 v[4:5], v[0:1] offset:8 scope:SCOPE_SYS
	s_wait_loadcnt 0x0
	s_and_not1_b32 s4, s4, exec_lo
	s_wait_dscnt 0x0
	v_cmp_eq_u64_e32 vcc_lo, -1, v[4:5]
	s_or_not1_b32 s7, vcc_lo, exec_lo
	s_branch .LBB6_22333
.LBB6_22338:
	s_or_b32 exec_lo, exec_lo, s3
	s_and_saveexec_b32 s3, s0
	s_delay_alu instid0(SALU_CYCLE_1)
	s_xor_b32 s3, exec_lo, s3
	s_cbranch_execz .LBB6_22340
; %bb.22339:
	s_wait_loadcnt 0x0
	s_wait_storecnt 0x0
	ds_store_b32 v0, v2
	s_trap 2
.LBB6_22340:
	s_or_b32 exec_lo, exec_lo, s2
	v_and_b32_e32 v0, 0x2000, v101
	s_mov_b32 s0, exec_lo
	s_delay_alu instid0(VALU_DEP_1)
	v_cmpx_ne_u32_e32 0, v0
	s_cbranch_execz .LBB6_22342
; %bb.22341:
	s_trap 2
	scratch_load_b64 v[2:3], off, s33 offset:560 th:TH_LOAD_LU ; 8-byte Folded Reload
	ds_load_b64 v[0:1], v0
	s_wait_loadcnt_dscnt 0x0
	flat_store_b64 v[2:3], v[0:1] offset:16
.LBB6_22342:
	s_wait_xcnt 0x0
	s_or_b32 exec_lo, exec_lo, s0
	scratch_load_b32 v0, off, s33 offset:480 ; 4-byte Folded Reload
	s_wait_loadcnt 0x0
	v_cmp_ne_u32_e32 vcc_lo, 32, v0
	s_wait_xcnt 0x0
	s_and_b32 exec_lo, exec_lo, vcc_lo
	s_cbranch_execz .LBB6_22360
; %bb.22343:
	s_clause 0x1
	scratch_load_b32 v0, off, s33 offset:480
	scratch_load_b32 v1, off, s33 offset:504 th:TH_LOAD_LU
	s_mov_b32 s0, exec_lo
	s_wait_loadcnt 0x0
	v_cmpx_ne_u32_e64 v0, v1
	s_xor_b32 s0, exec_lo, s0
	s_cbranch_execz .LBB6_22358
; %bb.22344:
	scratch_load_b32 v0, off, s33 offset:500 th:TH_LOAD_LU ; 4-byte Folded Reload
	s_mov_b32 s2, exec_lo
	s_wait_loadcnt 0x0
	v_and_b32_e32 v0, 31, v0
	s_wait_xcnt 0x0
	s_delay_alu instid0(VALU_DEP_1)
	v_cmpx_eq_u32_e32 0, v0
	s_cbranch_execz .LBB6_22357
; %bb.22345:
	s_mov_b32 s4, exec_lo
	s_mov_b32 s3, exec_lo
	v_mbcnt_lo_u32_b32 v0, s4, 0
	global_wb scope:SCOPE_DEV
	s_wait_storecnt_dscnt 0x0
	global_inv scope:SCOPE_DEV
	v_cmpx_eq_u32_e32 0, v0
	s_cbranch_execz .LBB6_22347
; %bb.22346:
	s_bcnt1_i32_b32 s4, s4
	s_delay_alu instid0(SALU_CYCLE_1)
	v_dual_mov_b32 v1, 0 :: v_dual_mov_b32 v0, s4
	s_wait_loadcnt 0x0
	ds_add_u64 v0, v[0:1]
	s_trap 2
.LBB6_22347:
	s_or_b32 exec_lo, exec_lo, s3
	s_trap 2
	ds_load_b64 v[2:3], v0
	s_wait_dscnt 0x0
	s_clause 0x1
	scratch_load_b32 v0, off, s33 offset:480 th:TH_LOAD_LU
	scratch_load_b64 v[4:5], off, s33 offset:220 th:TH_LOAD_LU
	s_mov_b32 s3, exec_lo
	s_wait_loadcnt 0x1
	v_dual_mov_b32 v1, 0 :: v_dual_lshrrev_b32 v0, 5, v0
	s_wait_loadcnt 0x0
	s_delay_alu instid0(VALU_DEP_1) | instskip(NEXT) | instid1(VALU_DEP_1)
	v_add_nc_u64_e32 v[0:1], v[4:5], v[0:1]
	v_cmpx_lt_u64_e64 v[2:3], v[0:1]
	s_cbranch_execz .LBB6_22356
; %bb.22348:
	s_mov_b32 s4, 0
	s_mov_b32 s7, 0
                                        ; implicit-def: $sgpr5
                                        ; implicit-def: $sgpr6
	s_branch .LBB6_22350
.LBB6_22349:                            ;   in Loop: Header=BB6_22350 Depth=1
	s_or_b32 exec_lo, exec_lo, s11
	s_delay_alu instid0(SALU_CYCLE_1) | instskip(NEXT) | instid1(SALU_CYCLE_1)
	s_and_b32 s10, exec_lo, s12
	s_or_b32 s4, s10, s4
	s_and_not1_b32 s5, s5, exec_lo
	s_and_b32 s10, s6, exec_lo
	s_delay_alu instid0(SALU_CYCLE_1)
	s_or_b32 s5, s5, s10
	s_and_not1_b32 exec_lo, exec_lo, s4
	s_cbranch_execz .LBB6_22354
.LBB6_22350:                            ; =>This Inner Loop Header: Depth=1
	s_add_co_i32 s7, s7, 1
	s_delay_alu instid0(SALU_CYCLE_1) | instskip(SKIP_1) | instid1(SALU_CYCLE_1)
	s_cmp_lg_u32 s7, 0x2710
	s_cselect_b32 s10, -1, 0
	s_and_b32 vcc_lo, exec_lo, s10
	s_cbranch_vccz .LBB6_22352
; %bb.22351:                            ;   in Loop: Header=BB6_22350 Depth=1
	s_mov_b32 s12, -1
	s_or_b32 s6, s6, exec_lo
	s_and_saveexec_b32 s11, s10
	s_cbranch_execz .LBB6_22349
	s_branch .LBB6_22353
.LBB6_22352:                            ;   in Loop: Header=BB6_22350 Depth=1
	s_trap 2
	ds_load_b64 v[2:3], v0
	s_and_not1_b32 s10, s10, exec_lo
	s_mov_b32 s7, 0
	s_wait_dscnt 0x0
	flat_load_b32 v2, v[2:3] scope:SCOPE_SYS
	s_wait_loadcnt_dscnt 0x0
	global_inv scope:SCOPE_SYS
	v_cmp_eq_u32_e32 vcc_lo, 0, v2
	s_and_b32 s11, vcc_lo, exec_lo
	s_delay_alu instid0(SALU_CYCLE_1)
	s_or_b32 s10, s10, s11
	s_mov_b32 s12, -1
	s_or_b32 s6, s6, exec_lo
	s_wait_xcnt 0x0
	s_and_saveexec_b32 s11, s10
	s_cbranch_execz .LBB6_22349
.LBB6_22353:                            ;   in Loop: Header=BB6_22350 Depth=1
	s_sleep 1
	s_trap 2
	ds_load_b64 v[2:3], v0
	s_wait_dscnt 0x0
	s_and_not1_b32 s6, s6, exec_lo
	v_cmp_ge_u64_e32 vcc_lo, v[2:3], v[0:1]
	s_or_not1_b32 s12, vcc_lo, exec_lo
	s_branch .LBB6_22349
.LBB6_22354:
	s_or_b32 exec_lo, exec_lo, s4
	s_and_saveexec_b32 s4, s5
	s_delay_alu instid0(SALU_CYCLE_1)
	s_xor_b32 s4, exec_lo, s4
	s_cbranch_execz .LBB6_22356
; %bb.22355:
	v_mov_b32_e32 v0, 1
	ds_store_b32 v0, v0
	s_trap 2
.LBB6_22356:
	s_or_b32 exec_lo, exec_lo, s3
	;;#ASMSTART
	s_wakeup
	;;#ASMEND
.LBB6_22357:
	s_or_b32 exec_lo, exec_lo, s2
.LBB6_22358:
	s_and_not1_saveexec_b32 s0, s0
	s_cbranch_execz .LBB6_22360
; %bb.22359:
	global_wb scope:SCOPE_DEV
	s_wait_storecnt 0x0
	s_wait_loadcnt_dscnt 0x0
	global_inv scope:SCOPE_DEV
	s_barrier_signal -1
	s_barrier_wait -1
.LBB6_22360:
	s_or_b32 exec_lo, exec_lo, s1
.LBB6_22361:
	s_and_not1_saveexec_b32 s21, s14
	s_cbranch_execz .LBB6_22363
; %bb.22362:
	s_get_pc_i64 s[0:1]
	s_add_nc_u64 s[0:1], s[0:1], __PRETTY_FUNCTION__._ZN10PrimitivesI14__hip_fp8_e5m213FuncPreMulSumIS0_E12FanSymmetricILi1EELi0E11ProtoSimpleILi1ELi1ELi0ELi4ELi0ELi0EELi0ELb0ELi0ELi0ELi0EEC2EiiPKiS9_PKvPvmhhhP15ncclDevWorkCollP14ncclDevWorkP2pii@rel64+4
	s_get_pc_i64 s[2:3]
	s_add_nc_u64 s[2:3], s[2:3], __assert_fail@rel64+4
	v_dual_mov_b32 v0, s0 :: v_dual_mov_b32 v1, s1
	s_swap_pc_i64 s[30:31], s[2:3]
	; divergent unreachable
.LBB6_22363:
	s_or_b32 exec_lo, exec_lo, s21
	s_clause 0x2e
	scratch_load_b32 v126, off, s33
	scratch_load_b32 v125, off, s33 offset:4
	scratch_load_b32 v124, off, s33 offset:8
	;; [unrolled: 1-line block ×46, first 2 shown]
	v_readlane_b32 s30, v127, 0
	v_readlane_b32 s31, v127, 1
	s_mov_b32 s32, s33
	s_wait_xcnt 0x0
	s_or_saveexec_b32 s0, -1
	scratch_load_b32 v127, off, s33 offset:568 ; 4-byte Folded Reload
	s_wait_xcnt 0x0
	s_mov_b32 exec_lo, s0
	s_mov_b32 s33, s46
	s_wait_loadcnt_dscnt 0x0
	s_set_pc_i64 s[30:31]
.Lfunc_end6:
	.size	_ZN12_GLOBAL__N_17runRingI14__hip_fp8_e5m213FuncPreMulSumIS1_E11ProtoSimpleILi1ELi1ELi0ELi4ELi0ELi0EELi0ELi4ELi0EEEviiP15ncclDevWorkColl, .Lfunc_end6-_ZN12_GLOBAL__N_17runRingI14__hip_fp8_e5m213FuncPreMulSumIS1_E11ProtoSimpleILi1ELi1ELi0ELi4ELi0ELi0EELi0ELi4ELi0EEEviiP15ncclDevWorkColl
                                        ; -- End function
	.set .L_ZN12_GLOBAL__N_17runRingI14__hip_fp8_e5m213FuncPreMulSumIS1_E11ProtoSimpleILi1ELi1ELi0ELi4ELi0ELi0EELi0ELi4ELi0EEEviiP15ncclDevWorkColl.num_vgpr, max(128, .L__assert_fail.num_vgpr)
	.set .L_ZN12_GLOBAL__N_17runRingI14__hip_fp8_e5m213FuncPreMulSumIS1_E11ProtoSimpleILi1ELi1ELi0ELi4ELi0ELi0EELi0ELi4ELi0EEEviiP15ncclDevWorkColl.num_agpr, max(0, .L__assert_fail.num_agpr)
	.set .L_ZN12_GLOBAL__N_17runRingI14__hip_fp8_e5m213FuncPreMulSumIS1_E11ProtoSimpleILi1ELi1ELi0ELi4ELi0ELi0EELi0ELi4ELi0EEEviiP15ncclDevWorkColl.numbered_sgpr, max(47, .L__assert_fail.numbered_sgpr)
	.set .L_ZN12_GLOBAL__N_17runRingI14__hip_fp8_e5m213FuncPreMulSumIS1_E11ProtoSimpleILi1ELi1ELi0ELi4ELi0ELi0EELi0ELi4ELi0EEEviiP15ncclDevWorkColl.num_named_barrier, max(0, .L__assert_fail.num_named_barrier)
	.set .L_ZN12_GLOBAL__N_17runRingI14__hip_fp8_e5m213FuncPreMulSumIS1_E11ProtoSimpleILi1ELi1ELi0ELi4ELi0ELi0EELi0ELi4ELi0EEEviiP15ncclDevWorkColl.private_seg_size, 576+max(.L__assert_fail.private_seg_size)
	.set .L_ZN12_GLOBAL__N_17runRingI14__hip_fp8_e5m213FuncPreMulSumIS1_E11ProtoSimpleILi1ELi1ELi0ELi4ELi0ELi0EELi0ELi4ELi0EEEviiP15ncclDevWorkColl.uses_vcc, or(1, .L__assert_fail.uses_vcc)
	.set .L_ZN12_GLOBAL__N_17runRingI14__hip_fp8_e5m213FuncPreMulSumIS1_E11ProtoSimpleILi1ELi1ELi0ELi4ELi0ELi0EELi0ELi4ELi0EEEviiP15ncclDevWorkColl.uses_flat_scratch, or(1, .L__assert_fail.uses_flat_scratch)
	.set .L_ZN12_GLOBAL__N_17runRingI14__hip_fp8_e5m213FuncPreMulSumIS1_E11ProtoSimpleILi1ELi1ELi0ELi4ELi0ELi0EELi0ELi4ELi0EEEviiP15ncclDevWorkColl.has_dyn_sized_stack, or(0, .L__assert_fail.has_dyn_sized_stack)
	.set .L_ZN12_GLOBAL__N_17runRingI14__hip_fp8_e5m213FuncPreMulSumIS1_E11ProtoSimpleILi1ELi1ELi0ELi4ELi0ELi0EELi0ELi4ELi0EEEviiP15ncclDevWorkColl.has_recursion, or(1, .L__assert_fail.has_recursion)
	.set .L_ZN12_GLOBAL__N_17runRingI14__hip_fp8_e5m213FuncPreMulSumIS1_E11ProtoSimpleILi1ELi1ELi0ELi4ELi0ELi0EELi0ELi4ELi0EEEviiP15ncclDevWorkColl.has_indirect_call, or(0, .L__assert_fail.has_indirect_call)
	.section	.AMDGPU.csdata,"",@progbits
; Function info:
; codeLenInByte = 647644
; TotalNumSgprs: 49
; NumVgprs: 128
; ScratchSize: 640
; MemoryBound: 1
	.text
	.p2align	2                               ; -- Begin function _Z53ncclDevFunc_Reduce_RING_SIMPLE_PreMulSum_f8e5m2_0_0_4v
	.type	_Z53ncclDevFunc_Reduce_RING_SIMPLE_PreMulSum_f8e5m2_0_0_4v,@function
_Z53ncclDevFunc_Reduce_RING_SIMPLE_PreMulSum_f8e5m2_0_0_4v: ; @_Z53ncclDevFunc_Reduce_RING_SIMPLE_PreMulSum_f8e5m2_0_0_4v
; %bb.0:
	s_wait_loadcnt_dscnt 0x0
	s_wait_kmcnt 0x0
	s_mov_b32 s62, s33
	s_mov_b32 s33, s32
	s_or_saveexec_b32 s0, -1
	scratch_store_b32 off, v42, s33 offset:12 ; 4-byte Folded Spill
	s_wait_xcnt 0x0
	s_mov_b32 exec_lo, s0
	s_add_co_i32 s32, s32, 32
	s_clause 0x2
	scratch_store_b32 off, v40, s33 offset:8
	; meta instruction
	scratch_store_b32 off, v41, s33 offset:4
	; meta instruction
	scratch_store_b32 off, v127, s33
	v_writelane_b32 v42, s30, 0
	v_writelane_b32 v42, s31, 1
	s_trap 2
	ds_load_b32 v0, v0
	s_wait_xcnt 0x2
	v_mov_b32_e32 v40, v31
	s_mov_b32 s47, s12
	s_mov_b64 s[56:57], s[8:9]
	s_mov_b32 s2, exec_lo
	s_wait_xcnt 0x1
	v_and_b32_e32 v41, 0x3ff, v40
	s_wait_dscnt 0x0
	s_wait_xcnt 0x0
	s_delay_alu instid0(VALU_DEP_1)
	v_cmpx_lt_i32_e64 v41, v0
	s_cbranch_execz .LBB7_5
; %bb.1:
	s_load_b32 s0, s[56:57], 0x0
	s_bfe_u32 s1, ttmp6, 0x4000c
	s_and_b32 s3, ttmp6, 15
	s_add_co_i32 s1, s1, 1
	s_getreg_b32 s4, hwreg(HW_REG_IB_STS2, 6, 4)
	s_mul_i32 s1, ttmp9, s1
	v_mov_b32_e32 v2, v41
	s_add_co_i32 s3, s3, s1
	s_cmp_eq_u32 s4, 0
                                        ; implicit-def: $vgpr3
	s_cselect_b32 s1, ttmp9, s3
	s_mov_b32 s3, 0
	s_wait_kmcnt 0x0
	s_cmp_lt_u32 s1, s0
	s_mov_b32 s1, 0
	s_cselect_b32 s0, 12, 18
	s_delay_alu instid0(SALU_CYCLE_1)
	s_add_nc_u64 s[4:5], s[56:57], s[0:1]
	s_load_u16 s0, s[4:5], 0x0
	s_trap 2
	ds_load_b32 v1, v0
	s_wait_dscnt 0x0
	s_wait_kmcnt 0x0
	v_mul_lo_u32 v1, v1, s0
	s_branch .LBB7_3
.LBB7_2:                                ;   in Loop: Header=BB7_3 Depth=1
	s_or_b32 exec_lo, exec_lo, s4
	v_dual_add_nc_u32 v2, s0, v2 :: v_dual_add_nc_u32 v3, v3, v1
	s_delay_alu instid0(VALU_DEP_1) | instskip(SKIP_1) | instid1(SALU_CYCLE_1)
	v_cmp_ge_i32_e32 vcc_lo, v2, v0
	s_or_b32 s3, vcc_lo, s3
	s_and_not1_b32 exec_lo, exec_lo, s3
	s_cbranch_execz .LBB7_5
.LBB7_3:                                ; =>This Inner Loop Header: Depth=1
	ds_load_b32 v4, v3
	s_mov_b32 s4, exec_lo
	s_wait_dscnt 0x0
	v_and_b32_e32 v4, 0x1000000, v4
	s_delay_alu instid0(VALU_DEP_1)
	v_cmpx_ne_u32_e32 0, v4
	s_cbranch_execz .LBB7_2
; %bb.4:                                ;   in Loop: Header=BB7_3 Depth=1
	ds_load_b64 v[4:5], v3 offset:104
	s_wait_dscnt 0x0
	flat_load_u8 v4, v[4:5]
	s_wait_xcnt 0x0
	v_mov_b32_e32 v5, s1
	s_wait_loadcnt_dscnt 0x0
	v_and_b32_e32 v4, 0xffff, v4
	ds_store_b64 v3, v[4:5] offset:104
	s_branch .LBB7_2
.LBB7_5:
	s_or_b32 exec_lo, exec_lo, s2
	s_wait_storecnt_dscnt 0x0
	s_barrier_signal -1
	s_barrier_wait -1
	s_trap 2
	ds_load_b32 v0, v0
	s_wait_dscnt 0x0
	v_cmp_gt_i32_e32 vcc_lo, 1, v0
	s_cbranch_vccnz .LBB7_13
; %bb.6:
	s_mov_b32 s60, 0
	s_get_pc_i64 s[58:59]
	s_add_nc_u64 s[58:59], s[58:59], _ZN12_GLOBAL__N_17runRingI14__hip_fp8_e5m213FuncPreMulSumIS1_E11ProtoSimpleILi1ELi1ELi0ELi4ELi0ELi0EELi0ELi4ELi0EEEviiP15ncclDevWorkColl@rel64+4
	s_branch .LBB7_8
.LBB7_7:                                ;   in Loop: Header=BB7_8 Depth=1
	s_or_b32 exec_lo, exec_lo, s61
	s_trap 2
	ds_load_b32 v0, v0
	s_add_co_i32 s60, s60, 1
	s_wait_dscnt 0x0
	v_cmp_lt_i32_e32 vcc_lo, s60, v0
	s_cbranch_vccz .LBB7_13
.LBB7_8:                                ; =>This Inner Loop Header: Depth=1
	s_trap 2
	ds_load_b32 v0, v0
	s_cmp_eq_u32 s60, 0
	s_cbranch_scc1 .LBB7_11
; %bb.9:                                ;   in Loop: Header=BB7_8 Depth=1
	s_trap 2
	s_wait_dscnt 0x0
	ds_load_b32 v1, v0
	s_wait_dscnt 0x0
	v_xor_b32_e32 v1, v1, v0
	s_delay_alu instid0(VALU_DEP_1) | instskip(NEXT) | instid1(VALU_DEP_1)
	v_and_b32_e32 v1, 0xff0000, v1
	v_cmp_eq_u32_e32 vcc_lo, 0, v1
	s_cbranch_vccnz .LBB7_11
; %bb.10:                               ;   in Loop: Header=BB7_8 Depth=1
	s_barrier_signal -1
	s_barrier_wait -1
	ds_load_b32 v0, v0
.LBB7_11:                               ;   in Loop: Header=BB7_8 Depth=1
	s_wait_dscnt 0x0
	v_lshrrev_b32_e32 v0, 11, v0
	s_mov_b32 s61, exec_lo
	s_delay_alu instid0(VALU_DEP_1) | instskip(NEXT) | instid1(VALU_DEP_1)
	v_and_b32_e32 v1, 0x1fe0, v0
	v_cmpx_lt_u32_e64 v41, v1
	s_cbranch_execz .LBB7_7
; %bb.12:                               ;   in Loop: Header=BB7_8 Depth=1
	s_mov_b64 s[0:1], src_shared_base
	v_dual_mov_b32 v31, v40 :: v_dual_mov_b32 v0, v41
	v_mov_b32_e32 v3, s1
	s_mov_b64 s[8:9], s[56:57]
	s_mov_b32 s12, s47
	s_swap_pc_i64 s[30:31], s[58:59]
	s_branch .LBB7_7
.LBB7_13:
	s_clause 0x2
	scratch_load_b32 v127, off, s33
	scratch_load_b32 v41, off, s33 offset:4
	scratch_load_b32 v40, off, s33 offset:8
	v_readlane_b32 s30, v42, 0
	v_readlane_b32 s31, v42, 1
	s_mov_b32 s32, s33
	s_wait_xcnt 0x0
	s_or_saveexec_b32 s0, -1
	scratch_load_b32 v42, off, s33 offset:12 ; 4-byte Folded Reload
	s_wait_xcnt 0x0
	s_mov_b32 exec_lo, s0
	s_mov_b32 s33, s62
	s_wait_loadcnt 0x0
	s_set_pc_i64 s[30:31]
.Lfunc_end7:
	.size	_Z53ncclDevFunc_Reduce_RING_SIMPLE_PreMulSum_f8e5m2_0_0_4v, .Lfunc_end7-_Z53ncclDevFunc_Reduce_RING_SIMPLE_PreMulSum_f8e5m2_0_0_4v
                                        ; -- End function
	.set .L_Z53ncclDevFunc_Reduce_RING_SIMPLE_PreMulSum_f8e5m2_0_0_4v.num_vgpr, max(128, .L_ZN12_GLOBAL__N_17runRingI14__hip_fp8_e5m213FuncPreMulSumIS1_E11ProtoSimpleILi1ELi1ELi0ELi4ELi0ELi0EELi0ELi4ELi0EEEviiP15ncclDevWorkColl.num_vgpr)
	.set .L_Z53ncclDevFunc_Reduce_RING_SIMPLE_PreMulSum_f8e5m2_0_0_4v.num_agpr, max(0, .L_ZN12_GLOBAL__N_17runRingI14__hip_fp8_e5m213FuncPreMulSumIS1_E11ProtoSimpleILi1ELi1ELi0ELi4ELi0ELi0EELi0ELi4ELi0EEEviiP15ncclDevWorkColl.num_agpr)
	.set .L_Z53ncclDevFunc_Reduce_RING_SIMPLE_PreMulSum_f8e5m2_0_0_4v.numbered_sgpr, max(63, .L_ZN12_GLOBAL__N_17runRingI14__hip_fp8_e5m213FuncPreMulSumIS1_E11ProtoSimpleILi1ELi1ELi0ELi4ELi0ELi0EELi0ELi4ELi0EEEviiP15ncclDevWorkColl.numbered_sgpr)
	.set .L_Z53ncclDevFunc_Reduce_RING_SIMPLE_PreMulSum_f8e5m2_0_0_4v.num_named_barrier, max(0, .L_ZN12_GLOBAL__N_17runRingI14__hip_fp8_e5m213FuncPreMulSumIS1_E11ProtoSimpleILi1ELi1ELi0ELi4ELi0ELi0EELi0ELi4ELi0EEEviiP15ncclDevWorkColl.num_named_barrier)
	.set .L_Z53ncclDevFunc_Reduce_RING_SIMPLE_PreMulSum_f8e5m2_0_0_4v.private_seg_size, 32+max(.L_ZN12_GLOBAL__N_17runRingI14__hip_fp8_e5m213FuncPreMulSumIS1_E11ProtoSimpleILi1ELi1ELi0ELi4ELi0ELi0EELi0ELi4ELi0EEEviiP15ncclDevWorkColl.private_seg_size)
	.set .L_Z53ncclDevFunc_Reduce_RING_SIMPLE_PreMulSum_f8e5m2_0_0_4v.uses_vcc, or(1, .L_ZN12_GLOBAL__N_17runRingI14__hip_fp8_e5m213FuncPreMulSumIS1_E11ProtoSimpleILi1ELi1ELi0ELi4ELi0ELi0EELi0ELi4ELi0EEEviiP15ncclDevWorkColl.uses_vcc)
	.set .L_Z53ncclDevFunc_Reduce_RING_SIMPLE_PreMulSum_f8e5m2_0_0_4v.uses_flat_scratch, or(1, .L_ZN12_GLOBAL__N_17runRingI14__hip_fp8_e5m213FuncPreMulSumIS1_E11ProtoSimpleILi1ELi1ELi0ELi4ELi0ELi0EELi0ELi4ELi0EEEviiP15ncclDevWorkColl.uses_flat_scratch)
	.set .L_Z53ncclDevFunc_Reduce_RING_SIMPLE_PreMulSum_f8e5m2_0_0_4v.has_dyn_sized_stack, or(0, .L_ZN12_GLOBAL__N_17runRingI14__hip_fp8_e5m213FuncPreMulSumIS1_E11ProtoSimpleILi1ELi1ELi0ELi4ELi0ELi0EELi0ELi4ELi0EEEviiP15ncclDevWorkColl.has_dyn_sized_stack)
	.set .L_Z53ncclDevFunc_Reduce_RING_SIMPLE_PreMulSum_f8e5m2_0_0_4v.has_recursion, or(1, .L_ZN12_GLOBAL__N_17runRingI14__hip_fp8_e5m213FuncPreMulSumIS1_E11ProtoSimpleILi1ELi1ELi0ELi4ELi0ELi0EELi0ELi4ELi0EEEviiP15ncclDevWorkColl.has_recursion)
	.set .L_Z53ncclDevFunc_Reduce_RING_SIMPLE_PreMulSum_f8e5m2_0_0_4v.has_indirect_call, or(0, .L_ZN12_GLOBAL__N_17runRingI14__hip_fp8_e5m213FuncPreMulSumIS1_E11ProtoSimpleILi1ELi1ELi0ELi4ELi0ELi0EELi0ELi4ELi0EEEviiP15ncclDevWorkColl.has_indirect_call)
	.section	.AMDGPU.csdata,"",@progbits
; Function info:
; codeLenInByte = 756
; TotalNumSgprs: 65
; NumVgprs: 128
; ScratchSize: 672
; MemoryBound: 0
	.text
	.p2alignl 7, 3214868480
	.fill 96, 4, 3214868480
	.section	.AMDGPU.gpr_maximums,"",@progbits
	.set amdgpu.max_num_vgpr, 128
	.set amdgpu.max_num_agpr, 0
	.set amdgpu.max_num_sgpr, 63
	.text
	.type	__const.__assert_fail.fmt,@object ; @__const.__assert_fail.fmt
	.section	.rodata.str1.16,"aMS",@progbits,1
	.p2align	4, 0x0
__const.__assert_fail.fmt:
	.asciz	"%s:%u: %s: Device-side assertion `%s' failed.\n"
	.size	__const.__assert_fail.fmt, 47

	.type	.str.3,@object                  ; @.str.3
	.section	.rodata.str1.1,"aMS",@progbits,1
.str.3:
	.asciz	"2*(nrecv+nsend) <= nthreads"
	.size	.str.3, 28

	.type	.str.4,@object                  ; @.str.4
.str.4:
	.asciz	"/root/src/amdgpu-assembly/repos/ROCm__rccl/hipify/src/device/prims_simple.h"
	.size	.str.4, 76

	.type	__PRETTY_FUNCTION__._ZN10PrimitivesI14__hip_fp8_e5m213FuncPreMulSumIS0_E12FanSymmetricILi1EELi0E11ProtoSimpleILi1ELi1ELi0ELi1ELi0ELi0EELi0ELb0ELi0ELi0ELi0EEC2EiiPKiS9_PKvPvmhhhP15ncclDevWorkCollP14ncclDevWorkP2pii,@object ; @__PRETTY_FUNCTION__._ZN10PrimitivesI14__hip_fp8_e5m213FuncPreMulSumIS0_E12FanSymmetricILi1EELi0E11ProtoSimpleILi1ELi1ELi0ELi1ELi0ELi0EELi0ELb0ELi0ELi0ELi0EEC2EiiPKiS9_PKvPvmhhhP15ncclDevWorkCollP14ncclDevWorkP2pii
__PRETTY_FUNCTION__._ZN10PrimitivesI14__hip_fp8_e5m213FuncPreMulSumIS0_E12FanSymmetricILi1EELi0E11ProtoSimpleILi1ELi1ELi0ELi1ELi0ELi0EELi0ELb0ELi0ELi0ELi0EEC2EiiPKiS9_PKvPvmhhhP15ncclDevWorkCollP14ncclDevWorkP2pii:
	.asciz	"Primitives<__hip_fp8_e5m2, FuncPreMulSum<rccl_bfloat8>, FanSymmetric<1>, 0, ProtoSimple<1, 1, 0, 1>, 0>::Primitives(int, int, const int *, const int *, const void *, void *, uint64_t, uint8_t, uint8_t, uint8_t, struct ncclDevWorkColl *, struct ncclDevWorkP2p *, int, int) [T = __hip_fp8_e5m2, RedOp = FuncPreMulSum<rccl_bfloat8>, Fan = FanSymmetric<1>, Direct = 0, Proto = ProtoSimple<1, 1, 0, 1>, P2p = 0, isNetOffload = false, Metadata = 0, Pipeline = 0, useAcc = 0]"
	.size	__PRETTY_FUNCTION__._ZN10PrimitivesI14__hip_fp8_e5m213FuncPreMulSumIS0_E12FanSymmetricILi1EELi0E11ProtoSimpleILi1ELi1ELi0ELi1ELi0ELi0EELi0ELb0ELi0ELi0ELi0EEC2EiiPKiS9_PKvPvmhhhP15ncclDevWorkCollP14ncclDevWorkP2pii, 469

	.type	__PRETTY_FUNCTION__._ZN10PrimitivesI14__hip_fp8_e5m213FuncPreMulSumIS0_E12FanSymmetricILi1EELi0E11ProtoSimpleILi1ELi1ELi0ELi2ELi0ELi0EELi0ELb0ELi0ELi0ELi0EEC2EiiPKiS9_PKvPvmhhhP15ncclDevWorkCollP14ncclDevWorkP2pii,@object ; @__PRETTY_FUNCTION__._ZN10PrimitivesI14__hip_fp8_e5m213FuncPreMulSumIS0_E12FanSymmetricILi1EELi0E11ProtoSimpleILi1ELi1ELi0ELi2ELi0ELi0EELi0ELb0ELi0ELi0ELi0EEC2EiiPKiS9_PKvPvmhhhP15ncclDevWorkCollP14ncclDevWorkP2pii
__PRETTY_FUNCTION__._ZN10PrimitivesI14__hip_fp8_e5m213FuncPreMulSumIS0_E12FanSymmetricILi1EELi0E11ProtoSimpleILi1ELi1ELi0ELi2ELi0ELi0EELi0ELb0ELi0ELi0ELi0EEC2EiiPKiS9_PKvPvmhhhP15ncclDevWorkCollP14ncclDevWorkP2pii:
	.asciz	"Primitives<__hip_fp8_e5m2, FuncPreMulSum<rccl_bfloat8>, FanSymmetric<1>, 0, ProtoSimple<1, 1, 0, 2>, 0>::Primitives(int, int, const int *, const int *, const void *, void *, uint64_t, uint8_t, uint8_t, uint8_t, struct ncclDevWorkColl *, struct ncclDevWorkP2p *, int, int) [T = __hip_fp8_e5m2, RedOp = FuncPreMulSum<rccl_bfloat8>, Fan = FanSymmetric<1>, Direct = 0, Proto = ProtoSimple<1, 1, 0, 2>, P2p = 0, isNetOffload = false, Metadata = 0, Pipeline = 0, useAcc = 0]"
	.size	__PRETTY_FUNCTION__._ZN10PrimitivesI14__hip_fp8_e5m213FuncPreMulSumIS0_E12FanSymmetricILi1EELi0E11ProtoSimpleILi1ELi1ELi0ELi2ELi0ELi0EELi0ELb0ELi0ELi0ELi0EEC2EiiPKiS9_PKvPvmhhhP15ncclDevWorkCollP14ncclDevWorkP2pii, 469

	.type	__PRETTY_FUNCTION__._ZN10PrimitivesI14__hip_fp8_e5m213FuncPreMulSumIS0_E12FanSymmetricILi1EELi0E11ProtoSimpleILi1ELi1ELi0ELi4ELi0ELi0EELi0ELb0ELi0ELi0ELi0EEC2EiiPKiS9_PKvPvmhhhP15ncclDevWorkCollP14ncclDevWorkP2pii,@object ; @__PRETTY_FUNCTION__._ZN10PrimitivesI14__hip_fp8_e5m213FuncPreMulSumIS0_E12FanSymmetricILi1EELi0E11ProtoSimpleILi1ELi1ELi0ELi4ELi0ELi0EELi0ELb0ELi0ELi0ELi0EEC2EiiPKiS9_PKvPvmhhhP15ncclDevWorkCollP14ncclDevWorkP2pii
__PRETTY_FUNCTION__._ZN10PrimitivesI14__hip_fp8_e5m213FuncPreMulSumIS0_E12FanSymmetricILi1EELi0E11ProtoSimpleILi1ELi1ELi0ELi4ELi0ELi0EELi0ELb0ELi0ELi0ELi0EEC2EiiPKiS9_PKvPvmhhhP15ncclDevWorkCollP14ncclDevWorkP2pii:
	.asciz	"Primitives<__hip_fp8_e5m2, FuncPreMulSum<rccl_bfloat8>, FanSymmetric<1>, 0, ProtoSimple<1, 1, 0, 4>, 0>::Primitives(int, int, const int *, const int *, const void *, void *, uint64_t, uint8_t, uint8_t, uint8_t, struct ncclDevWorkColl *, struct ncclDevWorkP2p *, int, int) [T = __hip_fp8_e5m2, RedOp = FuncPreMulSum<rccl_bfloat8>, Fan = FanSymmetric<1>, Direct = 0, Proto = ProtoSimple<1, 1, 0, 4>, P2p = 0, isNetOffload = false, Metadata = 0, Pipeline = 0, useAcc = 0]"
	.size	__PRETTY_FUNCTION__._ZN10PrimitivesI14__hip_fp8_e5m213FuncPreMulSumIS0_E12FanSymmetricILi1EELi0E11ProtoSimpleILi1ELi1ELi0ELi4ELi0ELi0EELi0ELb0ELi0ELi0ELi0EEC2EiiPKiS9_PKvPvmhhhP15ncclDevWorkCollP14ncclDevWorkP2pii, 469

	.type	__hip_cuid_5ea4dc333c0e40ad,@object ; @__hip_cuid_5ea4dc333c0e40ad
	.section	.bss,"aw",@nobits
	.globl	__hip_cuid_5ea4dc333c0e40ad
__hip_cuid_5ea4dc333c0e40ad:
	.byte	0                               ; 0x0
	.size	__hip_cuid_5ea4dc333c0e40ad, 1

	.ident	"AMD clang version 22.0.0git (https://github.com/RadeonOpenCompute/llvm-project roc-7.2.4 26084 f58b06dce1f9c15707c5f808fd002e18c2accf7e)"
	.section	".note.GNU-stack","",@progbits
	.addrsig
	.addrsig_sym _Z53ncclDevFunc_Reduce_RING_SIMPLE_PreMulSum_f8e5m2_0_0_1v
	.addrsig_sym _Z53ncclDevFunc_Reduce_RING_SIMPLE_PreMulSum_f8e5m2_0_0_2v
	.addrsig_sym _Z53ncclDevFunc_Reduce_RING_SIMPLE_PreMulSum_f8e5m2_0_0_4v
	.addrsig_sym ncclShmem
	.addrsig_sym __hip_cuid_5ea4dc333c0e40ad
	.amdgpu_metadata
---
amdhsa.kernels:  []
amdhsa.target:   amdgcn-amd-amdhsa--gfx1250
amdhsa.version:
  - 1
  - 2
...

	.end_amdgpu_metadata
